;; amdgpu-corpus repo=ROCm/rocBLAS kind=compiled arch=gfx90a opt=O3
	.text
	.amdgcn_target "amdgcn-amd-amdhsa--gfx90a"
	.amdhsa_code_object_version 6
	.section	.text._ZL28rocblas_dot_batched_4_kernelIiLi32ELi4ELb0EDF16_DF16_PKDF16_EviT5_lT_lS2_lS3_liPT4_,"axG",@progbits,_ZL28rocblas_dot_batched_4_kernelIiLi32ELi4ELb0EDF16_DF16_PKDF16_EviT5_lT_lS2_lS3_liPT4_,comdat
	.globl	_ZL28rocblas_dot_batched_4_kernelIiLi32ELi4ELb0EDF16_DF16_PKDF16_EviT5_lT_lS2_lS3_liPT4_ ; -- Begin function _ZL28rocblas_dot_batched_4_kernelIiLi32ELi4ELb0EDF16_DF16_PKDF16_EviT5_lT_lS2_lS3_liPT4_
	.p2align	8
	.type	_ZL28rocblas_dot_batched_4_kernelIiLi32ELi4ELb0EDF16_DF16_PKDF16_EviT5_lT_lS2_lS3_liPT4_,@function
_ZL28rocblas_dot_batched_4_kernelIiLi32ELi4ELb0EDF16_DF16_PKDF16_EviT5_lT_lS2_lS3_liPT4_: ; @_ZL28rocblas_dot_batched_4_kernelIiLi32ELi4ELb0EDF16_DF16_PKDF16_EviT5_lT_lS2_lS3_liPT4_
; %bb.0:
	s_load_dword s0, s[4:5], 0x48
	v_bfe_u32 v1, v0, 10, 10
	v_lshl_add_u32 v2, s6, 2, v1
	s_waitcnt lgkmcnt(0)
	v_cmp_gt_u32_e32 vcc, s0, v2
	s_and_saveexec_b64 s[0:1], vcc
	s_cbranch_execz .LBB0_7
; %bb.1:
	s_load_dword s10, s[4:5], 0x0
	s_load_dwordx2 s[0:1], s[4:5], 0x50
	v_mov_b32_e32 v3, 0
	v_and_b32_e32 v6, 0x3ff, v0
	v_mov_b32_e32 v7, v3
	s_waitcnt lgkmcnt(0)
	v_cmp_gt_i32_e32 vcc, s10, v6
	s_and_saveexec_b64 s[2:3], vcc
	s_cbranch_execz .LBB0_5
; %bb.2:
	s_load_dwordx4 s[12:15], s[4:5], 0x8
	s_load_dword s6, s[4:5], 0x18
	s_load_dword s8, s[4:5], 0x38
	s_load_dwordx4 s[16:19], s[4:5], 0x20
	s_load_dwordx2 s[20:21], s[4:5], 0x30
	s_load_dwordx2 s[22:23], s[4:5], 0x40
	s_waitcnt lgkmcnt(0)
	v_mad_i64_i32 v[0:1], s[4:5], s6, v6, 0
	v_mad_u64_u32 v[4:5], s[4:5], s16, v2, 0
	v_mov_b32_e32 v8, v5
	v_mad_u64_u32 v[8:9], s[4:5], s17, v2, v[8:9]
	v_mov_b32_e32 v5, v8
	s_ashr_i32 s7, s6, 31
	s_ashr_i32 s9, s8, 31
	v_lshlrev_b64 v[0:1], 1, v[0:1]
	v_lshlrev_b64 v[4:5], 1, v[4:5]
	s_lshl_b64 s[4:5], s[14:15], 1
	v_add_co_u32_e32 v0, vcc, v0, v4
	s_add_u32 s4, s12, s4
	v_addc_co_u32_e32 v1, vcc, v1, v5, vcc
	s_addc_u32 s5, s13, s5
	v_mov_b32_e32 v4, s5
	v_add_co_u32_e32 v0, vcc, s4, v0
	s_lshl_b64 s[4:5], s[6:7], 6
	v_mad_u64_u32 v[8:9], s[6:7], s22, v2, 0
	v_mov_b32_e32 v10, v9
	v_mad_u64_u32 v[10:11], s[6:7], s23, v2, v[10:11]
	v_addc_co_u32_e32 v1, vcc, v4, v1, vcc
	v_mad_i64_i32 v[4:5], s[6:7], s8, v6, 0
	v_mov_b32_e32 v9, v10
	v_lshlrev_b64 v[4:5], 1, v[4:5]
	v_lshlrev_b64 v[8:9], 1, v[8:9]
	s_lshl_b64 s[6:7], s[20:21], 1
	v_add_co_u32_e32 v4, vcc, v4, v8
	s_add_u32 s6, s18, s6
	v_addc_co_u32_e32 v5, vcc, v5, v9, vcc
	s_addc_u32 s7, s19, s7
	v_mov_b32_e32 v7, s7
	v_add_co_u32_e32 v4, vcc, s6, v4
	s_lshl_b64 s[8:9], s[8:9], 6
	v_addc_co_u32_e32 v5, vcc, v7, v5, vcc
	s_mov_b64 s[6:7], 0
	v_mov_b32_e32 v7, 0
	v_mov_b32_e32 v8, s5
	;; [unrolled: 1-line block ×4, first 2 shown]
.LBB0_3:                                ; =>This Inner Loop Header: Depth=1
	global_load_ushort v11, v[0:1], off
	global_load_ushort v12, v[4:5], off
	v_add_co_u32_e32 v0, vcc, s4, v0
	v_addc_co_u32_e32 v1, vcc, v1, v8, vcc
	v_add_co_u32_e32 v4, vcc, s8, v4
	v_add_u32_e32 v10, 32, v10
	v_addc_co_u32_e32 v5, vcc, v5, v9, vcc
	v_cmp_le_i32_e32 vcc, s10, v10
	s_or_b64 s[6:7], vcc, s[6:7]
	s_waitcnt vmcnt(0)
	v_fma_f16 v7, v11, v12, v7
	s_andn2_b64 exec, exec, s[6:7]
	s_cbranch_execnz .LBB0_3
; %bb.4:
	s_or_b64 exec, exec, s[6:7]
.LBB0_5:
	s_or_b64 exec, exec, s[2:3]
	v_mbcnt_lo_u32_b32 v0, -1, 0
	v_mbcnt_hi_u32_b32 v1, -1, v0
	v_and_b32_e32 v4, 63, v1
	v_cmp_gt_u32_e32 vcc, 48, v4
	v_cndmask_b32_e64 v5, 0, 1, vcc
	v_lshlrev_b32_e32 v5, 4, v5
	v_and_b32_e32 v0, 0xffff, v7
	v_add_lshl_u32 v5, v5, v1, 2
	ds_bpermute_b32 v0, v5, v0
	v_cmp_gt_u32_e32 vcc, 56, v4
	s_mov_b32 s2, 0xffff0000
	s_waitcnt lgkmcnt(0)
	s_barrier
	v_add_f16_e32 v5, v7, v0
	v_cndmask_b32_e64 v7, 0, 1, vcc
	v_lshlrev_b32_e32 v7, 3, v7
	v_and_or_b32 v0, v0, s2, v5
	v_add_lshl_u32 v7, v7, v1, 2
	ds_bpermute_b32 v0, v7, v0
	v_cmp_gt_u32_e32 vcc, 60, v4
	v_cndmask_b32_e64 v7, 0, 1, vcc
	v_lshlrev_b32_e32 v7, 2, v7
	v_add_lshl_u32 v7, v7, v1, 2
	s_waitcnt lgkmcnt(0)
	v_add_f16_e32 v5, v5, v0
	v_and_or_b32 v0, v0, s2, v5
	ds_bpermute_b32 v0, v7, v0
	v_cmp_gt_u32_e32 vcc, 62, v4
	v_cndmask_b32_e64 v7, 0, 1, vcc
	v_lshlrev_b32_e32 v7, 1, v7
	v_add_lshl_u32 v7, v7, v1, 2
	s_waitcnt lgkmcnt(0)
	v_add_f16_e32 v5, v5, v0
	v_and_or_b32 v0, v0, s2, v5
	ds_bpermute_b32 v7, v7, v0
	v_cmp_ne_u32_e32 vcc, 63, v4
	v_addc_co_u32_e32 v1, vcc, 0, v1, vcc
	v_lshlrev_b32_e32 v1, 2, v1
	s_waitcnt lgkmcnt(0)
	v_add_f16_e32 v0, v5, v7
	v_and_or_b32 v5, v7, s2, v0
	ds_bpermute_b32 v1, v1, v5
	v_cmp_eq_u32_e32 vcc, 0, v6
	s_waitcnt lgkmcnt(0)
	s_and_b64 exec, exec, vcc
	s_cbranch_execz .LBB0_7
; %bb.6:
	v_lshlrev_b64 v[2:3], 1, v[2:3]
	v_mov_b32_e32 v4, s1
	v_add_co_u32_e32 v2, vcc, s0, v2
	v_addc_co_u32_e32 v3, vcc, v4, v3, vcc
	v_add_f16_e32 v0, v0, v1
	global_store_short v[2:3], v0, off
.LBB0_7:
	s_endpgm
	.section	.rodata,"a",@progbits
	.p2align	6, 0x0
	.amdhsa_kernel _ZL28rocblas_dot_batched_4_kernelIiLi32ELi4ELb0EDF16_DF16_PKDF16_EviT5_lT_lS2_lS3_liPT4_
		.amdhsa_group_segment_fixed_size 0
		.amdhsa_private_segment_fixed_size 0
		.amdhsa_kernarg_size 88
		.amdhsa_user_sgpr_count 6
		.amdhsa_user_sgpr_private_segment_buffer 1
		.amdhsa_user_sgpr_dispatch_ptr 0
		.amdhsa_user_sgpr_queue_ptr 0
		.amdhsa_user_sgpr_kernarg_segment_ptr 1
		.amdhsa_user_sgpr_dispatch_id 0
		.amdhsa_user_sgpr_flat_scratch_init 0
		.amdhsa_user_sgpr_kernarg_preload_length 0
		.amdhsa_user_sgpr_kernarg_preload_offset 0
		.amdhsa_user_sgpr_private_segment_size 0
		.amdhsa_uses_dynamic_stack 0
		.amdhsa_system_sgpr_private_segment_wavefront_offset 0
		.amdhsa_system_sgpr_workgroup_id_x 1
		.amdhsa_system_sgpr_workgroup_id_y 0
		.amdhsa_system_sgpr_workgroup_id_z 0
		.amdhsa_system_sgpr_workgroup_info 0
		.amdhsa_system_vgpr_workitem_id 1
		.amdhsa_next_free_vgpr 13
		.amdhsa_next_free_sgpr 24
		.amdhsa_accum_offset 16
		.amdhsa_reserve_vcc 1
		.amdhsa_reserve_flat_scratch 0
		.amdhsa_float_round_mode_32 0
		.amdhsa_float_round_mode_16_64 0
		.amdhsa_float_denorm_mode_32 3
		.amdhsa_float_denorm_mode_16_64 3
		.amdhsa_dx10_clamp 1
		.amdhsa_ieee_mode 1
		.amdhsa_fp16_overflow 0
		.amdhsa_tg_split 0
		.amdhsa_exception_fp_ieee_invalid_op 0
		.amdhsa_exception_fp_denorm_src 0
		.amdhsa_exception_fp_ieee_div_zero 0
		.amdhsa_exception_fp_ieee_overflow 0
		.amdhsa_exception_fp_ieee_underflow 0
		.amdhsa_exception_fp_ieee_inexact 0
		.amdhsa_exception_int_div_zero 0
	.end_amdhsa_kernel
	.section	.text._ZL28rocblas_dot_batched_4_kernelIiLi32ELi4ELb0EDF16_DF16_PKDF16_EviT5_lT_lS2_lS3_liPT4_,"axG",@progbits,_ZL28rocblas_dot_batched_4_kernelIiLi32ELi4ELb0EDF16_DF16_PKDF16_EviT5_lT_lS2_lS3_liPT4_,comdat
.Lfunc_end0:
	.size	_ZL28rocblas_dot_batched_4_kernelIiLi32ELi4ELb0EDF16_DF16_PKDF16_EviT5_lT_lS2_lS3_liPT4_, .Lfunc_end0-_ZL28rocblas_dot_batched_4_kernelIiLi32ELi4ELb0EDF16_DF16_PKDF16_EviT5_lT_lS2_lS3_liPT4_
                                        ; -- End function
	.section	.AMDGPU.csdata,"",@progbits
; Kernel info:
; codeLenInByte = 712
; NumSgprs: 28
; NumVgprs: 13
; NumAgprs: 0
; TotalNumVgprs: 13
; ScratchSize: 0
; MemoryBound: 0
; FloatMode: 240
; IeeeMode: 1
; LDSByteSize: 0 bytes/workgroup (compile time only)
; SGPRBlocks: 3
; VGPRBlocks: 1
; NumSGPRsForWavesPerEU: 28
; NumVGPRsForWavesPerEU: 13
; AccumOffset: 16
; Occupancy: 8
; WaveLimiterHint : 0
; COMPUTE_PGM_RSRC2:SCRATCH_EN: 0
; COMPUTE_PGM_RSRC2:USER_SGPR: 6
; COMPUTE_PGM_RSRC2:TRAP_HANDLER: 0
; COMPUTE_PGM_RSRC2:TGID_X_EN: 1
; COMPUTE_PGM_RSRC2:TGID_Y_EN: 0
; COMPUTE_PGM_RSRC2:TGID_Z_EN: 0
; COMPUTE_PGM_RSRC2:TIDIG_COMP_CNT: 1
; COMPUTE_PGM_RSRC3_GFX90A:ACCUM_OFFSET: 3
; COMPUTE_PGM_RSRC3_GFX90A:TG_SPLIT: 0
	.section	.text._ZL28rocblas_dot_batched_4_kernelIiLi64ELi4ELb0EDF16_DF16_PKDF16_EviT5_lT_lS2_lS3_liPT4_,"axG",@progbits,_ZL28rocblas_dot_batched_4_kernelIiLi64ELi4ELb0EDF16_DF16_PKDF16_EviT5_lT_lS2_lS3_liPT4_,comdat
	.globl	_ZL28rocblas_dot_batched_4_kernelIiLi64ELi4ELb0EDF16_DF16_PKDF16_EviT5_lT_lS2_lS3_liPT4_ ; -- Begin function _ZL28rocblas_dot_batched_4_kernelIiLi64ELi4ELb0EDF16_DF16_PKDF16_EviT5_lT_lS2_lS3_liPT4_
	.p2align	8
	.type	_ZL28rocblas_dot_batched_4_kernelIiLi64ELi4ELb0EDF16_DF16_PKDF16_EviT5_lT_lS2_lS3_liPT4_,@function
_ZL28rocblas_dot_batched_4_kernelIiLi64ELi4ELb0EDF16_DF16_PKDF16_EviT5_lT_lS2_lS3_liPT4_: ; @_ZL28rocblas_dot_batched_4_kernelIiLi64ELi4ELb0EDF16_DF16_PKDF16_EviT5_lT_lS2_lS3_liPT4_
; %bb.0:
	s_load_dword s0, s[4:5], 0x48
	v_bfe_u32 v1, v0, 10, 10
	v_lshl_add_u32 v2, s6, 2, v1
	s_waitcnt lgkmcnt(0)
	v_cmp_gt_u32_e32 vcc, s0, v2
	s_and_saveexec_b64 s[0:1], vcc
	s_cbranch_execz .LBB1_7
; %bb.1:
	s_load_dword s10, s[4:5], 0x0
	s_load_dwordx2 s[0:1], s[4:5], 0x50
	v_mov_b32_e32 v3, 0
	v_and_b32_e32 v6, 0x3ff, v0
	v_mov_b32_e32 v7, v3
	s_waitcnt lgkmcnt(0)
	v_cmp_gt_i32_e32 vcc, s10, v6
	s_and_saveexec_b64 s[2:3], vcc
	s_cbranch_execz .LBB1_5
; %bb.2:
	s_load_dwordx4 s[12:15], s[4:5], 0x8
	s_load_dword s6, s[4:5], 0x18
	s_load_dword s8, s[4:5], 0x38
	s_load_dwordx4 s[16:19], s[4:5], 0x20
	s_load_dwordx2 s[20:21], s[4:5], 0x30
	s_load_dwordx2 s[22:23], s[4:5], 0x40
	s_waitcnt lgkmcnt(0)
	v_mad_i64_i32 v[0:1], s[4:5], s6, v6, 0
	v_mad_u64_u32 v[4:5], s[4:5], s16, v2, 0
	v_mov_b32_e32 v8, v5
	v_mad_u64_u32 v[8:9], s[4:5], s17, v2, v[8:9]
	v_mov_b32_e32 v5, v8
	s_ashr_i32 s7, s6, 31
	s_ashr_i32 s9, s8, 31
	v_lshlrev_b64 v[0:1], 1, v[0:1]
	v_lshlrev_b64 v[4:5], 1, v[4:5]
	s_lshl_b64 s[4:5], s[14:15], 1
	v_add_co_u32_e32 v0, vcc, v0, v4
	s_add_u32 s4, s12, s4
	v_addc_co_u32_e32 v1, vcc, v1, v5, vcc
	s_addc_u32 s5, s13, s5
	v_mov_b32_e32 v4, s5
	v_add_co_u32_e32 v0, vcc, s4, v0
	s_lshl_b64 s[4:5], s[6:7], 7
	v_mad_u64_u32 v[8:9], s[6:7], s22, v2, 0
	v_mov_b32_e32 v10, v9
	v_mad_u64_u32 v[10:11], s[6:7], s23, v2, v[10:11]
	v_addc_co_u32_e32 v1, vcc, v4, v1, vcc
	v_mad_i64_i32 v[4:5], s[6:7], s8, v6, 0
	v_mov_b32_e32 v9, v10
	v_lshlrev_b64 v[4:5], 1, v[4:5]
	v_lshlrev_b64 v[8:9], 1, v[8:9]
	s_lshl_b64 s[6:7], s[20:21], 1
	v_add_co_u32_e32 v4, vcc, v4, v8
	s_add_u32 s6, s18, s6
	v_addc_co_u32_e32 v5, vcc, v5, v9, vcc
	s_addc_u32 s7, s19, s7
	v_mov_b32_e32 v7, s7
	v_add_co_u32_e32 v4, vcc, s6, v4
	s_lshl_b64 s[8:9], s[8:9], 7
	v_addc_co_u32_e32 v5, vcc, v7, v5, vcc
	s_mov_b64 s[6:7], 0
	v_mov_b32_e32 v7, 0
	v_mov_b32_e32 v8, s5
	v_mov_b32_e32 v9, s9
	v_mov_b32_e32 v10, v6
.LBB1_3:                                ; =>This Inner Loop Header: Depth=1
	global_load_ushort v11, v[0:1], off
	global_load_ushort v12, v[4:5], off
	v_add_co_u32_e32 v0, vcc, s4, v0
	v_addc_co_u32_e32 v1, vcc, v1, v8, vcc
	v_add_co_u32_e32 v4, vcc, s8, v4
	v_add_u32_e32 v10, 64, v10
	v_addc_co_u32_e32 v5, vcc, v5, v9, vcc
	v_cmp_le_i32_e32 vcc, s10, v10
	s_or_b64 s[6:7], vcc, s[6:7]
	s_waitcnt vmcnt(0)
	v_fma_f16 v7, v11, v12, v7
	s_andn2_b64 exec, exec, s[6:7]
	s_cbranch_execnz .LBB1_3
; %bb.4:
	s_or_b64 exec, exec, s[6:7]
.LBB1_5:
	s_or_b64 exec, exec, s[2:3]
	v_mbcnt_lo_u32_b32 v0, -1, 0
	v_mbcnt_hi_u32_b32 v1, -1, v0
	v_and_b32_e32 v4, 63, v1
	v_cmp_gt_u32_e32 vcc, 32, v4
	v_cndmask_b32_e64 v5, 0, 1, vcc
	v_lshlrev_b32_e32 v5, 5, v5
	v_and_b32_e32 v0, 0xffff, v7
	v_add_lshl_u32 v5, v5, v1, 2
	ds_bpermute_b32 v0, v5, v0
	v_cmp_gt_u32_e32 vcc, 48, v4
	s_mov_b32 s2, 0xffff0000
	s_waitcnt lgkmcnt(0)
	s_barrier
	v_add_f16_e32 v5, v7, v0
	v_cndmask_b32_e64 v7, 0, 1, vcc
	v_lshlrev_b32_e32 v7, 4, v7
	v_and_or_b32 v0, v0, s2, v5
	v_add_lshl_u32 v7, v7, v1, 2
	ds_bpermute_b32 v0, v7, v0
	v_cmp_gt_u32_e32 vcc, 56, v4
	v_cndmask_b32_e64 v7, 0, 1, vcc
	v_lshlrev_b32_e32 v7, 3, v7
	v_add_lshl_u32 v7, v7, v1, 2
	s_waitcnt lgkmcnt(0)
	v_add_f16_e32 v5, v5, v0
	v_and_or_b32 v0, v0, s2, v5
	ds_bpermute_b32 v0, v7, v0
	v_cmp_gt_u32_e32 vcc, 60, v4
	v_cndmask_b32_e64 v7, 0, 1, vcc
	v_lshlrev_b32_e32 v7, 2, v7
	v_add_lshl_u32 v7, v7, v1, 2
	s_waitcnt lgkmcnt(0)
	v_add_f16_e32 v5, v5, v0
	v_and_or_b32 v0, v0, s2, v5
	;; [unrolled: 8-line block ×3, first 2 shown]
	ds_bpermute_b32 v7, v7, v0
	v_cmp_ne_u32_e32 vcc, 63, v4
	v_addc_co_u32_e32 v1, vcc, 0, v1, vcc
	v_lshlrev_b32_e32 v1, 2, v1
	s_waitcnt lgkmcnt(0)
	v_add_f16_e32 v0, v5, v7
	v_and_or_b32 v5, v7, s2, v0
	ds_bpermute_b32 v1, v1, v5
	v_cmp_eq_u32_e32 vcc, 0, v6
	s_waitcnt lgkmcnt(0)
	s_and_b64 exec, exec, vcc
	s_cbranch_execz .LBB1_7
; %bb.6:
	v_lshlrev_b64 v[2:3], 1, v[2:3]
	v_mov_b32_e32 v4, s1
	v_add_co_u32_e32 v2, vcc, s0, v2
	v_addc_co_u32_e32 v3, vcc, v4, v3, vcc
	v_add_f16_e32 v0, v0, v1
	global_store_short v[2:3], v0, off
.LBB1_7:
	s_endpgm
	.section	.rodata,"a",@progbits
	.p2align	6, 0x0
	.amdhsa_kernel _ZL28rocblas_dot_batched_4_kernelIiLi64ELi4ELb0EDF16_DF16_PKDF16_EviT5_lT_lS2_lS3_liPT4_
		.amdhsa_group_segment_fixed_size 0
		.amdhsa_private_segment_fixed_size 0
		.amdhsa_kernarg_size 88
		.amdhsa_user_sgpr_count 6
		.amdhsa_user_sgpr_private_segment_buffer 1
		.amdhsa_user_sgpr_dispatch_ptr 0
		.amdhsa_user_sgpr_queue_ptr 0
		.amdhsa_user_sgpr_kernarg_segment_ptr 1
		.amdhsa_user_sgpr_dispatch_id 0
		.amdhsa_user_sgpr_flat_scratch_init 0
		.amdhsa_user_sgpr_kernarg_preload_length 0
		.amdhsa_user_sgpr_kernarg_preload_offset 0
		.amdhsa_user_sgpr_private_segment_size 0
		.amdhsa_uses_dynamic_stack 0
		.amdhsa_system_sgpr_private_segment_wavefront_offset 0
		.amdhsa_system_sgpr_workgroup_id_x 1
		.amdhsa_system_sgpr_workgroup_id_y 0
		.amdhsa_system_sgpr_workgroup_id_z 0
		.amdhsa_system_sgpr_workgroup_info 0
		.amdhsa_system_vgpr_workitem_id 1
		.amdhsa_next_free_vgpr 13
		.amdhsa_next_free_sgpr 24
		.amdhsa_accum_offset 16
		.amdhsa_reserve_vcc 1
		.amdhsa_reserve_flat_scratch 0
		.amdhsa_float_round_mode_32 0
		.amdhsa_float_round_mode_16_64 0
		.amdhsa_float_denorm_mode_32 3
		.amdhsa_float_denorm_mode_16_64 3
		.amdhsa_dx10_clamp 1
		.amdhsa_ieee_mode 1
		.amdhsa_fp16_overflow 0
		.amdhsa_tg_split 0
		.amdhsa_exception_fp_ieee_invalid_op 0
		.amdhsa_exception_fp_denorm_src 0
		.amdhsa_exception_fp_ieee_div_zero 0
		.amdhsa_exception_fp_ieee_overflow 0
		.amdhsa_exception_fp_ieee_underflow 0
		.amdhsa_exception_fp_ieee_inexact 0
		.amdhsa_exception_int_div_zero 0
	.end_amdhsa_kernel
	.section	.text._ZL28rocblas_dot_batched_4_kernelIiLi64ELi4ELb0EDF16_DF16_PKDF16_EviT5_lT_lS2_lS3_liPT4_,"axG",@progbits,_ZL28rocblas_dot_batched_4_kernelIiLi64ELi4ELb0EDF16_DF16_PKDF16_EviT5_lT_lS2_lS3_liPT4_,comdat
.Lfunc_end1:
	.size	_ZL28rocblas_dot_batched_4_kernelIiLi64ELi4ELb0EDF16_DF16_PKDF16_EviT5_lT_lS2_lS3_liPT4_, .Lfunc_end1-_ZL28rocblas_dot_batched_4_kernelIiLi64ELi4ELb0EDF16_DF16_PKDF16_EviT5_lT_lS2_lS3_liPT4_
                                        ; -- End function
	.section	.AMDGPU.csdata,"",@progbits
; Kernel info:
; codeLenInByte = 760
; NumSgprs: 28
; NumVgprs: 13
; NumAgprs: 0
; TotalNumVgprs: 13
; ScratchSize: 0
; MemoryBound: 0
; FloatMode: 240
; IeeeMode: 1
; LDSByteSize: 0 bytes/workgroup (compile time only)
; SGPRBlocks: 3
; VGPRBlocks: 1
; NumSGPRsForWavesPerEU: 28
; NumVGPRsForWavesPerEU: 13
; AccumOffset: 16
; Occupancy: 8
; WaveLimiterHint : 0
; COMPUTE_PGM_RSRC2:SCRATCH_EN: 0
; COMPUTE_PGM_RSRC2:USER_SGPR: 6
; COMPUTE_PGM_RSRC2:TRAP_HANDLER: 0
; COMPUTE_PGM_RSRC2:TGID_X_EN: 1
; COMPUTE_PGM_RSRC2:TGID_Y_EN: 0
; COMPUTE_PGM_RSRC2:TGID_Z_EN: 0
; COMPUTE_PGM_RSRC2:TIDIG_COMP_CNT: 1
; COMPUTE_PGM_RSRC3_GFX90A:ACCUM_OFFSET: 3
; COMPUTE_PGM_RSRC3_GFX90A:TG_SPLIT: 0
	.section	.text._ZL26rocblas_dot_kernel_inc1by2ILb1ELi1024ELi32ELb0EDF16_PKDF16_DF16_EviT4_llS2_lliPT5_PT3_,"axG",@progbits,_ZL26rocblas_dot_kernel_inc1by2ILb1ELi1024ELi32ELb0EDF16_PKDF16_DF16_EviT4_llS2_lliPT5_PT3_,comdat
	.globl	_ZL26rocblas_dot_kernel_inc1by2ILb1ELi1024ELi32ELb0EDF16_PKDF16_DF16_EviT4_llS2_lliPT5_PT3_ ; -- Begin function _ZL26rocblas_dot_kernel_inc1by2ILb1ELi1024ELi32ELb0EDF16_PKDF16_DF16_EviT4_llS2_lliPT5_PT3_
	.p2align	8
	.type	_ZL26rocblas_dot_kernel_inc1by2ILb1ELi1024ELi32ELb0EDF16_PKDF16_DF16_EviT4_llS2_lliPT5_PT3_,@function
_ZL26rocblas_dot_kernel_inc1by2ILb1ELi1024ELi32ELb0EDF16_PKDF16_DF16_EviT4_llS2_lliPT5_PT3_: ; @_ZL26rocblas_dot_kernel_inc1by2ILb1ELi1024ELi32ELb0EDF16_PKDF16_DF16_EviT4_llS2_lliPT5_PT3_
; %bb.0:
	s_mov_b32 s2, s7
	s_load_dword s24, s[4:5], 0x0
	s_load_dwordx2 s[18:19], s[4:5], 0x8
	s_load_dwordx4 s[12:15], s[4:5], 0x10
	s_load_dwordx2 s[16:17], s[4:5], 0x20
	s_load_dwordx2 s[6:7], s[4:5], 0x48
	s_load_dwordx4 s[8:11], s[4:5], 0x28
	v_lshlrev_b32_e32 v6, 1, v0
	s_waitcnt lgkmcnt(0)
	s_mul_i32 s0, s2, s15
	s_mul_hi_u32 s1, s2, s14
	s_add_i32 s15, s1, s0
	s_mul_i32 s0, s2, s11
	s_mul_hi_u32 s1, s2, s10
	s_add_i32 s4, s24, -1
	s_mov_b32 s3, 0
	s_mul_i32 s14, s2, s14
	s_add_i32 s11, s1, s0
	s_mul_i32 s10, s2, s10
	v_cmp_gt_i32_e32 vcc, s4, v6
	v_mov_b32_e32 v1, 0
	s_and_saveexec_b64 s[20:21], vcc
	s_cbranch_execz .LBB2_4
; %bb.1:
	s_lshl_b64 s[0:1], s[10:11], 1
	s_lshl_b64 s[22:23], s[8:9], 1
	s_add_u32 s5, s16, s22
	s_addc_u32 s22, s17, s23
	s_add_u32 s0, s5, s0
	v_lshlrev_b32_e32 v4, 2, v0
	s_addc_u32 s1, s22, s1
	v_mov_b32_e32 v3, s1
	v_add_co_u32_e32 v2, vcc, s0, v4
	s_lshl_b64 s[0:1], s[14:15], 1
	s_lshl_b64 s[22:23], s[12:13], 1
	s_add_u32 s5, s18, s22
	s_addc_u32 s22, s19, s23
	s_add_u32 s0, s5, s0
	v_addc_co_u32_e32 v3, vcc, 0, v3, vcc
	s_addc_u32 s1, s22, s1
	v_mov_b32_e32 v5, s1
	v_add_co_u32_e32 v4, vcc, s0, v4
	v_mov_b32_e32 v1, 0
	v_addc_co_u32_e32 v5, vcc, 0, v5, vcc
	s_mov_b64 s[22:23], 0
	s_mov_b32 s5, s3
.LBB2_2:                                ; =>This Inner Loop Header: Depth=1
	global_load_dword v7, v[2:3], off
	global_load_dword v8, v[4:5], off
	s_add_i32 s25, s5, 1
	v_add_u32_e32 v6, 0x800, v6
	s_cmp_gt_u32 s5, 30
	v_add_co_u32_e32 v2, vcc, 0x1000, v2
	v_cmp_le_i32_e64 s[0:1], s4, v6
	s_cselect_b64 s[26:27], -1, 0
	v_addc_co_u32_e32 v3, vcc, 0, v3, vcc
	s_or_b64 s[0:1], s[26:27], s[0:1]
	v_add_co_u32_e32 v4, vcc, 0x1000, v4
	s_and_b64 s[0:1], exec, s[0:1]
	s_mov_b32 s5, s25
	v_addc_co_u32_e32 v5, vcc, 0, v5, vcc
	s_or_b64 s[22:23], s[0:1], s[22:23]
	s_waitcnt vmcnt(0)
	v_pk_mul_f16 v7, v7, v8
	v_add_f16_e32 v1, v1, v7
	v_add_f16_sdwa v1, v1, v7 dst_sel:DWORD dst_unused:UNUSED_PAD src0_sel:DWORD src1_sel:WORD_1
	s_andn2_b64 exec, exec, s[22:23]
	s_cbranch_execnz .LBB2_2
; %bb.3:
	s_or_b64 exec, exec, s[22:23]
.LBB2_4:
	s_or_b64 exec, exec, s[20:21]
	s_bitcmp1_b32 s24, 0
	s_cselect_b64 s[0:1], -1, 0
	v_cmp_eq_u32_e32 vcc, s4, v6
	s_and_b64 s[20:21], s[0:1], vcc
	s_and_saveexec_b64 s[0:1], s[20:21]
	s_cbranch_execz .LBB2_6
; %bb.5:
	s_lshl_b64 s[14:15], s[14:15], 1
	s_add_u32 s5, s18, s14
	s_addc_u32 s14, s19, s15
	s_lshl_b64 s[12:13], s[12:13], 1
	s_add_u32 s12, s5, s12
	s_addc_u32 s13, s14, s13
	;; [unrolled: 3-line block ×3, first 2 shown]
	s_lshl_b64 s[8:9], s[8:9], 1
	s_add_u32 s11, s5, s8
	s_mov_b32 s5, 0
	s_addc_u32 s10, s10, s9
	s_lshl_b64 s[4:5], s[4:5], 1
	s_add_u32 s8, s12, s4
	s_addc_u32 s9, s13, s5
	s_add_u32 s4, s11, s4
	v_mov_b32_e32 v2, 0
	s_addc_u32 s5, s10, s5
	global_load_ushort v3, v2, s[4:5]
	global_load_ushort v4, v2, s[8:9]
	s_waitcnt vmcnt(0)
	v_fma_f16 v1, v3, v4, v1
.LBB2_6:
	s_or_b64 exec, exec, s[0:1]
	v_and_b32_e32 v3, 63, v0
	v_cmp_gt_u32_e32 vcc, 64, v0
	v_lshlrev_b32_e32 v2, 1, v3
	s_and_saveexec_b64 s[0:1], vcc
	s_cbranch_execz .LBB2_8
; %bb.7:
	v_mov_b32_e32 v4, 0
	ds_write_b16 v2, v4
.LBB2_8:
	s_or_b64 exec, exec, s[0:1]
	v_mbcnt_lo_u32_b32 v4, -1, 0
	v_mbcnt_hi_u32_b32 v6, -1, v4
	v_and_b32_e32 v8, 63, v6
	v_cmp_gt_u32_e64 s[0:1], 32, v8
	v_cndmask_b32_e64 v5, 0, 1, s[0:1]
	v_lshlrev_b32_e32 v5, 5, v5
	v_and_b32_e32 v4, 0xffff, v1
	v_add_lshl_u32 v5, v5, v6, 2
	ds_bpermute_b32 v4, v5, v4
	v_cmp_gt_u32_e64 s[0:1], 48, v8
	v_cndmask_b32_e64 v5, 0, 1, s[0:1]
	s_mov_b32 s4, 0xffff0000
	v_lshlrev_b32_e32 v5, 4, v5
	s_waitcnt lgkmcnt(0)
	v_add_f16_e32 v1, v1, v4
	v_and_or_b32 v4, v4, s4, v1
	v_add_lshl_u32 v5, v5, v6, 2
	ds_bpermute_b32 v4, v5, v4
	v_cmp_gt_u32_e64 s[0:1], 56, v8
	s_waitcnt lgkmcnt(0)
	s_barrier
	v_add_f16_e32 v5, v1, v4
	v_cndmask_b32_e64 v1, 0, 1, s[0:1]
	v_lshlrev_b32_e32 v1, 3, v1
	v_and_or_b32 v4, v4, s4, v5
	v_add_lshl_u32 v1, v1, v6, 2
	ds_bpermute_b32 v4, v1, v4
	v_cmp_gt_u32_e64 s[0:1], 60, v8
	s_waitcnt lgkmcnt(0)
	v_add_f16_e32 v5, v5, v4
	v_and_or_b32 v7, v4, s4, v5
	v_cndmask_b32_e64 v4, 0, 1, s[0:1]
	v_lshlrev_b32_e32 v4, 2, v4
	v_add_lshl_u32 v4, v4, v6, 2
	ds_bpermute_b32 v7, v4, v7
	v_cmp_gt_u32_e64 s[0:1], 62, v8
	s_waitcnt lgkmcnt(0)
	v_add_f16_e32 v9, v5, v7
	v_cndmask_b32_e64 v5, 0, 1, s[0:1]
	v_lshlrev_b32_e32 v5, 1, v5
	v_and_or_b32 v7, v7, s4, v9
	v_add_lshl_u32 v5, v5, v6, 2
	ds_bpermute_b32 v10, v5, v7
	v_cmp_ne_u32_e64 s[0:1], 63, v8
	v_addc_co_u32_e64 v6, s[0:1], 0, v6, s[0:1]
	v_lshlrev_b32_e32 v6, 2, v6
	s_waitcnt lgkmcnt(0)
	v_add_f16_e32 v7, v9, v10
	v_and_or_b32 v9, v10, s4, v7
	ds_bpermute_b32 v8, v6, v9
	v_cmp_eq_u32_e64 s[0:1], 0, v3
	s_and_saveexec_b64 s[4:5], s[0:1]
	s_cbranch_execz .LBB2_10
; %bb.9:
	s_waitcnt lgkmcnt(0)
	v_add_f16_e32 v3, v7, v8
	v_lshrrev_b32_e32 v7, 5, v0
	v_and_b32_e32 v7, 30, v7
	ds_write_b16 v7, v3
.LBB2_10:
	s_or_b64 exec, exec, s[4:5]
	v_cmp_gt_u32_e64 s[0:1], 16, v0
	v_mov_b32_e32 v3, 0
	s_waitcnt lgkmcnt(0)
	s_barrier
	s_and_saveexec_b64 s[4:5], s[0:1]
	s_cbranch_execnz .LBB2_14
; %bb.11:
	s_or_b64 exec, exec, s[4:5]
	s_and_saveexec_b64 s[0:1], vcc
	s_cbranch_execnz .LBB2_15
.LBB2_12:
	s_or_b64 exec, exec, s[0:1]
	v_cmp_eq_u32_e32 vcc, 0, v0
	s_and_saveexec_b64 s[0:1], vcc
	s_cbranch_execnz .LBB2_16
.LBB2_13:
	s_endpgm
.LBB2_14:
	ds_read_u16 v3, v2
	s_or_b64 exec, exec, s[4:5]
	s_and_saveexec_b64 s[0:1], vcc
	s_cbranch_execz .LBB2_12
.LBB2_15:
	s_waitcnt lgkmcnt(0)
	v_and_b32_e32 v2, 0xffff, v3
	ds_bpermute_b32 v1, v1, v2
	s_mov_b32 s4, 0xffff0000
	s_waitcnt lgkmcnt(0)
	v_add_f16_e32 v2, v3, v1
	v_and_or_b32 v1, v1, s4, v2
	ds_bpermute_b32 v1, v4, v1
	s_waitcnt lgkmcnt(0)
	v_add_f16_e32 v2, v2, v1
	v_and_or_b32 v1, v1, s4, v2
	ds_bpermute_b32 v1, v5, v1
	;; [unrolled: 4-line block ×3, first 2 shown]
	s_waitcnt lgkmcnt(0)
	v_add_f16_e32 v3, v2, v1
	s_or_b64 exec, exec, s[0:1]
	v_cmp_eq_u32_e32 vcc, 0, v0
	s_and_saveexec_b64 s[0:1], vcc
	s_cbranch_execz .LBB2_13
.LBB2_16:
	s_lshl_b64 s[0:1], s[2:3], 1
	s_add_u32 s0, s6, s0
	s_addc_u32 s1, s7, s1
	v_mov_b32_e32 v0, 0
	s_waitcnt lgkmcnt(0)
	global_store_short v0, v3, s[0:1]
	s_endpgm
	.section	.rodata,"a",@progbits
	.p2align	6, 0x0
	.amdhsa_kernel _ZL26rocblas_dot_kernel_inc1by2ILb1ELi1024ELi32ELb0EDF16_PKDF16_DF16_EviT4_llS2_lliPT5_PT3_
		.amdhsa_group_segment_fixed_size 128
		.amdhsa_private_segment_fixed_size 0
		.amdhsa_kernarg_size 80
		.amdhsa_user_sgpr_count 6
		.amdhsa_user_sgpr_private_segment_buffer 1
		.amdhsa_user_sgpr_dispatch_ptr 0
		.amdhsa_user_sgpr_queue_ptr 0
		.amdhsa_user_sgpr_kernarg_segment_ptr 1
		.amdhsa_user_sgpr_dispatch_id 0
		.amdhsa_user_sgpr_flat_scratch_init 0
		.amdhsa_user_sgpr_kernarg_preload_length 0
		.amdhsa_user_sgpr_kernarg_preload_offset 0
		.amdhsa_user_sgpr_private_segment_size 0
		.amdhsa_uses_dynamic_stack 0
		.amdhsa_system_sgpr_private_segment_wavefront_offset 0
		.amdhsa_system_sgpr_workgroup_id_x 1
		.amdhsa_system_sgpr_workgroup_id_y 0
		.amdhsa_system_sgpr_workgroup_id_z 1
		.amdhsa_system_sgpr_workgroup_info 0
		.amdhsa_system_vgpr_workitem_id 0
		.amdhsa_next_free_vgpr 11
		.amdhsa_next_free_sgpr 28
		.amdhsa_accum_offset 12
		.amdhsa_reserve_vcc 1
		.amdhsa_reserve_flat_scratch 0
		.amdhsa_float_round_mode_32 0
		.amdhsa_float_round_mode_16_64 0
		.amdhsa_float_denorm_mode_32 3
		.amdhsa_float_denorm_mode_16_64 3
		.amdhsa_dx10_clamp 1
		.amdhsa_ieee_mode 1
		.amdhsa_fp16_overflow 0
		.amdhsa_tg_split 0
		.amdhsa_exception_fp_ieee_invalid_op 0
		.amdhsa_exception_fp_denorm_src 0
		.amdhsa_exception_fp_ieee_div_zero 0
		.amdhsa_exception_fp_ieee_overflow 0
		.amdhsa_exception_fp_ieee_underflow 0
		.amdhsa_exception_fp_ieee_inexact 0
		.amdhsa_exception_int_div_zero 0
	.end_amdhsa_kernel
	.section	.text._ZL26rocblas_dot_kernel_inc1by2ILb1ELi1024ELi32ELb0EDF16_PKDF16_DF16_EviT4_llS2_lliPT5_PT3_,"axG",@progbits,_ZL26rocblas_dot_kernel_inc1by2ILb1ELi1024ELi32ELb0EDF16_PKDF16_DF16_EviT4_llS2_lliPT5_PT3_,comdat
.Lfunc_end2:
	.size	_ZL26rocblas_dot_kernel_inc1by2ILb1ELi1024ELi32ELb0EDF16_PKDF16_DF16_EviT4_llS2_lliPT5_PT3_, .Lfunc_end2-_ZL26rocblas_dot_kernel_inc1by2ILb1ELi1024ELi32ELb0EDF16_PKDF16_DF16_EviT4_llS2_lliPT5_PT3_
                                        ; -- End function
	.section	.AMDGPU.csdata,"",@progbits
; Kernel info:
; codeLenInByte = 1104
; NumSgprs: 32
; NumVgprs: 11
; NumAgprs: 0
; TotalNumVgprs: 11
; ScratchSize: 0
; MemoryBound: 0
; FloatMode: 240
; IeeeMode: 1
; LDSByteSize: 128 bytes/workgroup (compile time only)
; SGPRBlocks: 3
; VGPRBlocks: 1
; NumSGPRsForWavesPerEU: 32
; NumVGPRsForWavesPerEU: 11
; AccumOffset: 12
; Occupancy: 8
; WaveLimiterHint : 0
; COMPUTE_PGM_RSRC2:SCRATCH_EN: 0
; COMPUTE_PGM_RSRC2:USER_SGPR: 6
; COMPUTE_PGM_RSRC2:TRAP_HANDLER: 0
; COMPUTE_PGM_RSRC2:TGID_X_EN: 1
; COMPUTE_PGM_RSRC2:TGID_Y_EN: 0
; COMPUTE_PGM_RSRC2:TGID_Z_EN: 1
; COMPUTE_PGM_RSRC2:TIDIG_COMP_CNT: 0
; COMPUTE_PGM_RSRC3_GFX90A:ACCUM_OFFSET: 2
; COMPUTE_PGM_RSRC3_GFX90A:TG_SPLIT: 0
	.section	.text._ZL18rocblas_dot_kernelIiLb1ELi1024ELi32ELb0EDF16_PKDF16_DF16_EviT5_lT_lS2_lS3_liPT6_PT4_,"axG",@progbits,_ZL18rocblas_dot_kernelIiLb1ELi1024ELi32ELb0EDF16_PKDF16_DF16_EviT5_lT_lS2_lS3_liPT6_PT4_,comdat
	.globl	_ZL18rocblas_dot_kernelIiLb1ELi1024ELi32ELb0EDF16_PKDF16_DF16_EviT5_lT_lS2_lS3_liPT6_PT4_ ; -- Begin function _ZL18rocblas_dot_kernelIiLb1ELi1024ELi32ELb0EDF16_PKDF16_DF16_EviT5_lT_lS2_lS3_liPT6_PT4_
	.p2align	8
	.type	_ZL18rocblas_dot_kernelIiLb1ELi1024ELi32ELb0EDF16_PKDF16_DF16_EviT5_lT_lS2_lS3_liPT6_PT4_,@function
_ZL18rocblas_dot_kernelIiLb1ELi1024ELi32ELb0EDF16_PKDF16_DF16_EviT5_lT_lS2_lS3_liPT6_PT4_: ; @_ZL18rocblas_dot_kernelIiLb1ELi1024ELi32ELb0EDF16_PKDF16_DF16_EviT5_lT_lS2_lS3_liPT6_PT4_
; %bb.0:
	s_load_dword s14, s[4:5], 0x0
	s_load_dwordx2 s[8:9], s[4:5], 0x58
	s_mov_b32 s6, s7
	s_mov_b32 s7, 0
	v_mov_b32_e32 v6, 0
	s_waitcnt lgkmcnt(0)
	v_cmp_gt_i32_e32 vcc, s14, v0
	s_and_saveexec_b64 s[10:11], vcc
	s_cbranch_execz .LBB3_4
; %bb.1:
	s_load_dword s22, s[4:5], 0x38
	s_load_dwordx2 s[12:13], s[4:5], 0x40
	s_load_dword s15, s[4:5], 0x60
	s_load_dwordx4 s[0:3], s[4:5], 0x20
	s_load_dwordx4 s[16:19], s[4:5], 0x8
	s_load_dword s23, s[4:5], 0x18
	s_load_dwordx2 s[20:21], s[4:5], 0x30
	s_waitcnt lgkmcnt(0)
	s_lshl_b32 s15, s15, 10
	s_mul_i32 s1, s1, s6
	s_mul_hi_u32 s4, s0, s6
	s_add_i32 s1, s4, s1
	s_mul_i32 s0, s0, s6
	v_mad_i64_i32 v[2:3], s[4:5], s23, v0, 0
	s_lshl_b64 s[0:1], s[0:1], 1
	s_lshl_b64 s[4:5], s[18:19], 1
	s_add_u32 s4, s16, s4
	s_addc_u32 s5, s17, s5
	s_add_u32 s0, s4, s0
	v_lshlrev_b64 v[2:3], 1, v[2:3]
	s_addc_u32 s1, s5, s1
	v_mov_b32_e32 v4, s1
	v_add_co_u32_e32 v2, vcc, s0, v2
	s_mul_hi_i32 s1, s23, s15
	s_mul_i32 s0, s23, s15
	s_lshl_b64 s[4:5], s[0:1], 1
	s_mul_i32 s0, s13, s6
	s_mul_hi_u32 s1, s12, s6
	v_addc_co_u32_e32 v3, vcc, v4, v3, vcc
	s_add_i32 s1, s1, s0
	s_mul_i32 s0, s12, s6
	v_mad_i64_i32 v[4:5], s[12:13], s22, v0, 0
	s_lshl_b64 s[0:1], s[0:1], 1
	s_lshl_b64 s[12:13], s[20:21], 1
	s_add_u32 s2, s2, s12
	s_addc_u32 s3, s3, s13
	s_add_u32 s0, s2, s0
	v_lshlrev_b64 v[4:5], 1, v[4:5]
	s_addc_u32 s1, s3, s1
	v_mov_b32_e32 v6, s1
	v_add_co_u32_e32 v4, vcc, s0, v4
	s_mul_hi_i32 s1, s22, s15
	s_mul_i32 s0, s22, s15
	s_lshl_b64 s[12:13], s[0:1], 1
	v_or_b32_e32 v1, s15, v0
	v_addc_co_u32_e32 v5, vcc, v6, v5, vcc
	s_mov_b64 s[2:3], 0
	v_mov_b32_e32 v6, 0
	v_mov_b32_e32 v7, s5
	;; [unrolled: 1-line block ×3, first 2 shown]
	s_mov_b32 s5, s7
.LBB3_2:                                ; =>This Inner Loop Header: Depth=1
	global_load_ushort v9, v[4:5], off
	global_load_ushort v10, v[2:3], off
	v_add_co_u32_e64 v2, s[0:1], s4, v2
	v_addc_co_u32_e64 v3, s[0:1], v3, v7, s[0:1]
	s_add_i32 s13, s5, 1
	v_add_co_u32_e64 v4, s[0:1], s12, v4
	v_addc_co_u32_e64 v5, s[0:1], v5, v8, s[0:1]
	s_cmp_gt_u32 s5, 30
	v_cmp_le_i32_e32 vcc, s14, v1
	s_cselect_b64 s[0:1], -1, 0
	s_or_b64 s[0:1], s[0:1], vcc
	s_and_b64 s[0:1], exec, s[0:1]
	v_add_u32_e32 v1, s15, v1
	s_mov_b32 s5, s13
	s_or_b64 s[2:3], s[0:1], s[2:3]
	s_waitcnt vmcnt(0)
	v_fma_f16 v6, v9, v10, v6
	s_andn2_b64 exec, exec, s[2:3]
	s_cbranch_execnz .LBB3_2
; %bb.3:
	s_or_b64 exec, exec, s[2:3]
.LBB3_4:
	s_or_b64 exec, exec, s[10:11]
	v_and_b32_e32 v2, 63, v0
	v_cmp_gt_u32_e32 vcc, 64, v0
	v_lshlrev_b32_e32 v1, 1, v2
	s_and_saveexec_b64 s[0:1], vcc
	s_cbranch_execz .LBB3_6
; %bb.5:
	v_mov_b32_e32 v3, 0
	ds_write_b16 v1, v3
.LBB3_6:
	s_or_b64 exec, exec, s[0:1]
	v_mbcnt_lo_u32_b32 v3, -1, 0
	v_mbcnt_hi_u32_b32 v8, -1, v3
	v_and_b32_e32 v9, 63, v8
	v_cmp_gt_u32_e64 s[0:1], 32, v9
	v_cndmask_b32_e64 v4, 0, 1, s[0:1]
	v_lshlrev_b32_e32 v4, 5, v4
	v_and_b32_e32 v3, 0xffff, v6
	v_add_lshl_u32 v4, v4, v8, 2
	ds_bpermute_b32 v3, v4, v3
	v_cmp_gt_u32_e64 s[0:1], 48, v9
	v_cndmask_b32_e64 v5, 0, 1, s[0:1]
	s_mov_b32 s2, 0xffff0000
	v_lshlrev_b32_e32 v5, 4, v5
	s_waitcnt lgkmcnt(0)
	v_add_f16_e32 v4, v6, v3
	v_and_or_b32 v3, v3, s2, v4
	v_add_lshl_u32 v5, v5, v8, 2
	ds_bpermute_b32 v3, v5, v3
	v_cmp_gt_u32_e64 s[0:1], 56, v9
	s_waitcnt lgkmcnt(0)
	s_barrier
	v_add_f16_e32 v4, v4, v3
	v_and_or_b32 v5, v3, s2, v4
	v_cndmask_b32_e64 v3, 0, 1, s[0:1]
	v_lshlrev_b32_e32 v3, 3, v3
	v_add_lshl_u32 v3, v3, v8, 2
	ds_bpermute_b32 v5, v3, v5
	v_cmp_gt_u32_e64 s[0:1], 60, v9
	s_waitcnt lgkmcnt(0)
	v_add_f16_e32 v6, v4, v5
	v_cndmask_b32_e64 v4, 0, 1, s[0:1]
	v_lshlrev_b32_e32 v4, 2, v4
	v_and_or_b32 v5, v5, s2, v6
	v_add_lshl_u32 v4, v4, v8, 2
	ds_bpermute_b32 v5, v4, v5
	v_cmp_gt_u32_e64 s[0:1], 62, v9
	s_waitcnt lgkmcnt(0)
	v_add_f16_e32 v6, v6, v5
	v_and_or_b32 v7, v5, s2, v6
	v_cndmask_b32_e64 v5, 0, 1, s[0:1]
	v_lshlrev_b32_e32 v5, 1, v5
	v_add_lshl_u32 v5, v5, v8, 2
	ds_bpermute_b32 v10, v5, v7
	v_cmp_ne_u32_e64 s[0:1], 63, v9
	s_waitcnt lgkmcnt(0)
	v_add_f16_e32 v7, v6, v10
	v_addc_co_u32_e64 v6, s[0:1], 0, v8, s[0:1]
	v_and_or_b32 v10, v10, s2, v7
	v_lshlrev_b32_e32 v6, 2, v6
	ds_bpermute_b32 v8, v6, v10
	v_cmp_eq_u32_e64 s[0:1], 0, v2
	s_and_saveexec_b64 s[2:3], s[0:1]
	s_cbranch_execz .LBB3_8
; %bb.7:
	s_waitcnt lgkmcnt(0)
	v_add_f16_e32 v2, v7, v8
	v_lshrrev_b32_e32 v7, 5, v0
	v_and_b32_e32 v7, 30, v7
	ds_write_b16 v7, v2
.LBB3_8:
	s_or_b64 exec, exec, s[2:3]
	v_cmp_gt_u32_e64 s[0:1], 16, v0
	v_mov_b32_e32 v2, 0
	s_waitcnt lgkmcnt(0)
	s_barrier
	s_and_saveexec_b64 s[2:3], s[0:1]
	s_cbranch_execnz .LBB3_12
; %bb.9:
	s_or_b64 exec, exec, s[2:3]
	s_and_saveexec_b64 s[0:1], vcc
	s_cbranch_execnz .LBB3_13
.LBB3_10:
	s_or_b64 exec, exec, s[0:1]
	v_cmp_eq_u32_e32 vcc, 0, v0
	s_and_saveexec_b64 s[0:1], vcc
	s_cbranch_execnz .LBB3_14
.LBB3_11:
	s_endpgm
.LBB3_12:
	ds_read_u16 v2, v1
	s_or_b64 exec, exec, s[2:3]
	s_and_saveexec_b64 s[0:1], vcc
	s_cbranch_execz .LBB3_10
.LBB3_13:
	s_waitcnt lgkmcnt(0)
	v_and_b32_e32 v1, 0xffff, v2
	ds_bpermute_b32 v1, v3, v1
	s_mov_b32 s2, 0xffff0000
	s_waitcnt lgkmcnt(0)
	v_add_f16_e32 v2, v2, v1
	v_and_or_b32 v1, v1, s2, v2
	ds_bpermute_b32 v1, v4, v1
	s_waitcnt lgkmcnt(0)
	v_add_f16_e32 v2, v2, v1
	v_and_or_b32 v1, v1, s2, v2
	ds_bpermute_b32 v1, v5, v1
	s_waitcnt lgkmcnt(0)
	v_add_f16_e32 v2, v2, v1
	v_and_or_b32 v1, v1, s2, v2
	ds_bpermute_b32 v1, v6, v1
	s_waitcnt lgkmcnt(0)
	v_add_f16_e32 v2, v2, v1
	s_or_b64 exec, exec, s[0:1]
	v_cmp_eq_u32_e32 vcc, 0, v0
	s_and_saveexec_b64 s[0:1], vcc
	s_cbranch_execz .LBB3_11
.LBB3_14:
	s_lshl_b64 s[0:1], s[6:7], 1
	s_add_u32 s0, s8, s0
	s_addc_u32 s1, s9, s1
	v_mov_b32_e32 v0, 0
	s_waitcnt lgkmcnt(0)
	global_store_short v0, v2, s[0:1]
	s_endpgm
	.section	.rodata,"a",@progbits
	.p2align	6, 0x0
	.amdhsa_kernel _ZL18rocblas_dot_kernelIiLb1ELi1024ELi32ELb0EDF16_PKDF16_DF16_EviT5_lT_lS2_lS3_liPT6_PT4_
		.amdhsa_group_segment_fixed_size 128
		.amdhsa_private_segment_fixed_size 0
		.amdhsa_kernarg_size 352
		.amdhsa_user_sgpr_count 6
		.amdhsa_user_sgpr_private_segment_buffer 1
		.amdhsa_user_sgpr_dispatch_ptr 0
		.amdhsa_user_sgpr_queue_ptr 0
		.amdhsa_user_sgpr_kernarg_segment_ptr 1
		.amdhsa_user_sgpr_dispatch_id 0
		.amdhsa_user_sgpr_flat_scratch_init 0
		.amdhsa_user_sgpr_kernarg_preload_length 0
		.amdhsa_user_sgpr_kernarg_preload_offset 0
		.amdhsa_user_sgpr_private_segment_size 0
		.amdhsa_uses_dynamic_stack 0
		.amdhsa_system_sgpr_private_segment_wavefront_offset 0
		.amdhsa_system_sgpr_workgroup_id_x 1
		.amdhsa_system_sgpr_workgroup_id_y 0
		.amdhsa_system_sgpr_workgroup_id_z 1
		.amdhsa_system_sgpr_workgroup_info 0
		.amdhsa_system_vgpr_workitem_id 0
		.amdhsa_next_free_vgpr 11
		.amdhsa_next_free_sgpr 24
		.amdhsa_accum_offset 12
		.amdhsa_reserve_vcc 1
		.amdhsa_reserve_flat_scratch 0
		.amdhsa_float_round_mode_32 0
		.amdhsa_float_round_mode_16_64 0
		.amdhsa_float_denorm_mode_32 3
		.amdhsa_float_denorm_mode_16_64 3
		.amdhsa_dx10_clamp 1
		.amdhsa_ieee_mode 1
		.amdhsa_fp16_overflow 0
		.amdhsa_tg_split 0
		.amdhsa_exception_fp_ieee_invalid_op 0
		.amdhsa_exception_fp_denorm_src 0
		.amdhsa_exception_fp_ieee_div_zero 0
		.amdhsa_exception_fp_ieee_overflow 0
		.amdhsa_exception_fp_ieee_underflow 0
		.amdhsa_exception_fp_ieee_inexact 0
		.amdhsa_exception_int_div_zero 0
	.end_amdhsa_kernel
	.section	.text._ZL18rocblas_dot_kernelIiLb1ELi1024ELi32ELb0EDF16_PKDF16_DF16_EviT5_lT_lS2_lS3_liPT6_PT4_,"axG",@progbits,_ZL18rocblas_dot_kernelIiLb1ELi1024ELi32ELb0EDF16_PKDF16_DF16_EviT5_lT_lS2_lS3_liPT6_PT4_,comdat
.Lfunc_end3:
	.size	_ZL18rocblas_dot_kernelIiLb1ELi1024ELi32ELb0EDF16_PKDF16_DF16_EviT5_lT_lS2_lS3_liPT6_PT4_, .Lfunc_end3-_ZL18rocblas_dot_kernelIiLb1ELi1024ELi32ELb0EDF16_PKDF16_DF16_EviT5_lT_lS2_lS3_liPT6_PT4_
                                        ; -- End function
	.section	.AMDGPU.csdata,"",@progbits
; Kernel info:
; codeLenInByte = 1048
; NumSgprs: 28
; NumVgprs: 11
; NumAgprs: 0
; TotalNumVgprs: 11
; ScratchSize: 0
; MemoryBound: 0
; FloatMode: 240
; IeeeMode: 1
; LDSByteSize: 128 bytes/workgroup (compile time only)
; SGPRBlocks: 3
; VGPRBlocks: 1
; NumSGPRsForWavesPerEU: 28
; NumVGPRsForWavesPerEU: 11
; AccumOffset: 12
; Occupancy: 8
; WaveLimiterHint : 0
; COMPUTE_PGM_RSRC2:SCRATCH_EN: 0
; COMPUTE_PGM_RSRC2:USER_SGPR: 6
; COMPUTE_PGM_RSRC2:TRAP_HANDLER: 0
; COMPUTE_PGM_RSRC2:TGID_X_EN: 1
; COMPUTE_PGM_RSRC2:TGID_Y_EN: 0
; COMPUTE_PGM_RSRC2:TGID_Z_EN: 1
; COMPUTE_PGM_RSRC2:TIDIG_COMP_CNT: 0
; COMPUTE_PGM_RSRC3_GFX90A:ACCUM_OFFSET: 2
; COMPUTE_PGM_RSRC3_GFX90A:TG_SPLIT: 0
	.section	.text._ZL24rocblas_dot_kernel_magsqIiLb1ELi1024ELi32ELb0EDF16_PKDF16_DF16_EviT5_lT_liPT6_PT4_,"axG",@progbits,_ZL24rocblas_dot_kernel_magsqIiLb1ELi1024ELi32ELb0EDF16_PKDF16_DF16_EviT5_lT_liPT6_PT4_,comdat
	.globl	_ZL24rocblas_dot_kernel_magsqIiLb1ELi1024ELi32ELb0EDF16_PKDF16_DF16_EviT5_lT_liPT6_PT4_ ; -- Begin function _ZL24rocblas_dot_kernel_magsqIiLb1ELi1024ELi32ELb0EDF16_PKDF16_DF16_EviT5_lT_liPT6_PT4_
	.p2align	8
	.type	_ZL24rocblas_dot_kernel_magsqIiLb1ELi1024ELi32ELb0EDF16_PKDF16_DF16_EviT5_lT_liPT6_PT4_,@function
_ZL24rocblas_dot_kernel_magsqIiLb1ELi1024ELi32ELb0EDF16_PKDF16_DF16_EviT5_lT_liPT6_PT4_: ; @_ZL24rocblas_dot_kernel_magsqIiLb1ELi1024ELi32ELb0EDF16_PKDF16_DF16_EviT5_lT_liPT6_PT4_
; %bb.0:
	s_mov_b32 s2, s7
	s_load_dword s12, s[4:5], 0x0
	s_load_dwordx2 s[6:7], s[4:5], 0x38
	s_mov_b32 s3, 0
	v_mov_b32_e32 v4, 0
	s_waitcnt lgkmcnt(0)
	v_cmp_gt_i32_e32 vcc, s12, v0
	s_and_saveexec_b64 s[8:9], vcc
	s_cbranch_execz .LBB4_4
; %bb.1:
	s_load_dword s10, s[4:5], 0x40
	s_load_dwordx2 s[0:1], s[4:5], 0x20
	s_load_dwordx4 s[16:19], s[4:5], 0x8
	s_load_dword s11, s[4:5], 0x18
	s_waitcnt lgkmcnt(0)
	s_lshl_b32 s13, s10, 10
	s_mul_i32 s1, s1, s2
	s_mul_hi_u32 s4, s0, s2
	s_add_i32 s1, s4, s1
	s_mul_i32 s0, s0, s2
	v_mad_i64_i32 v[2:3], s[4:5], s11, v0, 0
	s_lshl_b64 s[0:1], s[0:1], 1
	s_lshl_b64 s[4:5], s[18:19], 1
	s_add_u32 s4, s16, s4
	s_addc_u32 s5, s17, s5
	s_add_u32 s0, s4, s0
	v_lshlrev_b64 v[2:3], 1, v[2:3]
	s_addc_u32 s1, s5, s1
	v_mov_b32_e32 v4, s1
	v_add_co_u32_e32 v2, vcc, s0, v2
	s_mul_hi_i32 s1, s11, s13
	s_mul_i32 s0, s11, s13
	s_lshl_b64 s[10:11], s[0:1], 1
	v_or_b32_e32 v1, s13, v0
	v_addc_co_u32_e32 v3, vcc, v4, v3, vcc
	s_mov_b64 s[4:5], 0
	v_mov_b32_e32 v4, 0
	v_mov_b32_e32 v5, s11
	s_mov_b32 s11, s3
.LBB4_2:                                ; =>This Inner Loop Header: Depth=1
	global_load_ushort v6, v[2:3], off
	s_add_i32 s14, s11, 1
	v_add_co_u32_e64 v2, s[0:1], s10, v2
	v_addc_co_u32_e64 v3, s[0:1], v3, v5, s[0:1]
	s_cmp_gt_u32 s11, 30
	v_cmp_le_i32_e32 vcc, s12, v1
	s_cselect_b64 s[0:1], -1, 0
	s_or_b64 s[0:1], s[0:1], vcc
	s_and_b64 s[0:1], exec, s[0:1]
	v_add_u32_e32 v1, s13, v1
	s_mov_b32 s11, s14
	s_or_b64 s[4:5], s[0:1], s[4:5]
	s_waitcnt vmcnt(0)
	v_fma_f16 v4, v6, v6, v4
	s_andn2_b64 exec, exec, s[4:5]
	s_cbranch_execnz .LBB4_2
; %bb.3:
	s_or_b64 exec, exec, s[4:5]
.LBB4_4:
	s_or_b64 exec, exec, s[8:9]
	v_and_b32_e32 v2, 63, v0
	v_cmp_gt_u32_e32 vcc, 64, v0
	v_lshlrev_b32_e32 v1, 1, v2
	s_and_saveexec_b64 s[0:1], vcc
	s_cbranch_execz .LBB4_6
; %bb.5:
	v_mov_b32_e32 v3, 0
	ds_write_b16 v1, v3
.LBB4_6:
	s_or_b64 exec, exec, s[0:1]
	v_mbcnt_lo_u32_b32 v3, -1, 0
	v_mbcnt_hi_u32_b32 v6, -1, v3
	v_and_b32_e32 v8, 63, v6
	v_cmp_gt_u32_e64 s[0:1], 32, v8
	v_cndmask_b32_e64 v5, 0, 1, s[0:1]
	v_lshlrev_b32_e32 v5, 5, v5
	v_and_b32_e32 v3, 0xffff, v4
	v_add_lshl_u32 v5, v5, v6, 2
	ds_bpermute_b32 v3, v5, v3
	v_cmp_gt_u32_e64 s[0:1], 48, v8
	v_cndmask_b32_e64 v5, 0, 1, s[0:1]
	s_mov_b32 s4, 0xffff0000
	v_lshlrev_b32_e32 v5, 4, v5
	s_waitcnt lgkmcnt(0)
	v_add_f16_e32 v4, v4, v3
	v_and_or_b32 v3, v3, s4, v4
	v_add_lshl_u32 v5, v5, v6, 2
	ds_bpermute_b32 v3, v5, v3
	v_cmp_gt_u32_e64 s[0:1], 56, v8
	s_waitcnt lgkmcnt(0)
	s_barrier
	v_add_f16_e32 v4, v4, v3
	v_and_or_b32 v5, v3, s4, v4
	v_cndmask_b32_e64 v3, 0, 1, s[0:1]
	v_lshlrev_b32_e32 v3, 3, v3
	v_add_lshl_u32 v3, v3, v6, 2
	ds_bpermute_b32 v5, v3, v5
	v_cmp_gt_u32_e64 s[0:1], 60, v8
	s_waitcnt lgkmcnt(0)
	v_add_f16_e32 v7, v4, v5
	v_cndmask_b32_e64 v4, 0, 1, s[0:1]
	v_lshlrev_b32_e32 v4, 2, v4
	v_and_or_b32 v5, v5, s4, v7
	v_add_lshl_u32 v4, v4, v6, 2
	ds_bpermute_b32 v5, v4, v5
	v_cmp_gt_u32_e64 s[0:1], 62, v8
	s_waitcnt lgkmcnt(0)
	v_add_f16_e32 v7, v7, v5
	v_and_or_b32 v9, v5, s4, v7
	v_cndmask_b32_e64 v5, 0, 1, s[0:1]
	v_lshlrev_b32_e32 v5, 1, v5
	v_add_lshl_u32 v5, v5, v6, 2
	ds_bpermute_b32 v9, v5, v9
	v_cmp_ne_u32_e64 s[0:1], 63, v8
	v_addc_co_u32_e64 v6, s[0:1], 0, v6, s[0:1]
	v_lshlrev_b32_e32 v6, 2, v6
	s_waitcnt lgkmcnt(0)
	v_add_f16_e32 v7, v7, v9
	v_and_or_b32 v9, v9, s4, v7
	ds_bpermute_b32 v8, v6, v9
	v_cmp_eq_u32_e64 s[0:1], 0, v2
	s_and_saveexec_b64 s[4:5], s[0:1]
	s_cbranch_execz .LBB4_8
; %bb.7:
	s_waitcnt lgkmcnt(0)
	v_add_f16_e32 v2, v7, v8
	v_lshrrev_b32_e32 v7, 5, v0
	v_and_b32_e32 v7, 30, v7
	ds_write_b16 v7, v2
.LBB4_8:
	s_or_b64 exec, exec, s[4:5]
	v_cmp_gt_u32_e64 s[0:1], 16, v0
	v_mov_b32_e32 v2, 0
	s_waitcnt lgkmcnt(0)
	s_barrier
	s_and_saveexec_b64 s[4:5], s[0:1]
	s_cbranch_execnz .LBB4_12
; %bb.9:
	s_or_b64 exec, exec, s[4:5]
	s_and_saveexec_b64 s[0:1], vcc
	s_cbranch_execnz .LBB4_13
.LBB4_10:
	s_or_b64 exec, exec, s[0:1]
	v_cmp_eq_u32_e32 vcc, 0, v0
	s_and_saveexec_b64 s[0:1], vcc
	s_cbranch_execnz .LBB4_14
.LBB4_11:
	s_endpgm
.LBB4_12:
	ds_read_u16 v2, v1
	s_or_b64 exec, exec, s[4:5]
	s_and_saveexec_b64 s[0:1], vcc
	s_cbranch_execz .LBB4_10
.LBB4_13:
	s_waitcnt lgkmcnt(0)
	v_and_b32_e32 v1, 0xffff, v2
	ds_bpermute_b32 v1, v3, v1
	s_mov_b32 s4, 0xffff0000
	s_waitcnt lgkmcnt(0)
	v_add_f16_e32 v2, v2, v1
	v_and_or_b32 v1, v1, s4, v2
	ds_bpermute_b32 v1, v4, v1
	s_waitcnt lgkmcnt(0)
	v_add_f16_e32 v2, v2, v1
	v_and_or_b32 v1, v1, s4, v2
	ds_bpermute_b32 v1, v5, v1
	;; [unrolled: 4-line block ×3, first 2 shown]
	s_waitcnt lgkmcnt(0)
	v_add_f16_e32 v2, v2, v1
	s_or_b64 exec, exec, s[0:1]
	v_cmp_eq_u32_e32 vcc, 0, v0
	s_and_saveexec_b64 s[0:1], vcc
	s_cbranch_execz .LBB4_11
.LBB4_14:
	s_lshl_b64 s[0:1], s[2:3], 1
	s_add_u32 s0, s6, s0
	s_addc_u32 s1, s7, s1
	v_mov_b32_e32 v0, 0
	s_waitcnt lgkmcnt(0)
	global_store_short v0, v2, s[0:1]
	s_endpgm
	.section	.rodata,"a",@progbits
	.p2align	6, 0x0
	.amdhsa_kernel _ZL24rocblas_dot_kernel_magsqIiLb1ELi1024ELi32ELb0EDF16_PKDF16_DF16_EviT5_lT_liPT6_PT4_
		.amdhsa_group_segment_fixed_size 128
		.amdhsa_private_segment_fixed_size 0
		.amdhsa_kernarg_size 320
		.amdhsa_user_sgpr_count 6
		.amdhsa_user_sgpr_private_segment_buffer 1
		.amdhsa_user_sgpr_dispatch_ptr 0
		.amdhsa_user_sgpr_queue_ptr 0
		.amdhsa_user_sgpr_kernarg_segment_ptr 1
		.amdhsa_user_sgpr_dispatch_id 0
		.amdhsa_user_sgpr_flat_scratch_init 0
		.amdhsa_user_sgpr_kernarg_preload_length 0
		.amdhsa_user_sgpr_kernarg_preload_offset 0
		.amdhsa_user_sgpr_private_segment_size 0
		.amdhsa_uses_dynamic_stack 0
		.amdhsa_system_sgpr_private_segment_wavefront_offset 0
		.amdhsa_system_sgpr_workgroup_id_x 1
		.amdhsa_system_sgpr_workgroup_id_y 0
		.amdhsa_system_sgpr_workgroup_id_z 1
		.amdhsa_system_sgpr_workgroup_info 0
		.amdhsa_system_vgpr_workitem_id 0
		.amdhsa_next_free_vgpr 10
		.amdhsa_next_free_sgpr 20
		.amdhsa_accum_offset 12
		.amdhsa_reserve_vcc 1
		.amdhsa_reserve_flat_scratch 0
		.amdhsa_float_round_mode_32 0
		.amdhsa_float_round_mode_16_64 0
		.amdhsa_float_denorm_mode_32 3
		.amdhsa_float_denorm_mode_16_64 3
		.amdhsa_dx10_clamp 1
		.amdhsa_ieee_mode 1
		.amdhsa_fp16_overflow 0
		.amdhsa_tg_split 0
		.amdhsa_exception_fp_ieee_invalid_op 0
		.amdhsa_exception_fp_denorm_src 0
		.amdhsa_exception_fp_ieee_div_zero 0
		.amdhsa_exception_fp_ieee_overflow 0
		.amdhsa_exception_fp_ieee_underflow 0
		.amdhsa_exception_fp_ieee_inexact 0
		.amdhsa_exception_int_div_zero 0
	.end_amdhsa_kernel
	.section	.text._ZL24rocblas_dot_kernel_magsqIiLb1ELi1024ELi32ELb0EDF16_PKDF16_DF16_EviT5_lT_liPT6_PT4_,"axG",@progbits,_ZL24rocblas_dot_kernel_magsqIiLb1ELi1024ELi32ELb0EDF16_PKDF16_DF16_EviT5_lT_liPT6_PT4_,comdat
.Lfunc_end4:
	.size	_ZL24rocblas_dot_kernel_magsqIiLb1ELi1024ELi32ELb0EDF16_PKDF16_DF16_EviT5_lT_liPT6_PT4_, .Lfunc_end4-_ZL24rocblas_dot_kernel_magsqIiLb1ELi1024ELi32ELb0EDF16_PKDF16_DF16_EviT5_lT_liPT6_PT4_
                                        ; -- End function
	.section	.AMDGPU.csdata,"",@progbits
; Kernel info:
; codeLenInByte = 916
; NumSgprs: 24
; NumVgprs: 10
; NumAgprs: 0
; TotalNumVgprs: 10
; ScratchSize: 0
; MemoryBound: 0
; FloatMode: 240
; IeeeMode: 1
; LDSByteSize: 128 bytes/workgroup (compile time only)
; SGPRBlocks: 2
; VGPRBlocks: 1
; NumSGPRsForWavesPerEU: 24
; NumVGPRsForWavesPerEU: 10
; AccumOffset: 12
; Occupancy: 8
; WaveLimiterHint : 0
; COMPUTE_PGM_RSRC2:SCRATCH_EN: 0
; COMPUTE_PGM_RSRC2:USER_SGPR: 6
; COMPUTE_PGM_RSRC2:TRAP_HANDLER: 0
; COMPUTE_PGM_RSRC2:TGID_X_EN: 1
; COMPUTE_PGM_RSRC2:TGID_Y_EN: 0
; COMPUTE_PGM_RSRC2:TGID_Z_EN: 1
; COMPUTE_PGM_RSRC2:TIDIG_COMP_CNT: 0
; COMPUTE_PGM_RSRC3_GFX90A:ACCUM_OFFSET: 2
; COMPUTE_PGM_RSRC3_GFX90A:TG_SPLIT: 0
	.section	.text._ZL38rocblas_dot_kernel_gfx942_float_doubleIiLi1024EDF16_PKDF16_DF16_EviT2_lT_lS2_lS3_lPT3_PT1_,"axG",@progbits,_ZL38rocblas_dot_kernel_gfx942_float_doubleIiLi1024EDF16_PKDF16_DF16_EviT2_lT_lS2_lS3_lPT3_PT1_,comdat
	.globl	_ZL38rocblas_dot_kernel_gfx942_float_doubleIiLi1024EDF16_PKDF16_DF16_EviT2_lT_lS2_lS3_lPT3_PT1_ ; -- Begin function _ZL38rocblas_dot_kernel_gfx942_float_doubleIiLi1024EDF16_PKDF16_DF16_EviT2_lT_lS2_lS3_lPT3_PT1_
	.p2align	8
	.type	_ZL38rocblas_dot_kernel_gfx942_float_doubleIiLi1024EDF16_PKDF16_DF16_EviT2_lT_lS2_lS3_lPT3_PT1_,@function
_ZL38rocblas_dot_kernel_gfx942_float_doubleIiLi1024EDF16_PKDF16_DF16_EviT2_lT_lS2_lS3_lPT3_PT1_: ; @_ZL38rocblas_dot_kernel_gfx942_float_doubleIiLi1024EDF16_PKDF16_DF16_EviT2_lT_lS2_lS3_lPT3_PT1_
; %bb.0:
	s_endpgm
	.section	.rodata,"a",@progbits
	.p2align	6, 0x0
	.amdhsa_kernel _ZL38rocblas_dot_kernel_gfx942_float_doubleIiLi1024EDF16_PKDF16_DF16_EviT2_lT_lS2_lS3_lPT3_PT1_
		.amdhsa_group_segment_fixed_size 0
		.amdhsa_private_segment_fixed_size 0
		.amdhsa_kernarg_size 88
		.amdhsa_user_sgpr_count 6
		.amdhsa_user_sgpr_private_segment_buffer 1
		.amdhsa_user_sgpr_dispatch_ptr 0
		.amdhsa_user_sgpr_queue_ptr 0
		.amdhsa_user_sgpr_kernarg_segment_ptr 1
		.amdhsa_user_sgpr_dispatch_id 0
		.amdhsa_user_sgpr_flat_scratch_init 0
		.amdhsa_user_sgpr_kernarg_preload_length 0
		.amdhsa_user_sgpr_kernarg_preload_offset 0
		.amdhsa_user_sgpr_private_segment_size 0
		.amdhsa_uses_dynamic_stack 0
		.amdhsa_system_sgpr_private_segment_wavefront_offset 0
		.amdhsa_system_sgpr_workgroup_id_x 1
		.amdhsa_system_sgpr_workgroup_id_y 0
		.amdhsa_system_sgpr_workgroup_id_z 0
		.amdhsa_system_sgpr_workgroup_info 0
		.amdhsa_system_vgpr_workitem_id 0
		.amdhsa_next_free_vgpr 1
		.amdhsa_next_free_sgpr 0
		.amdhsa_accum_offset 4
		.amdhsa_reserve_vcc 0
		.amdhsa_reserve_flat_scratch 0
		.amdhsa_float_round_mode_32 0
		.amdhsa_float_round_mode_16_64 0
		.amdhsa_float_denorm_mode_32 3
		.amdhsa_float_denorm_mode_16_64 3
		.amdhsa_dx10_clamp 1
		.amdhsa_ieee_mode 1
		.amdhsa_fp16_overflow 0
		.amdhsa_tg_split 0
		.amdhsa_exception_fp_ieee_invalid_op 0
		.amdhsa_exception_fp_denorm_src 0
		.amdhsa_exception_fp_ieee_div_zero 0
		.amdhsa_exception_fp_ieee_overflow 0
		.amdhsa_exception_fp_ieee_underflow 0
		.amdhsa_exception_fp_ieee_inexact 0
		.amdhsa_exception_int_div_zero 0
	.end_amdhsa_kernel
	.section	.text._ZL38rocblas_dot_kernel_gfx942_float_doubleIiLi1024EDF16_PKDF16_DF16_EviT2_lT_lS2_lS3_lPT3_PT1_,"axG",@progbits,_ZL38rocblas_dot_kernel_gfx942_float_doubleIiLi1024EDF16_PKDF16_DF16_EviT2_lT_lS2_lS3_lPT3_PT1_,comdat
.Lfunc_end5:
	.size	_ZL38rocblas_dot_kernel_gfx942_float_doubleIiLi1024EDF16_PKDF16_DF16_EviT2_lT_lS2_lS3_lPT3_PT1_, .Lfunc_end5-_ZL38rocblas_dot_kernel_gfx942_float_doubleIiLi1024EDF16_PKDF16_DF16_EviT2_lT_lS2_lS3_lPT3_PT1_
                                        ; -- End function
	.section	.AMDGPU.csdata,"",@progbits
; Kernel info:
; codeLenInByte = 4
; NumSgprs: 4
; NumVgprs: 0
; NumAgprs: 0
; TotalNumVgprs: 0
; ScratchSize: 0
; MemoryBound: 0
; FloatMode: 240
; IeeeMode: 1
; LDSByteSize: 0 bytes/workgroup (compile time only)
; SGPRBlocks: 0
; VGPRBlocks: 0
; NumSGPRsForWavesPerEU: 4
; NumVGPRsForWavesPerEU: 1
; AccumOffset: 4
; Occupancy: 8
; WaveLimiterHint : 0
; COMPUTE_PGM_RSRC2:SCRATCH_EN: 0
; COMPUTE_PGM_RSRC2:USER_SGPR: 6
; COMPUTE_PGM_RSRC2:TRAP_HANDLER: 0
; COMPUTE_PGM_RSRC2:TGID_X_EN: 1
; COMPUTE_PGM_RSRC2:TGID_Y_EN: 0
; COMPUTE_PGM_RSRC2:TGID_Z_EN: 0
; COMPUTE_PGM_RSRC2:TIDIG_COMP_CNT: 0
; COMPUTE_PGM_RSRC3_GFX90A:ACCUM_OFFSET: 0
; COMPUTE_PGM_RSRC3_GFX90A:TG_SPLIT: 0
	.section	.text._ZL30rocblas_reduction_kernel_part2ILi1024ELi4E25rocblas_finalize_identityDF16_DF16_EviPT2_PT3_,"axG",@progbits,_ZL30rocblas_reduction_kernel_part2ILi1024ELi4E25rocblas_finalize_identityDF16_DF16_EviPT2_PT3_,comdat
	.globl	_ZL30rocblas_reduction_kernel_part2ILi1024ELi4E25rocblas_finalize_identityDF16_DF16_EviPT2_PT3_ ; -- Begin function _ZL30rocblas_reduction_kernel_part2ILi1024ELi4E25rocblas_finalize_identityDF16_DF16_EviPT2_PT3_
	.p2align	8
	.type	_ZL30rocblas_reduction_kernel_part2ILi1024ELi4E25rocblas_finalize_identityDF16_DF16_EviPT2_PT3_,@function
_ZL30rocblas_reduction_kernel_part2ILi1024ELi4E25rocblas_finalize_identityDF16_DF16_EviPT2_PT3_: ; @_ZL30rocblas_reduction_kernel_part2ILi1024ELi4E25rocblas_finalize_identityDF16_DF16_EviPT2_PT3_
; %bb.0:
	s_load_dword s12, s[4:5], 0x0
	s_load_dwordx4 s[0:3], s[4:5], 0x8
	v_lshlrev_b32_e32 v4, 2, v0
	s_mov_b32 s7, 0
	v_mov_b32_e32 v1, 0
	s_waitcnt lgkmcnt(0)
	s_ashr_i32 s8, s12, 31
	s_mul_i32 s5, s8, s6
	s_lshr_b32 s8, s8, 30
	s_add_i32 s8, s12, s8
	s_mul_hi_u32 s4, s12, s6
	s_and_b32 s13, s8, -4
	s_add_i32 s5, s4, s5
	s_mul_i32 s4, s12, s6
	v_cmp_gt_i32_e32 vcc, s13, v4
	s_and_saveexec_b64 s[8:9], vcc
	s_cbranch_execz .LBB6_4
; %bb.1:
	s_lshl_b64 s[10:11], s[4:5], 1
	s_add_u32 s10, s0, s10
	v_lshlrev_b32_e32 v2, 3, v0
	s_addc_u32 s11, s1, s11
	v_mov_b32_e32 v3, s11
	v_add_co_u32_e32 v2, vcc, s10, v2
	v_addc_co_u32_e32 v3, vcc, 0, v3, vcc
	v_add_co_u32_e32 v2, vcc, 4, v2
	v_mov_b32_e32 v1, 0
	v_addc_co_u32_e32 v3, vcc, 0, v3, vcc
	s_mov_b64 s[10:11], 0
.LBB6_2:                                ; =>This Inner Loop Header: Depth=1
	global_load_dwordx2 v[6:7], v[2:3], off offset:-4
	v_add_co_u32_e32 v2, vcc, 0x2000, v2
	v_add_u32_e32 v4, 0x1000, v4
	v_addc_co_u32_e32 v3, vcc, 0, v3, vcc
	v_cmp_le_i32_e32 vcc, s13, v4
	s_or_b64 s[10:11], vcc, s[10:11]
	s_waitcnt vmcnt(0)
	v_add_f16_e32 v1, v1, v6
	v_add_f16_sdwa v1, v1, v6 dst_sel:DWORD dst_unused:UNUSED_PAD src0_sel:DWORD src1_sel:WORD_1
	v_add_f16_e32 v1, v1, v7
	v_add_f16_sdwa v1, v1, v7 dst_sel:DWORD dst_unused:UNUSED_PAD src0_sel:DWORD src1_sel:WORD_1
	s_andn2_b64 exec, exec, s[10:11]
	s_cbranch_execnz .LBB6_2
; %bb.3:
	s_or_b64 exec, exec, s[10:11]
.LBB6_4:
	s_or_b64 exec, exec, s[8:9]
	s_sub_i32 s8, s12, s13
	v_cmp_gt_u32_e32 vcc, s8, v0
	s_and_saveexec_b64 s[8:9], vcc
	s_cbranch_execz .LBB6_6
; %bb.5:
	s_lshl_b64 s[4:5], s[4:5], 1
	s_add_u32 s0, s0, s4
	v_xad_u32 v2, v0, -1, s12
	v_mov_b32_e32 v3, 0
	s_addc_u32 s1, s1, s5
	v_lshlrev_b64 v[2:3], 1, v[2:3]
	v_mov_b32_e32 v4, s1
	v_add_co_u32_e32 v2, vcc, s0, v2
	v_addc_co_u32_e32 v3, vcc, v4, v3, vcc
	global_load_ushort v2, v[2:3], off
	s_waitcnt vmcnt(0)
	v_add_f16_e32 v1, v1, v2
.LBB6_6:
	s_or_b64 exec, exec, s[8:9]
	v_and_b32_e32 v3, 63, v0
	v_cmp_gt_u32_e32 vcc, 64, v0
	v_lshlrev_b32_e32 v2, 1, v3
	s_and_saveexec_b64 s[0:1], vcc
	s_cbranch_execz .LBB6_8
; %bb.7:
	v_mov_b32_e32 v4, 0
	ds_write_b16 v2, v4
.LBB6_8:
	s_or_b64 exec, exec, s[0:1]
	v_mbcnt_lo_u32_b32 v4, -1, 0
	v_mbcnt_hi_u32_b32 v6, -1, v4
	v_and_b32_e32 v8, 63, v6
	v_cmp_gt_u32_e64 s[0:1], 32, v8
	v_cndmask_b32_e64 v5, 0, 1, s[0:1]
	v_lshlrev_b32_e32 v5, 5, v5
	v_and_b32_e32 v4, 0xffff, v1
	v_add_lshl_u32 v5, v5, v6, 2
	ds_bpermute_b32 v4, v5, v4
	v_cmp_gt_u32_e64 s[0:1], 48, v8
	v_cndmask_b32_e64 v5, 0, 1, s[0:1]
	s_mov_b32 s4, 0xffff0000
	v_lshlrev_b32_e32 v5, 4, v5
	s_waitcnt lgkmcnt(0)
	v_add_f16_e32 v1, v1, v4
	v_and_or_b32 v4, v4, s4, v1
	v_add_lshl_u32 v5, v5, v6, 2
	ds_bpermute_b32 v4, v5, v4
	v_cmp_gt_u32_e64 s[0:1], 56, v8
	s_waitcnt lgkmcnt(0)
	s_barrier
	v_add_f16_e32 v5, v1, v4
	v_cndmask_b32_e64 v1, 0, 1, s[0:1]
	v_lshlrev_b32_e32 v1, 3, v1
	v_and_or_b32 v4, v4, s4, v5
	v_add_lshl_u32 v1, v1, v6, 2
	ds_bpermute_b32 v4, v1, v4
	v_cmp_gt_u32_e64 s[0:1], 60, v8
	s_waitcnt lgkmcnt(0)
	v_add_f16_e32 v5, v5, v4
	v_and_or_b32 v7, v4, s4, v5
	v_cndmask_b32_e64 v4, 0, 1, s[0:1]
	v_lshlrev_b32_e32 v4, 2, v4
	v_add_lshl_u32 v4, v4, v6, 2
	ds_bpermute_b32 v7, v4, v7
	v_cmp_gt_u32_e64 s[0:1], 62, v8
	s_waitcnt lgkmcnt(0)
	v_add_f16_e32 v9, v5, v7
	v_cndmask_b32_e64 v5, 0, 1, s[0:1]
	v_lshlrev_b32_e32 v5, 1, v5
	v_and_or_b32 v7, v7, s4, v9
	v_add_lshl_u32 v5, v5, v6, 2
	ds_bpermute_b32 v10, v5, v7
	v_cmp_ne_u32_e64 s[0:1], 63, v8
	v_addc_co_u32_e64 v6, s[0:1], 0, v6, s[0:1]
	v_lshlrev_b32_e32 v6, 2, v6
	s_waitcnt lgkmcnt(0)
	v_add_f16_e32 v7, v9, v10
	v_and_or_b32 v9, v10, s4, v7
	ds_bpermute_b32 v8, v6, v9
	v_cmp_eq_u32_e64 s[0:1], 0, v3
	s_and_saveexec_b64 s[4:5], s[0:1]
	s_cbranch_execz .LBB6_10
; %bb.9:
	s_waitcnt lgkmcnt(0)
	v_add_f16_e32 v3, v7, v8
	v_lshrrev_b32_e32 v7, 5, v0
	v_and_b32_e32 v7, 30, v7
	ds_write_b16 v7, v3
.LBB6_10:
	s_or_b64 exec, exec, s[4:5]
	v_cmp_gt_u32_e64 s[0:1], 16, v0
	v_mov_b32_e32 v3, 0
	s_waitcnt lgkmcnt(0)
	s_barrier
	s_and_saveexec_b64 s[4:5], s[0:1]
	s_cbranch_execnz .LBB6_14
; %bb.11:
	s_or_b64 exec, exec, s[4:5]
	s_and_saveexec_b64 s[0:1], vcc
	s_cbranch_execnz .LBB6_15
.LBB6_12:
	s_or_b64 exec, exec, s[0:1]
	v_cmp_eq_u32_e32 vcc, 0, v0
	s_and_saveexec_b64 s[0:1], vcc
	s_cbranch_execnz .LBB6_16
.LBB6_13:
	s_endpgm
.LBB6_14:
	ds_read_u16 v3, v2
	s_or_b64 exec, exec, s[4:5]
	s_and_saveexec_b64 s[0:1], vcc
	s_cbranch_execz .LBB6_12
.LBB6_15:
	s_waitcnt lgkmcnt(0)
	v_and_b32_e32 v2, 0xffff, v3
	ds_bpermute_b32 v1, v1, v2
	s_mov_b32 s4, 0xffff0000
	s_waitcnt lgkmcnt(0)
	v_add_f16_e32 v2, v3, v1
	v_and_or_b32 v1, v1, s4, v2
	ds_bpermute_b32 v1, v4, v1
	s_waitcnt lgkmcnt(0)
	v_add_f16_e32 v2, v2, v1
	v_and_or_b32 v1, v1, s4, v2
	ds_bpermute_b32 v1, v5, v1
	;; [unrolled: 4-line block ×3, first 2 shown]
	s_waitcnt lgkmcnt(0)
	v_add_f16_e32 v3, v2, v1
	s_or_b64 exec, exec, s[0:1]
	v_cmp_eq_u32_e32 vcc, 0, v0
	s_and_saveexec_b64 s[0:1], vcc
	s_cbranch_execz .LBB6_13
.LBB6_16:
	s_lshl_b64 s[0:1], s[6:7], 1
	s_add_u32 s0, s2, s0
	s_addc_u32 s1, s3, s1
	v_mov_b32_e32 v0, 0
	s_waitcnt lgkmcnt(0)
	global_store_short v0, v3, s[0:1]
	s_endpgm
	.section	.rodata,"a",@progbits
	.p2align	6, 0x0
	.amdhsa_kernel _ZL30rocblas_reduction_kernel_part2ILi1024ELi4E25rocblas_finalize_identityDF16_DF16_EviPT2_PT3_
		.amdhsa_group_segment_fixed_size 128
		.amdhsa_private_segment_fixed_size 0
		.amdhsa_kernarg_size 24
		.amdhsa_user_sgpr_count 6
		.amdhsa_user_sgpr_private_segment_buffer 1
		.amdhsa_user_sgpr_dispatch_ptr 0
		.amdhsa_user_sgpr_queue_ptr 0
		.amdhsa_user_sgpr_kernarg_segment_ptr 1
		.amdhsa_user_sgpr_dispatch_id 0
		.amdhsa_user_sgpr_flat_scratch_init 0
		.amdhsa_user_sgpr_kernarg_preload_length 0
		.amdhsa_user_sgpr_kernarg_preload_offset 0
		.amdhsa_user_sgpr_private_segment_size 0
		.amdhsa_uses_dynamic_stack 0
		.amdhsa_system_sgpr_private_segment_wavefront_offset 0
		.amdhsa_system_sgpr_workgroup_id_x 1
		.amdhsa_system_sgpr_workgroup_id_y 0
		.amdhsa_system_sgpr_workgroup_id_z 0
		.amdhsa_system_sgpr_workgroup_info 0
		.amdhsa_system_vgpr_workitem_id 0
		.amdhsa_next_free_vgpr 11
		.amdhsa_next_free_sgpr 14
		.amdhsa_accum_offset 12
		.amdhsa_reserve_vcc 1
		.amdhsa_reserve_flat_scratch 0
		.amdhsa_float_round_mode_32 0
		.amdhsa_float_round_mode_16_64 0
		.amdhsa_float_denorm_mode_32 3
		.amdhsa_float_denorm_mode_16_64 3
		.amdhsa_dx10_clamp 1
		.amdhsa_ieee_mode 1
		.amdhsa_fp16_overflow 0
		.amdhsa_tg_split 0
		.amdhsa_exception_fp_ieee_invalid_op 0
		.amdhsa_exception_fp_denorm_src 0
		.amdhsa_exception_fp_ieee_div_zero 0
		.amdhsa_exception_fp_ieee_overflow 0
		.amdhsa_exception_fp_ieee_underflow 0
		.amdhsa_exception_fp_ieee_inexact 0
		.amdhsa_exception_int_div_zero 0
	.end_amdhsa_kernel
	.section	.text._ZL30rocblas_reduction_kernel_part2ILi1024ELi4E25rocblas_finalize_identityDF16_DF16_EviPT2_PT3_,"axG",@progbits,_ZL30rocblas_reduction_kernel_part2ILi1024ELi4E25rocblas_finalize_identityDF16_DF16_EviPT2_PT3_,comdat
.Lfunc_end6:
	.size	_ZL30rocblas_reduction_kernel_part2ILi1024ELi4E25rocblas_finalize_identityDF16_DF16_EviPT2_PT3_, .Lfunc_end6-_ZL30rocblas_reduction_kernel_part2ILi1024ELi4E25rocblas_finalize_identityDF16_DF16_EviPT2_PT3_
                                        ; -- End function
	.section	.AMDGPU.csdata,"",@progbits
; Kernel info:
; codeLenInByte = 924
; NumSgprs: 18
; NumVgprs: 11
; NumAgprs: 0
; TotalNumVgprs: 11
; ScratchSize: 0
; MemoryBound: 0
; FloatMode: 240
; IeeeMode: 1
; LDSByteSize: 128 bytes/workgroup (compile time only)
; SGPRBlocks: 2
; VGPRBlocks: 1
; NumSGPRsForWavesPerEU: 18
; NumVGPRsForWavesPerEU: 11
; AccumOffset: 12
; Occupancy: 8
; WaveLimiterHint : 0
; COMPUTE_PGM_RSRC2:SCRATCH_EN: 0
; COMPUTE_PGM_RSRC2:USER_SGPR: 6
; COMPUTE_PGM_RSRC2:TRAP_HANDLER: 0
; COMPUTE_PGM_RSRC2:TGID_X_EN: 1
; COMPUTE_PGM_RSRC2:TGID_Y_EN: 0
; COMPUTE_PGM_RSRC2:TGID_Z_EN: 0
; COMPUTE_PGM_RSRC2:TIDIG_COMP_CNT: 0
; COMPUTE_PGM_RSRC3_GFX90A:ACCUM_OFFSET: 2
; COMPUTE_PGM_RSRC3_GFX90A:TG_SPLIT: 0
	.section	.text._ZL23rocblas_dot_kernel_inc1ILb0ELi512ELi8ELb0EDF16_PKDF16_DF16_EviT4_llS2_lliPT5_PT3_,"axG",@progbits,_ZL23rocblas_dot_kernel_inc1ILb0ELi512ELi8ELb0EDF16_PKDF16_DF16_EviT4_llS2_lliPT5_PT3_,comdat
	.globl	_ZL23rocblas_dot_kernel_inc1ILb0ELi512ELi8ELb0EDF16_PKDF16_DF16_EviT4_llS2_lliPT5_PT3_ ; -- Begin function _ZL23rocblas_dot_kernel_inc1ILb0ELi512ELi8ELb0EDF16_PKDF16_DF16_EviT4_llS2_lliPT5_PT3_
	.p2align	8
	.type	_ZL23rocblas_dot_kernel_inc1ILb0ELi512ELi8ELb0EDF16_PKDF16_DF16_EviT4_llS2_lliPT5_PT3_,@function
_ZL23rocblas_dot_kernel_inc1ILb0ELi512ELi8ELb0EDF16_PKDF16_DF16_EviT4_llS2_lliPT5_PT3_: ; @_ZL23rocblas_dot_kernel_inc1ILb0ELi512ELi8ELb0EDF16_PKDF16_DF16_EviT4_llS2_lliPT5_PT3_
; %bb.0:
	s_mov_b32 s2, s7
	s_load_dword s18, s[4:5], 0x50
	s_load_dword s7, s[4:5], 0x0
	s_load_dwordx4 s[8:11], s[4:5], 0x40
	v_lshl_or_b32 v2, s6, 9, v0
	s_mov_b32 s3, 0
	v_mov_b32_e32 v1, 0
	s_waitcnt lgkmcnt(0)
	v_cmp_gt_i32_e32 vcc, s7, v2
	s_and_saveexec_b64 s[12:13], vcc
	s_cbranch_execz .LBB7_4
; %bb.1:
	s_load_dwordx4 s[20:23], s[4:5], 0x10
	s_load_dwordx2 s[0:1], s[4:5], 0x8
	s_load_dwordx2 s[14:15], s[4:5], 0x20
	s_load_dwordx4 s[24:27], s[4:5], 0x28
	v_ashrrev_i32_e32 v3, 31, v2
	s_waitcnt lgkmcnt(0)
	s_mul_i32 s4, s2, s23
	s_mul_hi_u32 s5, s2, s22
	s_add_i32 s5, s5, s4
	s_mul_i32 s4, s2, s22
	s_lshl_b64 s[4:5], s[4:5], 1
	s_add_u32 s4, s0, s4
	s_addc_u32 s5, s1, s5
	s_lshl_b64 s[0:1], s[20:21], 1
	s_add_u32 s19, s4, s0
	s_addc_u32 s21, s5, s1
	s_mul_i32 s0, s2, s27
	s_mul_hi_u32 s1, s2, s26
	s_add_i32 s1, s1, s0
	s_mul_i32 s0, s2, s26
	s_lshl_b64 s[0:1], s[0:1], 1
	s_add_u32 s4, s14, s0
	s_addc_u32 s5, s15, s1
	s_lshl_b64 s[0:1], s[24:25], 1
	s_add_u32 s20, s4, s0
	s_addc_u32 s0, s5, s1
	s_lshl_b32 s4, s18, 9
	s_ashr_i32 s5, s4, 31
	s_lshl_b64 s[16:17], s[4:5], 1
	v_add_u32_e32 v4, s4, v2
	v_lshlrev_b64 v[2:3], 1, v[2:3]
	s_mov_b64 s[14:15], 0
	v_mov_b32_e32 v1, 0
	v_mov_b32_e32 v5, s0
	;; [unrolled: 1-line block ×4, first 2 shown]
	s_mov_b32 s5, s3
.LBB7_2:                                ; =>This Inner Loop Header: Depth=1
	v_add_co_u32_e32 v8, vcc, s20, v2
	v_addc_co_u32_e32 v9, vcc, v5, v3, vcc
	v_add_co_u32_e32 v10, vcc, s19, v2
	v_addc_co_u32_e32 v11, vcc, v6, v3, vcc
	global_load_ushort v12, v[8:9], off
	global_load_ushort v13, v[10:11], off
	s_add_i32 s17, s5, 1
	v_add_co_u32_e64 v2, s[0:1], s16, v2
	v_addc_co_u32_e64 v3, s[0:1], v3, v7, s[0:1]
	s_cmp_gt_u32 s5, 6
	v_cmp_le_i32_e32 vcc, s7, v4
	s_cselect_b64 s[0:1], -1, 0
	s_or_b64 s[0:1], s[0:1], vcc
	s_and_b64 s[0:1], exec, s[0:1]
	v_add_u32_e32 v4, s4, v4
	s_mov_b32 s5, s17
	s_or_b64 s[14:15], s[0:1], s[14:15]
	s_waitcnt vmcnt(0)
	v_fma_f16 v1, v12, v13, v1
	s_andn2_b64 exec, exec, s[14:15]
	s_cbranch_execnz .LBB7_2
; %bb.3:
	s_or_b64 exec, exec, s[14:15]
.LBB7_4:
	s_or_b64 exec, exec, s[12:13]
	v_and_b32_e32 v3, 63, v0
	v_cmp_gt_u32_e32 vcc, 64, v0
	v_lshlrev_b32_e32 v2, 1, v3
	s_and_saveexec_b64 s[0:1], vcc
	s_cbranch_execz .LBB7_6
; %bb.5:
	v_mov_b32_e32 v4, 0
	ds_write_b16 v2, v4
.LBB7_6:
	s_or_b64 exec, exec, s[0:1]
	v_mbcnt_lo_u32_b32 v4, -1, 0
	v_mbcnt_hi_u32_b32 v6, -1, v4
	v_and_b32_e32 v7, 63, v6
	v_cmp_gt_u32_e64 s[0:1], 32, v7
	v_cndmask_b32_e64 v5, 0, 1, s[0:1]
	v_lshlrev_b32_e32 v5, 5, v5
	v_and_b32_e32 v4, 0xffff, v1
	v_add_lshl_u32 v5, v5, v6, 2
	ds_bpermute_b32 v4, v5, v4
	v_cmp_gt_u32_e64 s[0:1], 48, v7
	v_cndmask_b32_e64 v5, 0, 1, s[0:1]
	s_mov_b32 s4, 0xffff0000
	v_lshlrev_b32_e32 v5, 4, v5
	s_waitcnt lgkmcnt(0)
	v_add_f16_e32 v1, v1, v4
	v_and_or_b32 v4, v4, s4, v1
	v_add_lshl_u32 v5, v5, v6, 2
	ds_bpermute_b32 v4, v5, v4
	v_cmp_gt_u32_e64 s[0:1], 56, v7
	v_cndmask_b32_e64 v5, 0, 1, s[0:1]
	v_lshlrev_b32_e32 v5, 3, v5
	v_add_lshl_u32 v5, v5, v6, 2
	s_waitcnt lgkmcnt(0)
	v_add_f16_e32 v1, v1, v4
	v_and_or_b32 v4, v4, s4, v1
	ds_bpermute_b32 v4, v5, v4
	v_cmp_gt_u32_e64 s[0:1], 60, v7
	s_waitcnt lgkmcnt(0)
	s_barrier
	v_add_f16_e32 v1, v1, v4
	v_and_or_b32 v5, v4, s4, v1
	v_cndmask_b32_e64 v4, 0, 1, s[0:1]
	v_lshlrev_b32_e32 v4, 2, v4
	v_add_lshl_u32 v4, v4, v6, 2
	ds_bpermute_b32 v5, v4, v5
	v_cmp_gt_u32_e64 s[0:1], 62, v7
	s_waitcnt lgkmcnt(0)
	v_add_f16_e32 v1, v1, v5
	v_and_or_b32 v8, v5, s4, v1
	v_cndmask_b32_e64 v5, 0, 1, s[0:1]
	v_lshlrev_b32_e32 v5, 1, v5
	v_add_lshl_u32 v5, v5, v6, 2
	ds_bpermute_b32 v8, v5, v8
	v_cmp_ne_u32_e64 s[0:1], 63, v7
	v_addc_co_u32_e64 v6, s[0:1], 0, v6, s[0:1]
	v_lshlrev_b32_e32 v6, 2, v6
	s_waitcnt lgkmcnt(0)
	v_add_f16_e32 v1, v1, v8
	v_and_or_b32 v8, v8, s4, v1
	ds_bpermute_b32 v7, v6, v8
	v_cmp_eq_u32_e64 s[0:1], 0, v3
	s_and_saveexec_b64 s[4:5], s[0:1]
	s_cbranch_execz .LBB7_8
; %bb.7:
	v_lshrrev_b32_e32 v3, 5, v0
	s_waitcnt lgkmcnt(0)
	v_add_f16_e32 v1, v1, v7
	v_and_b32_e32 v3, 14, v3
	ds_write_b16 v3, v1
.LBB7_8:
	s_or_b64 exec, exec, s[4:5]
	v_cmp_gt_u32_e64 s[0:1], 8, v0
	v_mov_b32_e32 v1, 0
	s_waitcnt lgkmcnt(0)
	s_barrier
	s_and_saveexec_b64 s[4:5], s[0:1]
	s_cbranch_execnz .LBB7_12
; %bb.9:
	s_or_b64 exec, exec, s[4:5]
	s_and_saveexec_b64 s[0:1], vcc
	s_cbranch_execnz .LBB7_13
.LBB7_10:
	s_or_b64 exec, exec, s[0:1]
	v_cmp_eq_u32_e32 vcc, 0, v0
	s_and_saveexec_b64 s[0:1], vcc
	s_cbranch_execnz .LBB7_14
.LBB7_11:
	s_endpgm
.LBB7_12:
	ds_read_u16 v1, v2
	s_or_b64 exec, exec, s[4:5]
	s_and_saveexec_b64 s[0:1], vcc
	s_cbranch_execz .LBB7_10
.LBB7_13:
	s_waitcnt lgkmcnt(0)
	v_and_b32_e32 v2, 0xffff, v1
	ds_bpermute_b32 v2, v4, v2
	s_mov_b32 s4, 0xffff0000
	s_waitcnt lgkmcnt(0)
	v_add_f16_e32 v1, v1, v2
	v_and_or_b32 v2, v2, s4, v1
	ds_bpermute_b32 v2, v5, v2
	s_waitcnt lgkmcnt(0)
	v_add_f16_e32 v1, v1, v2
	v_and_or_b32 v2, v2, s4, v1
	ds_bpermute_b32 v2, v6, v2
	s_waitcnt lgkmcnt(0)
	v_add_f16_e32 v1, v1, v2
	s_or_b64 exec, exec, s[0:1]
	v_cmp_eq_u32_e32 vcc, 0, v0
	s_and_saveexec_b64 s[0:1], vcc
	s_cbranch_execz .LBB7_11
.LBB7_14:
	s_cmp_lg_u32 s18, 1
	s_cbranch_scc0 .LBB7_16
; %bb.15:
	s_mul_hi_u32 s1, s18, s2
	s_mul_i32 s0, s18, s2
	s_lshl_b64 s[0:1], s[0:1], 1
	s_mov_b32 s7, 0
	s_add_u32 s4, s8, s0
	s_addc_u32 s5, s9, s1
	s_lshl_b64 s[0:1], s[6:7], 1
	s_add_u32 s0, s4, s0
	s_addc_u32 s1, s5, s1
	s_cbranch_execz .LBB7_17
	s_branch .LBB7_18
.LBB7_16:
                                        ; implicit-def: $sgpr0_sgpr1
.LBB7_17:
	s_lshl_b64 s[0:1], s[2:3], 1
	s_add_u32 s0, s10, s0
	s_addc_u32 s1, s11, s1
.LBB7_18:
	v_mov_b32_e32 v0, 0
	s_waitcnt lgkmcnt(0)
	global_store_short v0, v1, s[0:1]
	s_endpgm
	.section	.rodata,"a",@progbits
	.p2align	6, 0x0
	.amdhsa_kernel _ZL23rocblas_dot_kernel_inc1ILb0ELi512ELi8ELb0EDF16_PKDF16_DF16_EviT4_llS2_lliPT5_PT3_
		.amdhsa_group_segment_fixed_size 128
		.amdhsa_private_segment_fixed_size 0
		.amdhsa_kernarg_size 336
		.amdhsa_user_sgpr_count 6
		.amdhsa_user_sgpr_private_segment_buffer 1
		.amdhsa_user_sgpr_dispatch_ptr 0
		.amdhsa_user_sgpr_queue_ptr 0
		.amdhsa_user_sgpr_kernarg_segment_ptr 1
		.amdhsa_user_sgpr_dispatch_id 0
		.amdhsa_user_sgpr_flat_scratch_init 0
		.amdhsa_user_sgpr_kernarg_preload_length 0
		.amdhsa_user_sgpr_kernarg_preload_offset 0
		.amdhsa_user_sgpr_private_segment_size 0
		.amdhsa_uses_dynamic_stack 0
		.amdhsa_system_sgpr_private_segment_wavefront_offset 0
		.amdhsa_system_sgpr_workgroup_id_x 1
		.amdhsa_system_sgpr_workgroup_id_y 0
		.amdhsa_system_sgpr_workgroup_id_z 1
		.amdhsa_system_sgpr_workgroup_info 0
		.amdhsa_system_vgpr_workitem_id 0
		.amdhsa_next_free_vgpr 14
		.amdhsa_next_free_sgpr 28
		.amdhsa_accum_offset 16
		.amdhsa_reserve_vcc 1
		.amdhsa_reserve_flat_scratch 0
		.amdhsa_float_round_mode_32 0
		.amdhsa_float_round_mode_16_64 0
		.amdhsa_float_denorm_mode_32 3
		.amdhsa_float_denorm_mode_16_64 3
		.amdhsa_dx10_clamp 1
		.amdhsa_ieee_mode 1
		.amdhsa_fp16_overflow 0
		.amdhsa_tg_split 0
		.amdhsa_exception_fp_ieee_invalid_op 0
		.amdhsa_exception_fp_denorm_src 0
		.amdhsa_exception_fp_ieee_div_zero 0
		.amdhsa_exception_fp_ieee_overflow 0
		.amdhsa_exception_fp_ieee_underflow 0
		.amdhsa_exception_fp_ieee_inexact 0
		.amdhsa_exception_int_div_zero 0
	.end_amdhsa_kernel
	.section	.text._ZL23rocblas_dot_kernel_inc1ILb0ELi512ELi8ELb0EDF16_PKDF16_DF16_EviT4_llS2_lliPT5_PT3_,"axG",@progbits,_ZL23rocblas_dot_kernel_inc1ILb0ELi512ELi8ELb0EDF16_PKDF16_DF16_EviT4_llS2_lliPT5_PT3_,comdat
.Lfunc_end7:
	.size	_ZL23rocblas_dot_kernel_inc1ILb0ELi512ELi8ELb0EDF16_PKDF16_DF16_EviT4_llS2_lliPT5_PT3_, .Lfunc_end7-_ZL23rocblas_dot_kernel_inc1ILb0ELi512ELi8ELb0EDF16_PKDF16_DF16_EviT4_llS2_lliPT5_PT3_
                                        ; -- End function
	.section	.AMDGPU.csdata,"",@progbits
; Kernel info:
; codeLenInByte = 1012
; NumSgprs: 32
; NumVgprs: 14
; NumAgprs: 0
; TotalNumVgprs: 14
; ScratchSize: 0
; MemoryBound: 0
; FloatMode: 240
; IeeeMode: 1
; LDSByteSize: 128 bytes/workgroup (compile time only)
; SGPRBlocks: 3
; VGPRBlocks: 1
; NumSGPRsForWavesPerEU: 32
; NumVGPRsForWavesPerEU: 14
; AccumOffset: 16
; Occupancy: 8
; WaveLimiterHint : 0
; COMPUTE_PGM_RSRC2:SCRATCH_EN: 0
; COMPUTE_PGM_RSRC2:USER_SGPR: 6
; COMPUTE_PGM_RSRC2:TRAP_HANDLER: 0
; COMPUTE_PGM_RSRC2:TGID_X_EN: 1
; COMPUTE_PGM_RSRC2:TGID_Y_EN: 0
; COMPUTE_PGM_RSRC2:TGID_Z_EN: 1
; COMPUTE_PGM_RSRC2:TIDIG_COMP_CNT: 0
; COMPUTE_PGM_RSRC3_GFX90A:ACCUM_OFFSET: 3
; COMPUTE_PGM_RSRC3_GFX90A:TG_SPLIT: 0
	.section	.text._ZL18rocblas_dot_kernelIiLb0ELi512ELi8ELb0EDF16_PKDF16_DF16_EviT5_lT_lS2_lS3_liPT6_PT4_,"axG",@progbits,_ZL18rocblas_dot_kernelIiLb0ELi512ELi8ELb0EDF16_PKDF16_DF16_EviT5_lT_lS2_lS3_liPT6_PT4_,comdat
	.globl	_ZL18rocblas_dot_kernelIiLb0ELi512ELi8ELb0EDF16_PKDF16_DF16_EviT5_lT_lS2_lS3_liPT6_PT4_ ; -- Begin function _ZL18rocblas_dot_kernelIiLb0ELi512ELi8ELb0EDF16_PKDF16_DF16_EviT5_lT_lS2_lS3_liPT6_PT4_
	.p2align	8
	.type	_ZL18rocblas_dot_kernelIiLb0ELi512ELi8ELb0EDF16_PKDF16_DF16_EviT5_lT_lS2_lS3_liPT6_PT4_,@function
_ZL18rocblas_dot_kernelIiLb0ELi512ELi8ELb0EDF16_PKDF16_DF16_EviT5_lT_lS2_lS3_liPT6_PT4_: ; @_ZL18rocblas_dot_kernelIiLb0ELi512ELi8ELb0EDF16_PKDF16_DF16_EviT5_lT_lS2_lS3_liPT6_PT4_
; %bb.0:
	s_mov_b32 s12, s7
	s_load_dword s18, s[4:5], 0x60
	s_load_dword s7, s[4:5], 0x0
	s_load_dwordx4 s[8:11], s[4:5], 0x50
	v_lshl_or_b32 v4, s6, 9, v0
	s_mov_b32 s13, 0
	v_mov_b32_e32 v6, 0
	s_waitcnt lgkmcnt(0)
	v_cmp_gt_i32_e32 vcc, s7, v4
	s_and_saveexec_b64 s[14:15], vcc
	s_cbranch_execz .LBB8_4
; %bb.1:
	s_load_dwordx4 s[20:23], s[4:5], 0x8
	s_load_dword s26, s[4:5], 0x18
	s_load_dwordx4 s[0:3], s[4:5], 0x20
	s_load_dwordx2 s[16:17], s[4:5], 0x30
	s_load_dword s27, s[4:5], 0x38
	s_load_dwordx2 s[24:25], s[4:5], 0x40
	s_waitcnt lgkmcnt(0)
	v_mad_i64_i32 v[2:3], s[4:5], s26, v4, 0
	s_mul_i32 s1, s1, s12
	s_mul_hi_u32 s4, s0, s12
	s_add_i32 s1, s4, s1
	s_mul_i32 s0, s0, s12
	s_lshl_b32 s19, s18, 9
	s_lshl_b64 s[0:1], s[0:1], 1
	s_lshl_b64 s[4:5], s[22:23], 1
	s_add_u32 s4, s20, s4
	s_addc_u32 s5, s21, s5
	s_add_u32 s0, s4, s0
	v_lshlrev_b64 v[2:3], 1, v[2:3]
	s_addc_u32 s1, s5, s1
	v_mov_b32_e32 v5, s1
	v_add_co_u32_e32 v2, vcc, s0, v2
	s_mul_hi_i32 s1, s26, s19
	s_mul_i32 s0, s26, s19
	v_add_u32_e32 v1, s19, v4
	v_addc_co_u32_e32 v3, vcc, v5, v3, vcc
	s_lshl_b64 s[4:5], s[0:1], 1
	v_mad_i64_i32 v[4:5], s[0:1], s27, v4, 0
	s_mul_i32 s0, s25, s12
	s_mul_hi_u32 s1, s24, s12
	s_add_i32 s1, s1, s0
	s_mul_i32 s0, s24, s12
	s_lshl_b64 s[0:1], s[0:1], 1
	s_lshl_b64 s[16:17], s[16:17], 1
	s_add_u32 s2, s2, s16
	s_addc_u32 s3, s3, s17
	s_add_u32 s0, s2, s0
	v_lshlrev_b64 v[4:5], 1, v[4:5]
	s_addc_u32 s1, s3, s1
	v_mov_b32_e32 v6, s1
	v_add_co_u32_e32 v4, vcc, s0, v4
	s_mul_hi_i32 s1, s27, s19
	s_mul_i32 s0, s27, s19
	s_lshl_b64 s[16:17], s[0:1], 1
	v_addc_co_u32_e32 v5, vcc, v6, v5, vcc
	s_mov_b64 s[2:3], 0
	v_mov_b32_e32 v6, 0
	v_mov_b32_e32 v7, s5
	;; [unrolled: 1-line block ×3, first 2 shown]
	s_mov_b32 s5, s13
.LBB8_2:                                ; =>This Inner Loop Header: Depth=1
	global_load_ushort v9, v[4:5], off
	global_load_ushort v10, v[2:3], off
	v_add_co_u32_e64 v2, s[0:1], s4, v2
	v_addc_co_u32_e64 v3, s[0:1], v3, v7, s[0:1]
	s_add_i32 s17, s5, 1
	v_add_co_u32_e64 v4, s[0:1], s16, v4
	v_addc_co_u32_e64 v5, s[0:1], v5, v8, s[0:1]
	s_cmp_gt_u32 s5, 6
	v_cmp_le_i32_e32 vcc, s7, v1
	s_cselect_b64 s[0:1], -1, 0
	s_or_b64 s[0:1], s[0:1], vcc
	s_and_b64 s[0:1], exec, s[0:1]
	v_add_u32_e32 v1, s19, v1
	s_mov_b32 s5, s17
	s_or_b64 s[2:3], s[0:1], s[2:3]
	s_waitcnt vmcnt(0)
	v_fma_f16 v6, v9, v10, v6
	s_andn2_b64 exec, exec, s[2:3]
	s_cbranch_execnz .LBB8_2
; %bb.3:
	s_or_b64 exec, exec, s[2:3]
.LBB8_4:
	s_or_b64 exec, exec, s[14:15]
	v_and_b32_e32 v2, 63, v0
	v_cmp_gt_u32_e32 vcc, 64, v0
	v_lshlrev_b32_e32 v1, 1, v2
	s_and_saveexec_b64 s[0:1], vcc
	s_cbranch_execz .LBB8_6
; %bb.5:
	v_mov_b32_e32 v3, 0
	ds_write_b16 v1, v3
.LBB8_6:
	s_or_b64 exec, exec, s[0:1]
	v_mbcnt_lo_u32_b32 v3, -1, 0
	v_mbcnt_hi_u32_b32 v5, -1, v3
	v_and_b32_e32 v7, 63, v5
	v_cmp_gt_u32_e64 s[0:1], 32, v7
	v_cndmask_b32_e64 v4, 0, 1, s[0:1]
	v_lshlrev_b32_e32 v4, 5, v4
	v_and_b32_e32 v3, 0xffff, v6
	v_add_lshl_u32 v4, v4, v5, 2
	ds_bpermute_b32 v3, v4, v3
	v_cmp_gt_u32_e64 s[0:1], 48, v7
	s_mov_b32 s2, 0xffff0000
	s_waitcnt lgkmcnt(0)
	s_barrier
	v_add_f16_e32 v4, v6, v3
	v_cndmask_b32_e64 v6, 0, 1, s[0:1]
	v_lshlrev_b32_e32 v6, 4, v6
	v_and_or_b32 v3, v3, s2, v4
	v_add_lshl_u32 v6, v6, v5, 2
	ds_bpermute_b32 v3, v6, v3
	v_cmp_gt_u32_e64 s[0:1], 56, v7
	v_cndmask_b32_e64 v6, 0, 1, s[0:1]
	v_lshlrev_b32_e32 v6, 3, v6
	v_add_lshl_u32 v6, v6, v5, 2
	s_waitcnt lgkmcnt(0)
	v_add_f16_e32 v4, v4, v3
	v_and_or_b32 v3, v3, s2, v4
	ds_bpermute_b32 v3, v6, v3
	v_cmp_gt_u32_e64 s[0:1], 60, v7
	s_waitcnt lgkmcnt(0)
	v_add_f16_e32 v4, v4, v3
	v_and_or_b32 v6, v3, s2, v4
	v_cndmask_b32_e64 v3, 0, 1, s[0:1]
	v_lshlrev_b32_e32 v3, 2, v3
	v_add_lshl_u32 v3, v3, v5, 2
	ds_bpermute_b32 v6, v3, v6
	v_cmp_gt_u32_e64 s[0:1], 62, v7
	s_waitcnt lgkmcnt(0)
	v_add_f16_e32 v8, v4, v6
	v_cndmask_b32_e64 v4, 0, 1, s[0:1]
	v_lshlrev_b32_e32 v4, 1, v4
	v_and_or_b32 v6, v6, s2, v8
	v_add_lshl_u32 v4, v4, v5, 2
	ds_bpermute_b32 v9, v4, v6
	v_cmp_ne_u32_e64 s[0:1], 63, v7
	v_addc_co_u32_e64 v5, s[0:1], 0, v5, s[0:1]
	v_lshlrev_b32_e32 v5, 2, v5
	s_waitcnt lgkmcnt(0)
	v_add_f16_e32 v6, v8, v9
	v_and_or_b32 v8, v9, s2, v6
	ds_bpermute_b32 v7, v5, v8
	v_cmp_eq_u32_e64 s[0:1], 0, v2
	s_and_saveexec_b64 s[2:3], s[0:1]
	s_cbranch_execz .LBB8_8
; %bb.7:
	s_waitcnt lgkmcnt(0)
	v_add_f16_e32 v2, v6, v7
	v_lshrrev_b32_e32 v6, 5, v0
	v_and_b32_e32 v6, 14, v6
	ds_write_b16 v6, v2
.LBB8_8:
	s_or_b64 exec, exec, s[2:3]
	v_cmp_gt_u32_e64 s[0:1], 8, v0
	v_mov_b32_e32 v2, 0
	s_waitcnt lgkmcnt(0)
	s_barrier
	s_and_saveexec_b64 s[2:3], s[0:1]
	s_cbranch_execnz .LBB8_12
; %bb.9:
	s_or_b64 exec, exec, s[2:3]
	s_and_saveexec_b64 s[0:1], vcc
	s_cbranch_execnz .LBB8_13
.LBB8_10:
	s_or_b64 exec, exec, s[0:1]
	v_cmp_eq_u32_e32 vcc, 0, v0
	s_and_saveexec_b64 s[0:1], vcc
	s_cbranch_execnz .LBB8_14
.LBB8_11:
	s_endpgm
.LBB8_12:
	ds_read_u16 v2, v1
	s_or_b64 exec, exec, s[2:3]
	s_and_saveexec_b64 s[0:1], vcc
	s_cbranch_execz .LBB8_10
.LBB8_13:
	s_waitcnt lgkmcnt(0)
	v_and_b32_e32 v1, 0xffff, v2
	ds_bpermute_b32 v1, v3, v1
	s_mov_b32 s2, 0xffff0000
	s_waitcnt lgkmcnt(0)
	v_add_f16_e32 v2, v2, v1
	v_and_or_b32 v1, v1, s2, v2
	ds_bpermute_b32 v1, v4, v1
	s_waitcnt lgkmcnt(0)
	v_add_f16_e32 v2, v2, v1
	v_and_or_b32 v1, v1, s2, v2
	ds_bpermute_b32 v1, v5, v1
	s_waitcnt lgkmcnt(0)
	v_add_f16_e32 v2, v2, v1
	s_or_b64 exec, exec, s[0:1]
	v_cmp_eq_u32_e32 vcc, 0, v0
	s_and_saveexec_b64 s[0:1], vcc
	s_cbranch_execz .LBB8_11
.LBB8_14:
	s_cmp_lg_u32 s18, 1
	s_cbranch_scc0 .LBB8_16
; %bb.15:
	s_mul_hi_u32 s1, s18, s12
	s_mul_i32 s0, s18, s12
	s_lshl_b64 s[0:1], s[0:1], 1
	s_mov_b32 s7, 0
	s_add_u32 s2, s8, s0
	s_addc_u32 s3, s9, s1
	s_lshl_b64 s[0:1], s[6:7], 1
	s_add_u32 s0, s2, s0
	s_addc_u32 s1, s3, s1
	s_cbranch_execz .LBB8_17
	s_branch .LBB8_18
.LBB8_16:
                                        ; implicit-def: $sgpr0_sgpr1
.LBB8_17:
	s_lshl_b64 s[0:1], s[12:13], 1
	s_add_u32 s0, s10, s0
	s_addc_u32 s1, s11, s1
.LBB8_18:
	v_mov_b32_e32 v0, 0
	s_waitcnt lgkmcnt(0)
	global_store_short v0, v2, s[0:1]
	s_endpgm
	.section	.rodata,"a",@progbits
	.p2align	6, 0x0
	.amdhsa_kernel _ZL18rocblas_dot_kernelIiLb0ELi512ELi8ELb0EDF16_PKDF16_DF16_EviT5_lT_lS2_lS3_liPT6_PT4_
		.amdhsa_group_segment_fixed_size 128
		.amdhsa_private_segment_fixed_size 0
		.amdhsa_kernarg_size 352
		.amdhsa_user_sgpr_count 6
		.amdhsa_user_sgpr_private_segment_buffer 1
		.amdhsa_user_sgpr_dispatch_ptr 0
		.amdhsa_user_sgpr_queue_ptr 0
		.amdhsa_user_sgpr_kernarg_segment_ptr 1
		.amdhsa_user_sgpr_dispatch_id 0
		.amdhsa_user_sgpr_flat_scratch_init 0
		.amdhsa_user_sgpr_kernarg_preload_length 0
		.amdhsa_user_sgpr_kernarg_preload_offset 0
		.amdhsa_user_sgpr_private_segment_size 0
		.amdhsa_uses_dynamic_stack 0
		.amdhsa_system_sgpr_private_segment_wavefront_offset 0
		.amdhsa_system_sgpr_workgroup_id_x 1
		.amdhsa_system_sgpr_workgroup_id_y 0
		.amdhsa_system_sgpr_workgroup_id_z 1
		.amdhsa_system_sgpr_workgroup_info 0
		.amdhsa_system_vgpr_workitem_id 0
		.amdhsa_next_free_vgpr 11
		.amdhsa_next_free_sgpr 28
		.amdhsa_accum_offset 12
		.amdhsa_reserve_vcc 1
		.amdhsa_reserve_flat_scratch 0
		.amdhsa_float_round_mode_32 0
		.amdhsa_float_round_mode_16_64 0
		.amdhsa_float_denorm_mode_32 3
		.amdhsa_float_denorm_mode_16_64 3
		.amdhsa_dx10_clamp 1
		.amdhsa_ieee_mode 1
		.amdhsa_fp16_overflow 0
		.amdhsa_tg_split 0
		.amdhsa_exception_fp_ieee_invalid_op 0
		.amdhsa_exception_fp_denorm_src 0
		.amdhsa_exception_fp_ieee_div_zero 0
		.amdhsa_exception_fp_ieee_overflow 0
		.amdhsa_exception_fp_ieee_underflow 0
		.amdhsa_exception_fp_ieee_inexact 0
		.amdhsa_exception_int_div_zero 0
	.end_amdhsa_kernel
	.section	.text._ZL18rocblas_dot_kernelIiLb0ELi512ELi8ELb0EDF16_PKDF16_DF16_EviT5_lT_lS2_lS3_liPT6_PT4_,"axG",@progbits,_ZL18rocblas_dot_kernelIiLb0ELi512ELi8ELb0EDF16_PKDF16_DF16_EviT5_lT_lS2_lS3_liPT6_PT4_,comdat
.Lfunc_end8:
	.size	_ZL18rocblas_dot_kernelIiLb0ELi512ELi8ELb0EDF16_PKDF16_DF16_EviT5_lT_lS2_lS3_liPT6_PT4_, .Lfunc_end8-_ZL18rocblas_dot_kernelIiLb0ELi512ELi8ELb0EDF16_PKDF16_DF16_EviT5_lT_lS2_lS3_liPT6_PT4_
                                        ; -- End function
	.section	.AMDGPU.csdata,"",@progbits
; Kernel info:
; codeLenInByte = 1084
; NumSgprs: 32
; NumVgprs: 11
; NumAgprs: 0
; TotalNumVgprs: 11
; ScratchSize: 0
; MemoryBound: 0
; FloatMode: 240
; IeeeMode: 1
; LDSByteSize: 128 bytes/workgroup (compile time only)
; SGPRBlocks: 3
; VGPRBlocks: 1
; NumSGPRsForWavesPerEU: 32
; NumVGPRsForWavesPerEU: 11
; AccumOffset: 12
; Occupancy: 8
; WaveLimiterHint : 0
; COMPUTE_PGM_RSRC2:SCRATCH_EN: 0
; COMPUTE_PGM_RSRC2:USER_SGPR: 6
; COMPUTE_PGM_RSRC2:TRAP_HANDLER: 0
; COMPUTE_PGM_RSRC2:TGID_X_EN: 1
; COMPUTE_PGM_RSRC2:TGID_Y_EN: 0
; COMPUTE_PGM_RSRC2:TGID_Z_EN: 1
; COMPUTE_PGM_RSRC2:TIDIG_COMP_CNT: 0
; COMPUTE_PGM_RSRC3_GFX90A:ACCUM_OFFSET: 2
; COMPUTE_PGM_RSRC3_GFX90A:TG_SPLIT: 0
	.section	.text._ZL24rocblas_dot_kernel_magsqIiLb0ELi512ELi8ELb0EDF16_PKDF16_DF16_EviT5_lT_liPT6_PT4_,"axG",@progbits,_ZL24rocblas_dot_kernel_magsqIiLb0ELi512ELi8ELb0EDF16_PKDF16_DF16_EviT5_lT_liPT6_PT4_,comdat
	.globl	_ZL24rocblas_dot_kernel_magsqIiLb0ELi512ELi8ELb0EDF16_PKDF16_DF16_EviT5_lT_liPT6_PT4_ ; -- Begin function _ZL24rocblas_dot_kernel_magsqIiLb0ELi512ELi8ELb0EDF16_PKDF16_DF16_EviT5_lT_liPT6_PT4_
	.p2align	8
	.type	_ZL24rocblas_dot_kernel_magsqIiLb0ELi512ELi8ELb0EDF16_PKDF16_DF16_EviT5_lT_liPT6_PT4_,@function
_ZL24rocblas_dot_kernel_magsqIiLb0ELi512ELi8ELb0EDF16_PKDF16_DF16_EviT5_lT_liPT6_PT4_: ; @_ZL24rocblas_dot_kernel_magsqIiLb0ELi512ELi8ELb0EDF16_PKDF16_DF16_EviT5_lT_liPT6_PT4_
; %bb.0:
	s_mov_b32 s2, s7
	s_load_dword s7, s[4:5], 0x0
	s_load_dwordx4 s[8:11], s[4:5], 0x30
	s_load_dword s16, s[4:5], 0x40
	v_lshl_or_b32 v2, s6, 9, v0
	s_mov_b32 s3, 0
	s_waitcnt lgkmcnt(0)
	v_cmp_gt_i32_e32 vcc, s7, v2
	v_mov_b32_e32 v4, 0
	s_and_saveexec_b64 s[12:13], vcc
	s_cbranch_execz .LBB9_4
; %bb.1:
	s_load_dwordx4 s[20:23], s[4:5], 0x8
	s_load_dword s14, s[4:5], 0x18
	s_load_dwordx2 s[0:1], s[4:5], 0x20
	s_lshl_b32 s17, s16, 9
	v_add_u32_e32 v1, s17, v2
	s_waitcnt lgkmcnt(0)
	v_mad_i64_i32 v[2:3], s[4:5], s14, v2, 0
	s_mul_i32 s1, s1, s2
	s_mul_hi_u32 s4, s0, s2
	s_add_i32 s1, s4, s1
	s_mul_i32 s0, s0, s2
	s_lshl_b64 s[0:1], s[0:1], 1
	s_lshl_b64 s[4:5], s[22:23], 1
	s_add_u32 s4, s20, s4
	s_addc_u32 s5, s21, s5
	s_add_u32 s0, s4, s0
	v_lshlrev_b64 v[2:3], 1, v[2:3]
	s_addc_u32 s1, s5, s1
	v_mov_b32_e32 v4, s1
	v_add_co_u32_e32 v2, vcc, s0, v2
	s_mul_hi_i32 s1, s14, s17
	s_mul_i32 s0, s14, s17
	s_lshl_b64 s[14:15], s[0:1], 1
	v_addc_co_u32_e32 v3, vcc, v4, v3, vcc
	s_mov_b64 s[4:5], 0
	v_mov_b32_e32 v4, 0
	v_mov_b32_e32 v5, s15
	s_mov_b32 s15, s3
.LBB9_2:                                ; =>This Inner Loop Header: Depth=1
	global_load_ushort v6, v[2:3], off
	s_add_i32 s18, s15, 1
	v_add_co_u32_e64 v2, s[0:1], s14, v2
	v_addc_co_u32_e64 v3, s[0:1], v3, v5, s[0:1]
	s_cmp_gt_u32 s15, 6
	v_cmp_le_i32_e32 vcc, s7, v1
	s_cselect_b64 s[0:1], -1, 0
	s_or_b64 s[0:1], s[0:1], vcc
	s_and_b64 s[0:1], exec, s[0:1]
	v_add_u32_e32 v1, s17, v1
	s_mov_b32 s15, s18
	s_or_b64 s[4:5], s[0:1], s[4:5]
	s_waitcnt vmcnt(0)
	v_fma_f16 v4, v6, v6, v4
	s_andn2_b64 exec, exec, s[4:5]
	s_cbranch_execnz .LBB9_2
; %bb.3:
	s_or_b64 exec, exec, s[4:5]
.LBB9_4:
	s_or_b64 exec, exec, s[12:13]
	v_and_b32_e32 v2, 63, v0
	v_cmp_gt_u32_e32 vcc, 64, v0
	v_lshlrev_b32_e32 v1, 1, v2
	s_and_saveexec_b64 s[0:1], vcc
	s_cbranch_execz .LBB9_6
; %bb.5:
	v_mov_b32_e32 v3, 0
	ds_write_b16 v1, v3
.LBB9_6:
	s_or_b64 exec, exec, s[0:1]
	v_mbcnt_lo_u32_b32 v3, -1, 0
	v_mbcnt_hi_u32_b32 v5, -1, v3
	v_and_b32_e32 v7, 63, v5
	v_cmp_gt_u32_e64 s[0:1], 32, v7
	v_cndmask_b32_e64 v6, 0, 1, s[0:1]
	v_lshlrev_b32_e32 v6, 5, v6
	v_and_b32_e32 v3, 0xffff, v4
	v_add_lshl_u32 v6, v6, v5, 2
	ds_bpermute_b32 v3, v6, v3
	v_cmp_gt_u32_e64 s[0:1], 48, v7
	v_cndmask_b32_e64 v6, 0, 1, s[0:1]
	s_mov_b32 s4, 0xffff0000
	v_lshlrev_b32_e32 v6, 4, v6
	s_waitcnt lgkmcnt(0)
	v_add_f16_e32 v4, v4, v3
	v_and_or_b32 v3, v3, s4, v4
	v_add_lshl_u32 v6, v6, v5, 2
	ds_bpermute_b32 v3, v6, v3
	v_cmp_gt_u32_e64 s[0:1], 56, v7
	v_cndmask_b32_e64 v6, 0, 1, s[0:1]
	v_lshlrev_b32_e32 v6, 3, v6
	v_add_lshl_u32 v6, v6, v5, 2
	s_waitcnt lgkmcnt(0)
	v_add_f16_e32 v4, v4, v3
	v_and_or_b32 v3, v3, s4, v4
	ds_bpermute_b32 v3, v6, v3
	v_cmp_gt_u32_e64 s[0:1], 60, v7
	s_waitcnt lgkmcnt(0)
	s_barrier
	v_add_f16_e32 v4, v4, v3
	v_and_or_b32 v6, v3, s4, v4
	v_cndmask_b32_e64 v3, 0, 1, s[0:1]
	v_lshlrev_b32_e32 v3, 2, v3
	v_add_lshl_u32 v3, v3, v5, 2
	ds_bpermute_b32 v6, v3, v6
	v_cmp_gt_u32_e64 s[0:1], 62, v7
	s_waitcnt lgkmcnt(0)
	v_add_f16_e32 v8, v4, v6
	v_cndmask_b32_e64 v4, 0, 1, s[0:1]
	v_lshlrev_b32_e32 v4, 1, v4
	v_and_or_b32 v6, v6, s4, v8
	v_add_lshl_u32 v4, v4, v5, 2
	ds_bpermute_b32 v9, v4, v6
	v_cmp_ne_u32_e64 s[0:1], 63, v7
	v_addc_co_u32_e64 v5, s[0:1], 0, v5, s[0:1]
	v_lshlrev_b32_e32 v5, 2, v5
	s_waitcnt lgkmcnt(0)
	v_add_f16_e32 v6, v8, v9
	v_and_or_b32 v8, v9, s4, v6
	ds_bpermute_b32 v7, v5, v8
	v_cmp_eq_u32_e64 s[0:1], 0, v2
	s_and_saveexec_b64 s[4:5], s[0:1]
	s_cbranch_execz .LBB9_8
; %bb.7:
	s_waitcnt lgkmcnt(0)
	v_add_f16_e32 v2, v6, v7
	v_lshrrev_b32_e32 v6, 5, v0
	v_and_b32_e32 v6, 14, v6
	ds_write_b16 v6, v2
.LBB9_8:
	s_or_b64 exec, exec, s[4:5]
	v_cmp_gt_u32_e64 s[0:1], 8, v0
	v_mov_b32_e32 v2, 0
	s_waitcnt lgkmcnt(0)
	s_barrier
	s_and_saveexec_b64 s[4:5], s[0:1]
	s_cbranch_execnz .LBB9_12
; %bb.9:
	s_or_b64 exec, exec, s[4:5]
	s_and_saveexec_b64 s[0:1], vcc
	s_cbranch_execnz .LBB9_13
.LBB9_10:
	s_or_b64 exec, exec, s[0:1]
	v_cmp_eq_u32_e32 vcc, 0, v0
	s_and_saveexec_b64 s[0:1], vcc
	s_cbranch_execnz .LBB9_14
.LBB9_11:
	s_endpgm
.LBB9_12:
	ds_read_u16 v2, v1
	s_or_b64 exec, exec, s[4:5]
	s_and_saveexec_b64 s[0:1], vcc
	s_cbranch_execz .LBB9_10
.LBB9_13:
	s_waitcnt lgkmcnt(0)
	v_and_b32_e32 v1, 0xffff, v2
	ds_bpermute_b32 v1, v3, v1
	s_mov_b32 s4, 0xffff0000
	s_waitcnt lgkmcnt(0)
	v_add_f16_e32 v2, v2, v1
	v_and_or_b32 v1, v1, s4, v2
	ds_bpermute_b32 v1, v4, v1
	s_waitcnt lgkmcnt(0)
	v_add_f16_e32 v2, v2, v1
	v_and_or_b32 v1, v1, s4, v2
	ds_bpermute_b32 v1, v5, v1
	s_waitcnt lgkmcnt(0)
	v_add_f16_e32 v2, v2, v1
	s_or_b64 exec, exec, s[0:1]
	v_cmp_eq_u32_e32 vcc, 0, v0
	s_and_saveexec_b64 s[0:1], vcc
	s_cbranch_execz .LBB9_11
.LBB9_14:
	s_cmp_lg_u32 s16, 1
	s_cbranch_scc0 .LBB9_16
; %bb.15:
	s_mul_hi_u32 s1, s16, s2
	s_mul_i32 s0, s16, s2
	s_lshl_b64 s[0:1], s[0:1], 1
	s_mov_b32 s7, 0
	s_add_u32 s4, s8, s0
	s_addc_u32 s5, s9, s1
	s_lshl_b64 s[0:1], s[6:7], 1
	s_add_u32 s0, s4, s0
	s_addc_u32 s1, s5, s1
	s_cbranch_execz .LBB9_17
	s_branch .LBB9_18
.LBB9_16:
                                        ; implicit-def: $sgpr0_sgpr1
.LBB9_17:
	s_lshl_b64 s[0:1], s[2:3], 1
	s_add_u32 s0, s10, s0
	s_addc_u32 s1, s11, s1
.LBB9_18:
	v_mov_b32_e32 v0, 0
	s_waitcnt lgkmcnt(0)
	global_store_short v0, v2, s[0:1]
	s_endpgm
	.section	.rodata,"a",@progbits
	.p2align	6, 0x0
	.amdhsa_kernel _ZL24rocblas_dot_kernel_magsqIiLb0ELi512ELi8ELb0EDF16_PKDF16_DF16_EviT5_lT_liPT6_PT4_
		.amdhsa_group_segment_fixed_size 128
		.amdhsa_private_segment_fixed_size 0
		.amdhsa_kernarg_size 320
		.amdhsa_user_sgpr_count 6
		.amdhsa_user_sgpr_private_segment_buffer 1
		.amdhsa_user_sgpr_dispatch_ptr 0
		.amdhsa_user_sgpr_queue_ptr 0
		.amdhsa_user_sgpr_kernarg_segment_ptr 1
		.amdhsa_user_sgpr_dispatch_id 0
		.amdhsa_user_sgpr_flat_scratch_init 0
		.amdhsa_user_sgpr_kernarg_preload_length 0
		.amdhsa_user_sgpr_kernarg_preload_offset 0
		.amdhsa_user_sgpr_private_segment_size 0
		.amdhsa_uses_dynamic_stack 0
		.amdhsa_system_sgpr_private_segment_wavefront_offset 0
		.amdhsa_system_sgpr_workgroup_id_x 1
		.amdhsa_system_sgpr_workgroup_id_y 0
		.amdhsa_system_sgpr_workgroup_id_z 1
		.amdhsa_system_sgpr_workgroup_info 0
		.amdhsa_system_vgpr_workitem_id 0
		.amdhsa_next_free_vgpr 10
		.amdhsa_next_free_sgpr 24
		.amdhsa_accum_offset 12
		.amdhsa_reserve_vcc 1
		.amdhsa_reserve_flat_scratch 0
		.amdhsa_float_round_mode_32 0
		.amdhsa_float_round_mode_16_64 0
		.amdhsa_float_denorm_mode_32 3
		.amdhsa_float_denorm_mode_16_64 3
		.amdhsa_dx10_clamp 1
		.amdhsa_ieee_mode 1
		.amdhsa_fp16_overflow 0
		.amdhsa_tg_split 0
		.amdhsa_exception_fp_ieee_invalid_op 0
		.amdhsa_exception_fp_denorm_src 0
		.amdhsa_exception_fp_ieee_div_zero 0
		.amdhsa_exception_fp_ieee_overflow 0
		.amdhsa_exception_fp_ieee_underflow 0
		.amdhsa_exception_fp_ieee_inexact 0
		.amdhsa_exception_int_div_zero 0
	.end_amdhsa_kernel
	.section	.text._ZL24rocblas_dot_kernel_magsqIiLb0ELi512ELi8ELb0EDF16_PKDF16_DF16_EviT5_lT_liPT6_PT4_,"axG",@progbits,_ZL24rocblas_dot_kernel_magsqIiLb0ELi512ELi8ELb0EDF16_PKDF16_DF16_EviT5_lT_liPT6_PT4_,comdat
.Lfunc_end9:
	.size	_ZL24rocblas_dot_kernel_magsqIiLb0ELi512ELi8ELb0EDF16_PKDF16_DF16_EviT5_lT_liPT6_PT4_, .Lfunc_end9-_ZL24rocblas_dot_kernel_magsqIiLb0ELi512ELi8ELb0EDF16_PKDF16_DF16_EviT5_lT_liPT6_PT4_
                                        ; -- End function
	.section	.AMDGPU.csdata,"",@progbits
; Kernel info:
; codeLenInByte = 952
; NumSgprs: 28
; NumVgprs: 10
; NumAgprs: 0
; TotalNumVgprs: 10
; ScratchSize: 0
; MemoryBound: 0
; FloatMode: 240
; IeeeMode: 1
; LDSByteSize: 128 bytes/workgroup (compile time only)
; SGPRBlocks: 3
; VGPRBlocks: 1
; NumSGPRsForWavesPerEU: 28
; NumVGPRsForWavesPerEU: 10
; AccumOffset: 12
; Occupancy: 8
; WaveLimiterHint : 0
; COMPUTE_PGM_RSRC2:SCRATCH_EN: 0
; COMPUTE_PGM_RSRC2:USER_SGPR: 6
; COMPUTE_PGM_RSRC2:TRAP_HANDLER: 0
; COMPUTE_PGM_RSRC2:TGID_X_EN: 1
; COMPUTE_PGM_RSRC2:TGID_Y_EN: 0
; COMPUTE_PGM_RSRC2:TGID_Z_EN: 1
; COMPUTE_PGM_RSRC2:TIDIG_COMP_CNT: 0
; COMPUTE_PGM_RSRC3_GFX90A:ACCUM_OFFSET: 2
; COMPUTE_PGM_RSRC3_GFX90A:TG_SPLIT: 0
	.section	.text._ZL28rocblas_dot_batched_4_kernelIlLi32ELi4ELb0EDF16_DF16_PKDF16_EviT5_lT_lS2_lS3_liPT4_,"axG",@progbits,_ZL28rocblas_dot_batched_4_kernelIlLi32ELi4ELb0EDF16_DF16_PKDF16_EviT5_lT_lS2_lS3_liPT4_,comdat
	.globl	_ZL28rocblas_dot_batched_4_kernelIlLi32ELi4ELb0EDF16_DF16_PKDF16_EviT5_lT_lS2_lS3_liPT4_ ; -- Begin function _ZL28rocblas_dot_batched_4_kernelIlLi32ELi4ELb0EDF16_DF16_PKDF16_EviT5_lT_lS2_lS3_liPT4_
	.p2align	8
	.type	_ZL28rocblas_dot_batched_4_kernelIlLi32ELi4ELb0EDF16_DF16_PKDF16_EviT5_lT_lS2_lS3_liPT4_,@function
_ZL28rocblas_dot_batched_4_kernelIlLi32ELi4ELb0EDF16_DF16_PKDF16_EviT5_lT_lS2_lS3_liPT4_: ; @_ZL28rocblas_dot_batched_4_kernelIlLi32ELi4ELb0EDF16_DF16_PKDF16_EviT5_lT_lS2_lS3_liPT4_
; %bb.0:
	s_load_dword s0, s[4:5], 0x48
	v_bfe_u32 v1, v0, 10, 10
	v_lshl_add_u32 v2, s6, 2, v1
	s_waitcnt lgkmcnt(0)
	v_cmp_gt_u32_e32 vcc, s0, v2
	s_and_saveexec_b64 s[0:1], vcc
	s_cbranch_execz .LBB10_7
; %bb.1:
	s_load_dword s16, s[4:5], 0x0
	s_load_dwordx2 s[0:1], s[4:5], 0x50
	v_mov_b32_e32 v3, 0
	v_and_b32_e32 v6, 0x3ff, v0
	v_mov_b32_e32 v7, v3
	s_waitcnt lgkmcnt(0)
	v_cmp_gt_i32_e32 vcc, s16, v6
	s_and_saveexec_b64 s[2:3], vcc
	s_cbranch_execz .LBB10_5
; %bb.2:
	s_load_dwordx4 s[20:23], s[4:5], 0x10
	s_load_dwordx2 s[6:7], s[4:5], 0x8
	s_load_dwordx8 s[8:15], s[4:5], 0x20
	s_load_dwordx2 s[18:19], s[4:5], 0x40
	s_waitcnt lgkmcnt(0)
	v_mad_u64_u32 v[0:1], s[4:5], s22, v6, 0
	v_mov_b32_e32 v4, v1
	v_mad_u64_u32 v[4:5], s[4:5], s23, v6, v[4:5]
	v_mov_b32_e32 v1, v4
	;; [unrolled: 2-line block ×4, first 2 shown]
	v_lshlrev_b64 v[0:1], 1, v[0:1]
	v_lshlrev_b64 v[4:5], 1, v[4:5]
	s_lshl_b64 s[4:5], s[20:21], 1
	v_add_co_u32_e32 v0, vcc, v0, v4
	s_add_u32 s4, s6, s4
	v_addc_co_u32_e32 v1, vcc, v1, v5, vcc
	s_addc_u32 s5, s7, s5
	v_mov_b32_e32 v4, s5
	v_add_co_u32_e32 v0, vcc, s4, v0
	v_addc_co_u32_e32 v1, vcc, v4, v1, vcc
	v_mad_u64_u32 v[4:5], s[6:7], s14, v6, 0
	v_mov_b32_e32 v8, v5
	v_mad_u64_u32 v[8:9], s[6:7], s15, v6, v[8:9]
	v_mov_b32_e32 v5, v8
	;; [unrolled: 2-line block ×4, first 2 shown]
	s_lshl_b64 s[4:5], s[22:23], 6
	v_lshlrev_b64 v[4:5], 1, v[4:5]
	v_lshlrev_b64 v[8:9], 1, v[8:9]
	s_lshl_b64 s[6:7], s[12:13], 1
	v_add_co_u32_e32 v4, vcc, v4, v8
	s_add_u32 s6, s10, s6
	v_addc_co_u32_e32 v5, vcc, v5, v9, vcc
	s_addc_u32 s7, s11, s7
	v_mov_b32_e32 v7, s7
	v_add_co_u32_e32 v4, vcc, s6, v4
	s_lshl_b64 s[8:9], s[14:15], 6
	v_addc_co_u32_e32 v5, vcc, v7, v5, vcc
	s_mov_b64 s[6:7], 0
	v_mov_b32_e32 v7, 0
	v_mov_b32_e32 v8, s5
	;; [unrolled: 1-line block ×4, first 2 shown]
.LBB10_3:                               ; =>This Inner Loop Header: Depth=1
	global_load_ushort v11, v[0:1], off
	global_load_ushort v12, v[4:5], off
	v_add_co_u32_e32 v0, vcc, s4, v0
	v_addc_co_u32_e32 v1, vcc, v1, v8, vcc
	v_add_co_u32_e32 v4, vcc, s8, v4
	v_add_u32_e32 v10, 32, v10
	v_addc_co_u32_e32 v5, vcc, v5, v9, vcc
	v_cmp_le_i32_e32 vcc, s16, v10
	s_or_b64 s[6:7], vcc, s[6:7]
	s_waitcnt vmcnt(0)
	v_fma_f16 v7, v11, v12, v7
	s_andn2_b64 exec, exec, s[6:7]
	s_cbranch_execnz .LBB10_3
; %bb.4:
	s_or_b64 exec, exec, s[6:7]
.LBB10_5:
	s_or_b64 exec, exec, s[2:3]
	v_mbcnt_lo_u32_b32 v0, -1, 0
	v_mbcnt_hi_u32_b32 v1, -1, v0
	v_and_b32_e32 v4, 63, v1
	v_cmp_gt_u32_e32 vcc, 48, v4
	v_cndmask_b32_e64 v5, 0, 1, vcc
	v_lshlrev_b32_e32 v5, 4, v5
	v_and_b32_e32 v0, 0xffff, v7
	v_add_lshl_u32 v5, v5, v1, 2
	ds_bpermute_b32 v0, v5, v0
	v_cmp_gt_u32_e32 vcc, 56, v4
	s_mov_b32 s2, 0xffff0000
	s_waitcnt lgkmcnt(0)
	s_barrier
	v_add_f16_e32 v5, v7, v0
	v_cndmask_b32_e64 v7, 0, 1, vcc
	v_lshlrev_b32_e32 v7, 3, v7
	v_and_or_b32 v0, v0, s2, v5
	v_add_lshl_u32 v7, v7, v1, 2
	ds_bpermute_b32 v0, v7, v0
	v_cmp_gt_u32_e32 vcc, 60, v4
	v_cndmask_b32_e64 v7, 0, 1, vcc
	v_lshlrev_b32_e32 v7, 2, v7
	v_add_lshl_u32 v7, v7, v1, 2
	s_waitcnt lgkmcnt(0)
	v_add_f16_e32 v5, v5, v0
	v_and_or_b32 v0, v0, s2, v5
	ds_bpermute_b32 v0, v7, v0
	v_cmp_gt_u32_e32 vcc, 62, v4
	v_cndmask_b32_e64 v7, 0, 1, vcc
	v_lshlrev_b32_e32 v7, 1, v7
	v_add_lshl_u32 v7, v7, v1, 2
	s_waitcnt lgkmcnt(0)
	v_add_f16_e32 v5, v5, v0
	v_and_or_b32 v0, v0, s2, v5
	ds_bpermute_b32 v7, v7, v0
	v_cmp_ne_u32_e32 vcc, 63, v4
	v_addc_co_u32_e32 v1, vcc, 0, v1, vcc
	v_lshlrev_b32_e32 v1, 2, v1
	s_waitcnt lgkmcnt(0)
	v_add_f16_e32 v0, v5, v7
	v_and_or_b32 v5, v7, s2, v0
	ds_bpermute_b32 v1, v1, v5
	v_cmp_eq_u32_e32 vcc, 0, v6
	s_waitcnt lgkmcnt(0)
	s_and_b64 exec, exec, vcc
	s_cbranch_execz .LBB10_7
; %bb.6:
	v_lshlrev_b64 v[2:3], 1, v[2:3]
	v_mov_b32_e32 v4, s1
	v_add_co_u32_e32 v2, vcc, s0, v2
	v_addc_co_u32_e32 v3, vcc, v4, v3, vcc
	v_add_f16_e32 v0, v0, v1
	global_store_short v[2:3], v0, off
.LBB10_7:
	s_endpgm
	.section	.rodata,"a",@progbits
	.p2align	6, 0x0
	.amdhsa_kernel _ZL28rocblas_dot_batched_4_kernelIlLi32ELi4ELb0EDF16_DF16_PKDF16_EviT5_lT_lS2_lS3_liPT4_
		.amdhsa_group_segment_fixed_size 0
		.amdhsa_private_segment_fixed_size 0
		.amdhsa_kernarg_size 88
		.amdhsa_user_sgpr_count 6
		.amdhsa_user_sgpr_private_segment_buffer 1
		.amdhsa_user_sgpr_dispatch_ptr 0
		.amdhsa_user_sgpr_queue_ptr 0
		.amdhsa_user_sgpr_kernarg_segment_ptr 1
		.amdhsa_user_sgpr_dispatch_id 0
		.amdhsa_user_sgpr_flat_scratch_init 0
		.amdhsa_user_sgpr_kernarg_preload_length 0
		.amdhsa_user_sgpr_kernarg_preload_offset 0
		.amdhsa_user_sgpr_private_segment_size 0
		.amdhsa_uses_dynamic_stack 0
		.amdhsa_system_sgpr_private_segment_wavefront_offset 0
		.amdhsa_system_sgpr_workgroup_id_x 1
		.amdhsa_system_sgpr_workgroup_id_y 0
		.amdhsa_system_sgpr_workgroup_id_z 0
		.amdhsa_system_sgpr_workgroup_info 0
		.amdhsa_system_vgpr_workitem_id 1
		.amdhsa_next_free_vgpr 13
		.amdhsa_next_free_sgpr 24
		.amdhsa_accum_offset 16
		.amdhsa_reserve_vcc 1
		.amdhsa_reserve_flat_scratch 0
		.amdhsa_float_round_mode_32 0
		.amdhsa_float_round_mode_16_64 0
		.amdhsa_float_denorm_mode_32 3
		.amdhsa_float_denorm_mode_16_64 3
		.amdhsa_dx10_clamp 1
		.amdhsa_ieee_mode 1
		.amdhsa_fp16_overflow 0
		.amdhsa_tg_split 0
		.amdhsa_exception_fp_ieee_invalid_op 0
		.amdhsa_exception_fp_denorm_src 0
		.amdhsa_exception_fp_ieee_div_zero 0
		.amdhsa_exception_fp_ieee_overflow 0
		.amdhsa_exception_fp_ieee_underflow 0
		.amdhsa_exception_fp_ieee_inexact 0
		.amdhsa_exception_int_div_zero 0
	.end_amdhsa_kernel
	.section	.text._ZL28rocblas_dot_batched_4_kernelIlLi32ELi4ELb0EDF16_DF16_PKDF16_EviT5_lT_lS2_lS3_liPT4_,"axG",@progbits,_ZL28rocblas_dot_batched_4_kernelIlLi32ELi4ELb0EDF16_DF16_PKDF16_EviT5_lT_lS2_lS3_liPT4_,comdat
.Lfunc_end10:
	.size	_ZL28rocblas_dot_batched_4_kernelIlLi32ELi4ELb0EDF16_DF16_PKDF16_EviT5_lT_lS2_lS3_liPT4_, .Lfunc_end10-_ZL28rocblas_dot_batched_4_kernelIlLi32ELi4ELb0EDF16_DF16_PKDF16_EviT5_lT_lS2_lS3_liPT4_
                                        ; -- End function
	.section	.AMDGPU.csdata,"",@progbits
; Kernel info:
; codeLenInByte = 720
; NumSgprs: 28
; NumVgprs: 13
; NumAgprs: 0
; TotalNumVgprs: 13
; ScratchSize: 0
; MemoryBound: 0
; FloatMode: 240
; IeeeMode: 1
; LDSByteSize: 0 bytes/workgroup (compile time only)
; SGPRBlocks: 3
; VGPRBlocks: 1
; NumSGPRsForWavesPerEU: 28
; NumVGPRsForWavesPerEU: 13
; AccumOffset: 16
; Occupancy: 8
; WaveLimiterHint : 0
; COMPUTE_PGM_RSRC2:SCRATCH_EN: 0
; COMPUTE_PGM_RSRC2:USER_SGPR: 6
; COMPUTE_PGM_RSRC2:TRAP_HANDLER: 0
; COMPUTE_PGM_RSRC2:TGID_X_EN: 1
; COMPUTE_PGM_RSRC2:TGID_Y_EN: 0
; COMPUTE_PGM_RSRC2:TGID_Z_EN: 0
; COMPUTE_PGM_RSRC2:TIDIG_COMP_CNT: 1
; COMPUTE_PGM_RSRC3_GFX90A:ACCUM_OFFSET: 3
; COMPUTE_PGM_RSRC3_GFX90A:TG_SPLIT: 0
	.section	.text._ZL28rocblas_dot_batched_4_kernelIlLi64ELi4ELb0EDF16_DF16_PKDF16_EviT5_lT_lS2_lS3_liPT4_,"axG",@progbits,_ZL28rocblas_dot_batched_4_kernelIlLi64ELi4ELb0EDF16_DF16_PKDF16_EviT5_lT_lS2_lS3_liPT4_,comdat
	.globl	_ZL28rocblas_dot_batched_4_kernelIlLi64ELi4ELb0EDF16_DF16_PKDF16_EviT5_lT_lS2_lS3_liPT4_ ; -- Begin function _ZL28rocblas_dot_batched_4_kernelIlLi64ELi4ELb0EDF16_DF16_PKDF16_EviT5_lT_lS2_lS3_liPT4_
	.p2align	8
	.type	_ZL28rocblas_dot_batched_4_kernelIlLi64ELi4ELb0EDF16_DF16_PKDF16_EviT5_lT_lS2_lS3_liPT4_,@function
_ZL28rocblas_dot_batched_4_kernelIlLi64ELi4ELb0EDF16_DF16_PKDF16_EviT5_lT_lS2_lS3_liPT4_: ; @_ZL28rocblas_dot_batched_4_kernelIlLi64ELi4ELb0EDF16_DF16_PKDF16_EviT5_lT_lS2_lS3_liPT4_
; %bb.0:
	s_load_dword s0, s[4:5], 0x48
	v_bfe_u32 v1, v0, 10, 10
	v_lshl_add_u32 v2, s6, 2, v1
	s_waitcnt lgkmcnt(0)
	v_cmp_gt_u32_e32 vcc, s0, v2
	s_and_saveexec_b64 s[0:1], vcc
	s_cbranch_execz .LBB11_7
; %bb.1:
	s_load_dword s16, s[4:5], 0x0
	s_load_dwordx2 s[0:1], s[4:5], 0x50
	v_mov_b32_e32 v3, 0
	v_and_b32_e32 v6, 0x3ff, v0
	v_mov_b32_e32 v7, v3
	s_waitcnt lgkmcnt(0)
	v_cmp_gt_i32_e32 vcc, s16, v6
	s_and_saveexec_b64 s[2:3], vcc
	s_cbranch_execz .LBB11_5
; %bb.2:
	s_load_dwordx4 s[20:23], s[4:5], 0x10
	s_load_dwordx2 s[6:7], s[4:5], 0x8
	s_load_dwordx8 s[8:15], s[4:5], 0x20
	s_load_dwordx2 s[18:19], s[4:5], 0x40
	s_waitcnt lgkmcnt(0)
	v_mad_u64_u32 v[0:1], s[4:5], s22, v6, 0
	v_mov_b32_e32 v4, v1
	v_mad_u64_u32 v[4:5], s[4:5], s23, v6, v[4:5]
	v_mov_b32_e32 v1, v4
	;; [unrolled: 2-line block ×4, first 2 shown]
	v_lshlrev_b64 v[0:1], 1, v[0:1]
	v_lshlrev_b64 v[4:5], 1, v[4:5]
	s_lshl_b64 s[4:5], s[20:21], 1
	v_add_co_u32_e32 v0, vcc, v0, v4
	s_add_u32 s4, s6, s4
	v_addc_co_u32_e32 v1, vcc, v1, v5, vcc
	s_addc_u32 s5, s7, s5
	v_mov_b32_e32 v4, s5
	v_add_co_u32_e32 v0, vcc, s4, v0
	v_addc_co_u32_e32 v1, vcc, v4, v1, vcc
	v_mad_u64_u32 v[4:5], s[6:7], s14, v6, 0
	v_mov_b32_e32 v8, v5
	v_mad_u64_u32 v[8:9], s[6:7], s15, v6, v[8:9]
	v_mov_b32_e32 v5, v8
	;; [unrolled: 2-line block ×4, first 2 shown]
	s_lshl_b64 s[4:5], s[22:23], 7
	v_lshlrev_b64 v[4:5], 1, v[4:5]
	v_lshlrev_b64 v[8:9], 1, v[8:9]
	s_lshl_b64 s[6:7], s[12:13], 1
	v_add_co_u32_e32 v4, vcc, v4, v8
	s_add_u32 s6, s10, s6
	v_addc_co_u32_e32 v5, vcc, v5, v9, vcc
	s_addc_u32 s7, s11, s7
	v_mov_b32_e32 v7, s7
	v_add_co_u32_e32 v4, vcc, s6, v4
	s_lshl_b64 s[8:9], s[14:15], 7
	v_addc_co_u32_e32 v5, vcc, v7, v5, vcc
	s_mov_b64 s[6:7], 0
	v_mov_b32_e32 v7, 0
	v_mov_b32_e32 v8, s5
	;; [unrolled: 1-line block ×4, first 2 shown]
.LBB11_3:                               ; =>This Inner Loop Header: Depth=1
	global_load_ushort v11, v[0:1], off
	global_load_ushort v12, v[4:5], off
	v_add_co_u32_e32 v0, vcc, s4, v0
	v_addc_co_u32_e32 v1, vcc, v1, v8, vcc
	v_add_co_u32_e32 v4, vcc, s8, v4
	v_add_u32_e32 v10, 64, v10
	v_addc_co_u32_e32 v5, vcc, v5, v9, vcc
	v_cmp_le_i32_e32 vcc, s16, v10
	s_or_b64 s[6:7], vcc, s[6:7]
	s_waitcnt vmcnt(0)
	v_fma_f16 v7, v11, v12, v7
	s_andn2_b64 exec, exec, s[6:7]
	s_cbranch_execnz .LBB11_3
; %bb.4:
	s_or_b64 exec, exec, s[6:7]
.LBB11_5:
	s_or_b64 exec, exec, s[2:3]
	v_mbcnt_lo_u32_b32 v0, -1, 0
	v_mbcnt_hi_u32_b32 v1, -1, v0
	v_and_b32_e32 v4, 63, v1
	v_cmp_gt_u32_e32 vcc, 32, v4
	v_cndmask_b32_e64 v5, 0, 1, vcc
	v_lshlrev_b32_e32 v5, 5, v5
	v_and_b32_e32 v0, 0xffff, v7
	v_add_lshl_u32 v5, v5, v1, 2
	ds_bpermute_b32 v0, v5, v0
	v_cmp_gt_u32_e32 vcc, 48, v4
	s_mov_b32 s2, 0xffff0000
	s_waitcnt lgkmcnt(0)
	s_barrier
	v_add_f16_e32 v5, v7, v0
	v_cndmask_b32_e64 v7, 0, 1, vcc
	v_lshlrev_b32_e32 v7, 4, v7
	v_and_or_b32 v0, v0, s2, v5
	v_add_lshl_u32 v7, v7, v1, 2
	ds_bpermute_b32 v0, v7, v0
	v_cmp_gt_u32_e32 vcc, 56, v4
	v_cndmask_b32_e64 v7, 0, 1, vcc
	v_lshlrev_b32_e32 v7, 3, v7
	v_add_lshl_u32 v7, v7, v1, 2
	s_waitcnt lgkmcnt(0)
	v_add_f16_e32 v5, v5, v0
	v_and_or_b32 v0, v0, s2, v5
	ds_bpermute_b32 v0, v7, v0
	v_cmp_gt_u32_e32 vcc, 60, v4
	v_cndmask_b32_e64 v7, 0, 1, vcc
	v_lshlrev_b32_e32 v7, 2, v7
	v_add_lshl_u32 v7, v7, v1, 2
	s_waitcnt lgkmcnt(0)
	v_add_f16_e32 v5, v5, v0
	v_and_or_b32 v0, v0, s2, v5
	;; [unrolled: 8-line block ×3, first 2 shown]
	ds_bpermute_b32 v7, v7, v0
	v_cmp_ne_u32_e32 vcc, 63, v4
	v_addc_co_u32_e32 v1, vcc, 0, v1, vcc
	v_lshlrev_b32_e32 v1, 2, v1
	s_waitcnt lgkmcnt(0)
	v_add_f16_e32 v0, v5, v7
	v_and_or_b32 v5, v7, s2, v0
	ds_bpermute_b32 v1, v1, v5
	v_cmp_eq_u32_e32 vcc, 0, v6
	s_waitcnt lgkmcnt(0)
	s_and_b64 exec, exec, vcc
	s_cbranch_execz .LBB11_7
; %bb.6:
	v_lshlrev_b64 v[2:3], 1, v[2:3]
	v_mov_b32_e32 v4, s1
	v_add_co_u32_e32 v2, vcc, s0, v2
	v_addc_co_u32_e32 v3, vcc, v4, v3, vcc
	v_add_f16_e32 v0, v0, v1
	global_store_short v[2:3], v0, off
.LBB11_7:
	s_endpgm
	.section	.rodata,"a",@progbits
	.p2align	6, 0x0
	.amdhsa_kernel _ZL28rocblas_dot_batched_4_kernelIlLi64ELi4ELb0EDF16_DF16_PKDF16_EviT5_lT_lS2_lS3_liPT4_
		.amdhsa_group_segment_fixed_size 0
		.amdhsa_private_segment_fixed_size 0
		.amdhsa_kernarg_size 88
		.amdhsa_user_sgpr_count 6
		.amdhsa_user_sgpr_private_segment_buffer 1
		.amdhsa_user_sgpr_dispatch_ptr 0
		.amdhsa_user_sgpr_queue_ptr 0
		.amdhsa_user_sgpr_kernarg_segment_ptr 1
		.amdhsa_user_sgpr_dispatch_id 0
		.amdhsa_user_sgpr_flat_scratch_init 0
		.amdhsa_user_sgpr_kernarg_preload_length 0
		.amdhsa_user_sgpr_kernarg_preload_offset 0
		.amdhsa_user_sgpr_private_segment_size 0
		.amdhsa_uses_dynamic_stack 0
		.amdhsa_system_sgpr_private_segment_wavefront_offset 0
		.amdhsa_system_sgpr_workgroup_id_x 1
		.amdhsa_system_sgpr_workgroup_id_y 0
		.amdhsa_system_sgpr_workgroup_id_z 0
		.amdhsa_system_sgpr_workgroup_info 0
		.amdhsa_system_vgpr_workitem_id 1
		.amdhsa_next_free_vgpr 13
		.amdhsa_next_free_sgpr 24
		.amdhsa_accum_offset 16
		.amdhsa_reserve_vcc 1
		.amdhsa_reserve_flat_scratch 0
		.amdhsa_float_round_mode_32 0
		.amdhsa_float_round_mode_16_64 0
		.amdhsa_float_denorm_mode_32 3
		.amdhsa_float_denorm_mode_16_64 3
		.amdhsa_dx10_clamp 1
		.amdhsa_ieee_mode 1
		.amdhsa_fp16_overflow 0
		.amdhsa_tg_split 0
		.amdhsa_exception_fp_ieee_invalid_op 0
		.amdhsa_exception_fp_denorm_src 0
		.amdhsa_exception_fp_ieee_div_zero 0
		.amdhsa_exception_fp_ieee_overflow 0
		.amdhsa_exception_fp_ieee_underflow 0
		.amdhsa_exception_fp_ieee_inexact 0
		.amdhsa_exception_int_div_zero 0
	.end_amdhsa_kernel
	.section	.text._ZL28rocblas_dot_batched_4_kernelIlLi64ELi4ELb0EDF16_DF16_PKDF16_EviT5_lT_lS2_lS3_liPT4_,"axG",@progbits,_ZL28rocblas_dot_batched_4_kernelIlLi64ELi4ELb0EDF16_DF16_PKDF16_EviT5_lT_lS2_lS3_liPT4_,comdat
.Lfunc_end11:
	.size	_ZL28rocblas_dot_batched_4_kernelIlLi64ELi4ELb0EDF16_DF16_PKDF16_EviT5_lT_lS2_lS3_liPT4_, .Lfunc_end11-_ZL28rocblas_dot_batched_4_kernelIlLi64ELi4ELb0EDF16_DF16_PKDF16_EviT5_lT_lS2_lS3_liPT4_
                                        ; -- End function
	.section	.AMDGPU.csdata,"",@progbits
; Kernel info:
; codeLenInByte = 768
; NumSgprs: 28
; NumVgprs: 13
; NumAgprs: 0
; TotalNumVgprs: 13
; ScratchSize: 0
; MemoryBound: 0
; FloatMode: 240
; IeeeMode: 1
; LDSByteSize: 0 bytes/workgroup (compile time only)
; SGPRBlocks: 3
; VGPRBlocks: 1
; NumSGPRsForWavesPerEU: 28
; NumVGPRsForWavesPerEU: 13
; AccumOffset: 16
; Occupancy: 8
; WaveLimiterHint : 0
; COMPUTE_PGM_RSRC2:SCRATCH_EN: 0
; COMPUTE_PGM_RSRC2:USER_SGPR: 6
; COMPUTE_PGM_RSRC2:TRAP_HANDLER: 0
; COMPUTE_PGM_RSRC2:TGID_X_EN: 1
; COMPUTE_PGM_RSRC2:TGID_Y_EN: 0
; COMPUTE_PGM_RSRC2:TGID_Z_EN: 0
; COMPUTE_PGM_RSRC2:TIDIG_COMP_CNT: 1
; COMPUTE_PGM_RSRC3_GFX90A:ACCUM_OFFSET: 3
; COMPUTE_PGM_RSRC3_GFX90A:TG_SPLIT: 0
	.section	.text._ZL18rocblas_dot_kernelIlLb1ELi1024ELi32ELb0EDF16_PKDF16_DF16_EviT5_lT_lS2_lS3_liPT6_PT4_,"axG",@progbits,_ZL18rocblas_dot_kernelIlLb1ELi1024ELi32ELb0EDF16_PKDF16_DF16_EviT5_lT_lS2_lS3_liPT6_PT4_,comdat
	.globl	_ZL18rocblas_dot_kernelIlLb1ELi1024ELi32ELb0EDF16_PKDF16_DF16_EviT5_lT_lS2_lS3_liPT6_PT4_ ; -- Begin function _ZL18rocblas_dot_kernelIlLb1ELi1024ELi32ELb0EDF16_PKDF16_DF16_EviT5_lT_lS2_lS3_liPT6_PT4_
	.p2align	8
	.type	_ZL18rocblas_dot_kernelIlLb1ELi1024ELi32ELb0EDF16_PKDF16_DF16_EviT5_lT_lS2_lS3_liPT6_PT4_,@function
_ZL18rocblas_dot_kernelIlLb1ELi1024ELi32ELb0EDF16_PKDF16_DF16_EviT5_lT_lS2_lS3_liPT6_PT4_: ; @_ZL18rocblas_dot_kernelIlLb1ELi1024ELi32ELb0EDF16_PKDF16_DF16_EviT5_lT_lS2_lS3_liPT6_PT4_
; %bb.0:
	s_mov_b32 s2, s7
	s_load_dword s18, s[4:5], 0x0
	s_load_dwordx2 s[6:7], s[4:5], 0x58
	s_mov_b32 s3, 0
	v_mov_b32_e32 v6, 0
	s_waitcnt lgkmcnt(0)
	v_cmp_gt_i32_e32 vcc, s18, v0
	s_and_saveexec_b64 s[16:17], vcc
	s_cbranch_execz .LBB12_4
; %bb.1:
	s_load_dword s19, s[4:5], 0x60
	s_load_dwordx2 s[0:1], s[4:5], 0x40
	s_load_dwordx8 s[8:15], s[4:5], 0x20
	s_load_dwordx2 s[24:25], s[4:5], 0x8
	s_load_dwordx4 s[20:23], s[4:5], 0x10
	s_waitcnt lgkmcnt(0)
	s_lshl_b32 s19, s19, 10
	s_mul_i32 s1, s1, s2
	s_mul_i32 s4, s9, s2
	s_mul_hi_u32 s5, s8, s2
	s_add_i32 s5, s5, s4
	s_mul_i32 s4, s8, s2
	v_mad_u64_u32 v[2:3], s[8:9], s22, v0, 0
	v_mov_b32_e32 v4, v3
	v_mad_u64_u32 v[4:5], s[8:9], s23, v0, v[4:5]
	s_lshl_b64 s[4:5], s[4:5], 1
	s_lshl_b64 s[8:9], s[20:21], 1
	s_add_u32 s8, s24, s8
	s_addc_u32 s9, s25, s9
	v_mov_b32_e32 v3, v4
	s_add_u32 s4, s8, s4
	v_lshlrev_b64 v[2:3], 1, v[2:3]
	s_addc_u32 s5, s9, s5
	v_mov_b32_e32 v4, s5
	v_add_co_u32_e32 v2, vcc, s4, v2
	s_ashr_i32 s20, s19, 31
	s_mul_hi_u32 s8, s0, s2
	v_addc_co_u32_e32 v3, vcc, v4, v3, vcc
	s_mul_i32 s4, s22, s20
	s_mul_hi_u32 s5, s22, s19
	s_add_i32 s1, s8, s1
	v_mad_u64_u32 v[4:5], s[8:9], s14, v0, 0
	s_add_i32 s4, s5, s4
	s_mul_i32 s5, s23, s19
	v_mov_b32_e32 v6, v5
	s_add_i32 s5, s4, s5
	s_mul_i32 s4, s22, s19
	s_mul_i32 s0, s0, s2
	v_mad_u64_u32 v[6:7], s[8:9], s15, v0, v[6:7]
	s_lshl_b64 s[4:5], s[4:5], 1
	s_lshl_b64 s[0:1], s[0:1], 1
	;; [unrolled: 1-line block ×3, first 2 shown]
	s_add_u32 s8, s10, s8
	s_addc_u32 s9, s11, s9
	v_mov_b32_e32 v5, v6
	s_add_u32 s0, s8, s0
	v_lshlrev_b64 v[4:5], 1, v[4:5]
	s_addc_u32 s1, s9, s1
	v_mov_b32_e32 v6, s1
	v_add_co_u32_e32 v4, vcc, s0, v4
	s_mul_i32 s0, s14, s20
	s_mul_hi_u32 s1, s14, s19
	s_add_i32 s0, s1, s0
	s_mul_i32 s1, s15, s19
	s_add_i32 s1, s0, s1
	s_mul_i32 s0, s14, s19
	s_lshl_b64 s[10:11], s[0:1], 1
	v_or_b32_e32 v1, s19, v0
	v_addc_co_u32_e32 v5, vcc, v6, v5, vcc
	s_mov_b64 s[8:9], 0
	v_mov_b32_e32 v6, 0
	v_mov_b32_e32 v7, s5
	v_mov_b32_e32 v8, s11
	s_mov_b32 s5, s3
.LBB12_2:                               ; =>This Inner Loop Header: Depth=1
	global_load_ushort v9, v[4:5], off
	global_load_ushort v10, v[2:3], off
	v_add_co_u32_e64 v2, s[0:1], s4, v2
	v_addc_co_u32_e64 v3, s[0:1], v3, v7, s[0:1]
	s_add_i32 s11, s5, 1
	v_add_co_u32_e64 v4, s[0:1], s10, v4
	v_addc_co_u32_e64 v5, s[0:1], v5, v8, s[0:1]
	s_cmp_gt_u32 s5, 30
	v_cmp_le_i32_e32 vcc, s18, v1
	s_cselect_b64 s[0:1], -1, 0
	s_or_b64 s[0:1], s[0:1], vcc
	s_and_b64 s[0:1], exec, s[0:1]
	v_add_u32_e32 v1, s19, v1
	s_mov_b32 s5, s11
	s_or_b64 s[8:9], s[0:1], s[8:9]
	s_waitcnt vmcnt(0)
	v_fma_f16 v6, v9, v10, v6
	s_andn2_b64 exec, exec, s[8:9]
	s_cbranch_execnz .LBB12_2
; %bb.3:
	s_or_b64 exec, exec, s[8:9]
.LBB12_4:
	s_or_b64 exec, exec, s[16:17]
	v_and_b32_e32 v2, 63, v0
	v_cmp_gt_u32_e32 vcc, 64, v0
	v_lshlrev_b32_e32 v1, 1, v2
	s_and_saveexec_b64 s[0:1], vcc
	s_cbranch_execz .LBB12_6
; %bb.5:
	v_mov_b32_e32 v3, 0
	ds_write_b16 v1, v3
.LBB12_6:
	s_or_b64 exec, exec, s[0:1]
	v_mbcnt_lo_u32_b32 v3, -1, 0
	v_mbcnt_hi_u32_b32 v8, -1, v3
	v_and_b32_e32 v9, 63, v8
	v_cmp_gt_u32_e64 s[0:1], 32, v9
	v_cndmask_b32_e64 v4, 0, 1, s[0:1]
	v_lshlrev_b32_e32 v4, 5, v4
	v_and_b32_e32 v3, 0xffff, v6
	v_add_lshl_u32 v4, v4, v8, 2
	ds_bpermute_b32 v3, v4, v3
	v_cmp_gt_u32_e64 s[0:1], 48, v9
	v_cndmask_b32_e64 v5, 0, 1, s[0:1]
	s_mov_b32 s4, 0xffff0000
	v_lshlrev_b32_e32 v5, 4, v5
	s_waitcnt lgkmcnt(0)
	v_add_f16_e32 v4, v6, v3
	v_and_or_b32 v3, v3, s4, v4
	v_add_lshl_u32 v5, v5, v8, 2
	ds_bpermute_b32 v3, v5, v3
	v_cmp_gt_u32_e64 s[0:1], 56, v9
	s_waitcnt lgkmcnt(0)
	s_barrier
	v_add_f16_e32 v4, v4, v3
	v_and_or_b32 v5, v3, s4, v4
	v_cndmask_b32_e64 v3, 0, 1, s[0:1]
	v_lshlrev_b32_e32 v3, 3, v3
	v_add_lshl_u32 v3, v3, v8, 2
	ds_bpermute_b32 v5, v3, v5
	v_cmp_gt_u32_e64 s[0:1], 60, v9
	s_waitcnt lgkmcnt(0)
	v_add_f16_e32 v6, v4, v5
	v_cndmask_b32_e64 v4, 0, 1, s[0:1]
	v_lshlrev_b32_e32 v4, 2, v4
	v_and_or_b32 v5, v5, s4, v6
	v_add_lshl_u32 v4, v4, v8, 2
	ds_bpermute_b32 v5, v4, v5
	v_cmp_gt_u32_e64 s[0:1], 62, v9
	s_waitcnt lgkmcnt(0)
	v_add_f16_e32 v6, v6, v5
	v_and_or_b32 v7, v5, s4, v6
	v_cndmask_b32_e64 v5, 0, 1, s[0:1]
	v_lshlrev_b32_e32 v5, 1, v5
	v_add_lshl_u32 v5, v5, v8, 2
	ds_bpermute_b32 v10, v5, v7
	v_cmp_ne_u32_e64 s[0:1], 63, v9
	s_waitcnt lgkmcnt(0)
	v_add_f16_e32 v7, v6, v10
	v_addc_co_u32_e64 v6, s[0:1], 0, v8, s[0:1]
	v_and_or_b32 v10, v10, s4, v7
	v_lshlrev_b32_e32 v6, 2, v6
	ds_bpermute_b32 v8, v6, v10
	v_cmp_eq_u32_e64 s[0:1], 0, v2
	s_and_saveexec_b64 s[4:5], s[0:1]
	s_cbranch_execz .LBB12_8
; %bb.7:
	s_waitcnt lgkmcnt(0)
	v_add_f16_e32 v2, v7, v8
	v_lshrrev_b32_e32 v7, 5, v0
	v_and_b32_e32 v7, 30, v7
	ds_write_b16 v7, v2
.LBB12_8:
	s_or_b64 exec, exec, s[4:5]
	v_cmp_gt_u32_e64 s[0:1], 16, v0
	v_mov_b32_e32 v2, 0
	s_waitcnt lgkmcnt(0)
	s_barrier
	s_and_saveexec_b64 s[4:5], s[0:1]
	s_cbranch_execnz .LBB12_12
; %bb.9:
	s_or_b64 exec, exec, s[4:5]
	s_and_saveexec_b64 s[0:1], vcc
	s_cbranch_execnz .LBB12_13
.LBB12_10:
	s_or_b64 exec, exec, s[0:1]
	v_cmp_eq_u32_e32 vcc, 0, v0
	s_and_saveexec_b64 s[0:1], vcc
	s_cbranch_execnz .LBB12_14
.LBB12_11:
	s_endpgm
.LBB12_12:
	ds_read_u16 v2, v1
	s_or_b64 exec, exec, s[4:5]
	s_and_saveexec_b64 s[0:1], vcc
	s_cbranch_execz .LBB12_10
.LBB12_13:
	s_waitcnt lgkmcnt(0)
	v_and_b32_e32 v1, 0xffff, v2
	ds_bpermute_b32 v1, v3, v1
	s_mov_b32 s4, 0xffff0000
	s_waitcnt lgkmcnt(0)
	v_add_f16_e32 v2, v2, v1
	v_and_or_b32 v1, v1, s4, v2
	ds_bpermute_b32 v1, v4, v1
	s_waitcnt lgkmcnt(0)
	v_add_f16_e32 v2, v2, v1
	v_and_or_b32 v1, v1, s4, v2
	ds_bpermute_b32 v1, v5, v1
	;; [unrolled: 4-line block ×3, first 2 shown]
	s_waitcnt lgkmcnt(0)
	v_add_f16_e32 v2, v2, v1
	s_or_b64 exec, exec, s[0:1]
	v_cmp_eq_u32_e32 vcc, 0, v0
	s_and_saveexec_b64 s[0:1], vcc
	s_cbranch_execz .LBB12_11
.LBB12_14:
	s_lshl_b64 s[0:1], s[2:3], 1
	s_add_u32 s0, s6, s0
	s_addc_u32 s1, s7, s1
	v_mov_b32_e32 v0, 0
	s_waitcnt lgkmcnt(0)
	global_store_short v0, v2, s[0:1]
	s_endpgm
	.section	.rodata,"a",@progbits
	.p2align	6, 0x0
	.amdhsa_kernel _ZL18rocblas_dot_kernelIlLb1ELi1024ELi32ELb0EDF16_PKDF16_DF16_EviT5_lT_lS2_lS3_liPT6_PT4_
		.amdhsa_group_segment_fixed_size 128
		.amdhsa_private_segment_fixed_size 0
		.amdhsa_kernarg_size 352
		.amdhsa_user_sgpr_count 6
		.amdhsa_user_sgpr_private_segment_buffer 1
		.amdhsa_user_sgpr_dispatch_ptr 0
		.amdhsa_user_sgpr_queue_ptr 0
		.amdhsa_user_sgpr_kernarg_segment_ptr 1
		.amdhsa_user_sgpr_dispatch_id 0
		.amdhsa_user_sgpr_flat_scratch_init 0
		.amdhsa_user_sgpr_kernarg_preload_length 0
		.amdhsa_user_sgpr_kernarg_preload_offset 0
		.amdhsa_user_sgpr_private_segment_size 0
		.amdhsa_uses_dynamic_stack 0
		.amdhsa_system_sgpr_private_segment_wavefront_offset 0
		.amdhsa_system_sgpr_workgroup_id_x 1
		.amdhsa_system_sgpr_workgroup_id_y 0
		.amdhsa_system_sgpr_workgroup_id_z 1
		.amdhsa_system_sgpr_workgroup_info 0
		.amdhsa_system_vgpr_workitem_id 0
		.amdhsa_next_free_vgpr 11
		.amdhsa_next_free_sgpr 26
		.amdhsa_accum_offset 12
		.amdhsa_reserve_vcc 1
		.amdhsa_reserve_flat_scratch 0
		.amdhsa_float_round_mode_32 0
		.amdhsa_float_round_mode_16_64 0
		.amdhsa_float_denorm_mode_32 3
		.amdhsa_float_denorm_mode_16_64 3
		.amdhsa_dx10_clamp 1
		.amdhsa_ieee_mode 1
		.amdhsa_fp16_overflow 0
		.amdhsa_tg_split 0
		.amdhsa_exception_fp_ieee_invalid_op 0
		.amdhsa_exception_fp_denorm_src 0
		.amdhsa_exception_fp_ieee_div_zero 0
		.amdhsa_exception_fp_ieee_overflow 0
		.amdhsa_exception_fp_ieee_underflow 0
		.amdhsa_exception_fp_ieee_inexact 0
		.amdhsa_exception_int_div_zero 0
	.end_amdhsa_kernel
	.section	.text._ZL18rocblas_dot_kernelIlLb1ELi1024ELi32ELb0EDF16_PKDF16_DF16_EviT5_lT_lS2_lS3_liPT6_PT4_,"axG",@progbits,_ZL18rocblas_dot_kernelIlLb1ELi1024ELi32ELb0EDF16_PKDF16_DF16_EviT5_lT_lS2_lS3_liPT6_PT4_,comdat
.Lfunc_end12:
	.size	_ZL18rocblas_dot_kernelIlLb1ELi1024ELi32ELb0EDF16_PKDF16_DF16_EviT5_lT_lS2_lS3_liPT6_PT4_, .Lfunc_end12-_ZL18rocblas_dot_kernelIlLb1ELi1024ELi32ELb0EDF16_PKDF16_DF16_EviT5_lT_lS2_lS3_liPT6_PT4_
                                        ; -- End function
	.section	.AMDGPU.csdata,"",@progbits
; Kernel info:
; codeLenInByte = 1100
; NumSgprs: 30
; NumVgprs: 11
; NumAgprs: 0
; TotalNumVgprs: 11
; ScratchSize: 0
; MemoryBound: 0
; FloatMode: 240
; IeeeMode: 1
; LDSByteSize: 128 bytes/workgroup (compile time only)
; SGPRBlocks: 3
; VGPRBlocks: 1
; NumSGPRsForWavesPerEU: 30
; NumVGPRsForWavesPerEU: 11
; AccumOffset: 12
; Occupancy: 8
; WaveLimiterHint : 0
; COMPUTE_PGM_RSRC2:SCRATCH_EN: 0
; COMPUTE_PGM_RSRC2:USER_SGPR: 6
; COMPUTE_PGM_RSRC2:TRAP_HANDLER: 0
; COMPUTE_PGM_RSRC2:TGID_X_EN: 1
; COMPUTE_PGM_RSRC2:TGID_Y_EN: 0
; COMPUTE_PGM_RSRC2:TGID_Z_EN: 1
; COMPUTE_PGM_RSRC2:TIDIG_COMP_CNT: 0
; COMPUTE_PGM_RSRC3_GFX90A:ACCUM_OFFSET: 2
; COMPUTE_PGM_RSRC3_GFX90A:TG_SPLIT: 0
	.section	.text._ZL24rocblas_dot_kernel_magsqIlLb1ELi1024ELi32ELb0EDF16_PKDF16_DF16_EviT5_lT_liPT6_PT4_,"axG",@progbits,_ZL24rocblas_dot_kernel_magsqIlLb1ELi1024ELi32ELb0EDF16_PKDF16_DF16_EviT5_lT_liPT6_PT4_,comdat
	.globl	_ZL24rocblas_dot_kernel_magsqIlLb1ELi1024ELi32ELb0EDF16_PKDF16_DF16_EviT5_lT_liPT6_PT4_ ; -- Begin function _ZL24rocblas_dot_kernel_magsqIlLb1ELi1024ELi32ELb0EDF16_PKDF16_DF16_EviT5_lT_liPT6_PT4_
	.p2align	8
	.type	_ZL24rocblas_dot_kernel_magsqIlLb1ELi1024ELi32ELb0EDF16_PKDF16_DF16_EviT5_lT_liPT6_PT4_,@function
_ZL24rocblas_dot_kernel_magsqIlLb1ELi1024ELi32ELb0EDF16_PKDF16_DF16_EviT5_lT_liPT6_PT4_: ; @_ZL24rocblas_dot_kernel_magsqIlLb1ELi1024ELi32ELb0EDF16_PKDF16_DF16_EviT5_lT_liPT6_PT4_
; %bb.0:
	s_mov_b32 s2, s7
	s_load_dword s12, s[4:5], 0x0
	s_load_dwordx2 s[6:7], s[4:5], 0x38
	s_mov_b32 s3, 0
	v_mov_b32_e32 v4, 0
	s_waitcnt lgkmcnt(0)
	v_cmp_gt_i32_e32 vcc, s12, v0
	s_and_saveexec_b64 s[8:9], vcc
	s_cbranch_execz .LBB13_4
; %bb.1:
	s_load_dword s13, s[4:5], 0x40
	s_load_dwordx2 s[0:1], s[4:5], 0x20
	s_load_dwordx2 s[10:11], s[4:5], 0x8
	s_load_dwordx4 s[16:19], s[4:5], 0x10
	s_waitcnt lgkmcnt(0)
	s_lshl_b32 s13, s13, 10
	s_mul_i32 s1, s1, s2
	s_mul_hi_u32 s4, s0, s2
	s_add_i32 s1, s4, s1
	v_mad_u64_u32 v[2:3], s[4:5], s18, v0, 0
	v_mov_b32_e32 v4, v3
	s_mul_i32 s0, s0, s2
	v_mad_u64_u32 v[4:5], s[4:5], s19, v0, v[4:5]
	s_lshl_b64 s[0:1], s[0:1], 1
	s_lshl_b64 s[4:5], s[16:17], 1
	s_add_u32 s4, s10, s4
	v_mov_b32_e32 v3, v4
	s_addc_u32 s5, s11, s5
	v_lshlrev_b64 v[2:3], 1, v[2:3]
	s_add_u32 s0, s4, s0
	s_addc_u32 s1, s5, s1
	v_add_co_u32_e32 v2, vcc, s0, v2
	s_ashr_i32 s0, s13, 31
	v_mov_b32_e32 v4, s1
	s_mul_i32 s0, s18, s0
	s_mul_hi_u32 s1, s18, s13
	s_add_i32 s0, s1, s0
	s_mul_i32 s1, s19, s13
	s_add_i32 s1, s0, s1
	s_mul_i32 s0, s18, s13
	s_lshl_b64 s[10:11], s[0:1], 1
	v_or_b32_e32 v1, s13, v0
	v_addc_co_u32_e32 v3, vcc, v4, v3, vcc
	s_mov_b64 s[4:5], 0
	v_mov_b32_e32 v4, 0
	v_mov_b32_e32 v5, s11
	s_mov_b32 s11, s3
.LBB13_2:                               ; =>This Inner Loop Header: Depth=1
	global_load_ushort v6, v[2:3], off
	s_add_i32 s14, s11, 1
	v_add_co_u32_e64 v2, s[0:1], s10, v2
	v_addc_co_u32_e64 v3, s[0:1], v3, v5, s[0:1]
	s_cmp_gt_u32 s11, 30
	v_cmp_le_i32_e32 vcc, s12, v1
	s_cselect_b64 s[0:1], -1, 0
	s_or_b64 s[0:1], s[0:1], vcc
	s_and_b64 s[0:1], exec, s[0:1]
	v_add_u32_e32 v1, s13, v1
	s_mov_b32 s11, s14
	s_or_b64 s[4:5], s[0:1], s[4:5]
	s_waitcnt vmcnt(0)
	v_fma_f16 v4, v6, v6, v4
	s_andn2_b64 exec, exec, s[4:5]
	s_cbranch_execnz .LBB13_2
; %bb.3:
	s_or_b64 exec, exec, s[4:5]
.LBB13_4:
	s_or_b64 exec, exec, s[8:9]
	v_and_b32_e32 v2, 63, v0
	v_cmp_gt_u32_e32 vcc, 64, v0
	v_lshlrev_b32_e32 v1, 1, v2
	s_and_saveexec_b64 s[0:1], vcc
	s_cbranch_execz .LBB13_6
; %bb.5:
	v_mov_b32_e32 v3, 0
	ds_write_b16 v1, v3
.LBB13_6:
	s_or_b64 exec, exec, s[0:1]
	v_mbcnt_lo_u32_b32 v3, -1, 0
	v_mbcnt_hi_u32_b32 v6, -1, v3
	v_and_b32_e32 v8, 63, v6
	v_cmp_gt_u32_e64 s[0:1], 32, v8
	v_cndmask_b32_e64 v5, 0, 1, s[0:1]
	v_lshlrev_b32_e32 v5, 5, v5
	v_and_b32_e32 v3, 0xffff, v4
	v_add_lshl_u32 v5, v5, v6, 2
	ds_bpermute_b32 v3, v5, v3
	v_cmp_gt_u32_e64 s[0:1], 48, v8
	v_cndmask_b32_e64 v5, 0, 1, s[0:1]
	s_mov_b32 s4, 0xffff0000
	v_lshlrev_b32_e32 v5, 4, v5
	s_waitcnt lgkmcnt(0)
	v_add_f16_e32 v4, v4, v3
	v_and_or_b32 v3, v3, s4, v4
	v_add_lshl_u32 v5, v5, v6, 2
	ds_bpermute_b32 v3, v5, v3
	v_cmp_gt_u32_e64 s[0:1], 56, v8
	s_waitcnt lgkmcnt(0)
	s_barrier
	v_add_f16_e32 v4, v4, v3
	v_and_or_b32 v5, v3, s4, v4
	v_cndmask_b32_e64 v3, 0, 1, s[0:1]
	v_lshlrev_b32_e32 v3, 3, v3
	v_add_lshl_u32 v3, v3, v6, 2
	ds_bpermute_b32 v5, v3, v5
	v_cmp_gt_u32_e64 s[0:1], 60, v8
	s_waitcnt lgkmcnt(0)
	v_add_f16_e32 v7, v4, v5
	v_cndmask_b32_e64 v4, 0, 1, s[0:1]
	v_lshlrev_b32_e32 v4, 2, v4
	v_and_or_b32 v5, v5, s4, v7
	v_add_lshl_u32 v4, v4, v6, 2
	ds_bpermute_b32 v5, v4, v5
	v_cmp_gt_u32_e64 s[0:1], 62, v8
	s_waitcnt lgkmcnt(0)
	v_add_f16_e32 v7, v7, v5
	v_and_or_b32 v9, v5, s4, v7
	v_cndmask_b32_e64 v5, 0, 1, s[0:1]
	v_lshlrev_b32_e32 v5, 1, v5
	v_add_lshl_u32 v5, v5, v6, 2
	ds_bpermute_b32 v9, v5, v9
	v_cmp_ne_u32_e64 s[0:1], 63, v8
	v_addc_co_u32_e64 v6, s[0:1], 0, v6, s[0:1]
	v_lshlrev_b32_e32 v6, 2, v6
	s_waitcnt lgkmcnt(0)
	v_add_f16_e32 v7, v7, v9
	v_and_or_b32 v9, v9, s4, v7
	ds_bpermute_b32 v8, v6, v9
	v_cmp_eq_u32_e64 s[0:1], 0, v2
	s_and_saveexec_b64 s[4:5], s[0:1]
	s_cbranch_execz .LBB13_8
; %bb.7:
	s_waitcnt lgkmcnt(0)
	v_add_f16_e32 v2, v7, v8
	v_lshrrev_b32_e32 v7, 5, v0
	v_and_b32_e32 v7, 30, v7
	ds_write_b16 v7, v2
.LBB13_8:
	s_or_b64 exec, exec, s[4:5]
	v_cmp_gt_u32_e64 s[0:1], 16, v0
	v_mov_b32_e32 v2, 0
	s_waitcnt lgkmcnt(0)
	s_barrier
	s_and_saveexec_b64 s[4:5], s[0:1]
	s_cbranch_execnz .LBB13_12
; %bb.9:
	s_or_b64 exec, exec, s[4:5]
	s_and_saveexec_b64 s[0:1], vcc
	s_cbranch_execnz .LBB13_13
.LBB13_10:
	s_or_b64 exec, exec, s[0:1]
	v_cmp_eq_u32_e32 vcc, 0, v0
	s_and_saveexec_b64 s[0:1], vcc
	s_cbranch_execnz .LBB13_14
.LBB13_11:
	s_endpgm
.LBB13_12:
	ds_read_u16 v2, v1
	s_or_b64 exec, exec, s[4:5]
	s_and_saveexec_b64 s[0:1], vcc
	s_cbranch_execz .LBB13_10
.LBB13_13:
	s_waitcnt lgkmcnt(0)
	v_and_b32_e32 v1, 0xffff, v2
	ds_bpermute_b32 v1, v3, v1
	s_mov_b32 s4, 0xffff0000
	s_waitcnt lgkmcnt(0)
	v_add_f16_e32 v2, v2, v1
	v_and_or_b32 v1, v1, s4, v2
	ds_bpermute_b32 v1, v4, v1
	s_waitcnt lgkmcnt(0)
	v_add_f16_e32 v2, v2, v1
	v_and_or_b32 v1, v1, s4, v2
	ds_bpermute_b32 v1, v5, v1
	s_waitcnt lgkmcnt(0)
	v_add_f16_e32 v2, v2, v1
	v_and_or_b32 v1, v1, s4, v2
	ds_bpermute_b32 v1, v6, v1
	s_waitcnt lgkmcnt(0)
	v_add_f16_e32 v2, v2, v1
	s_or_b64 exec, exec, s[0:1]
	v_cmp_eq_u32_e32 vcc, 0, v0
	s_and_saveexec_b64 s[0:1], vcc
	s_cbranch_execz .LBB13_11
.LBB13_14:
	s_lshl_b64 s[0:1], s[2:3], 1
	s_add_u32 s0, s6, s0
	s_addc_u32 s1, s7, s1
	v_mov_b32_e32 v0, 0
	s_waitcnt lgkmcnt(0)
	global_store_short v0, v2, s[0:1]
	s_endpgm
	.section	.rodata,"a",@progbits
	.p2align	6, 0x0
	.amdhsa_kernel _ZL24rocblas_dot_kernel_magsqIlLb1ELi1024ELi32ELb0EDF16_PKDF16_DF16_EviT5_lT_liPT6_PT4_
		.amdhsa_group_segment_fixed_size 128
		.amdhsa_private_segment_fixed_size 0
		.amdhsa_kernarg_size 320
		.amdhsa_user_sgpr_count 6
		.amdhsa_user_sgpr_private_segment_buffer 1
		.amdhsa_user_sgpr_dispatch_ptr 0
		.amdhsa_user_sgpr_queue_ptr 0
		.amdhsa_user_sgpr_kernarg_segment_ptr 1
		.amdhsa_user_sgpr_dispatch_id 0
		.amdhsa_user_sgpr_flat_scratch_init 0
		.amdhsa_user_sgpr_kernarg_preload_length 0
		.amdhsa_user_sgpr_kernarg_preload_offset 0
		.amdhsa_user_sgpr_private_segment_size 0
		.amdhsa_uses_dynamic_stack 0
		.amdhsa_system_sgpr_private_segment_wavefront_offset 0
		.amdhsa_system_sgpr_workgroup_id_x 1
		.amdhsa_system_sgpr_workgroup_id_y 0
		.amdhsa_system_sgpr_workgroup_id_z 1
		.amdhsa_system_sgpr_workgroup_info 0
		.amdhsa_system_vgpr_workitem_id 0
		.amdhsa_next_free_vgpr 10
		.amdhsa_next_free_sgpr 20
		.amdhsa_accum_offset 12
		.amdhsa_reserve_vcc 1
		.amdhsa_reserve_flat_scratch 0
		.amdhsa_float_round_mode_32 0
		.amdhsa_float_round_mode_16_64 0
		.amdhsa_float_denorm_mode_32 3
		.amdhsa_float_denorm_mode_16_64 3
		.amdhsa_dx10_clamp 1
		.amdhsa_ieee_mode 1
		.amdhsa_fp16_overflow 0
		.amdhsa_tg_split 0
		.amdhsa_exception_fp_ieee_invalid_op 0
		.amdhsa_exception_fp_denorm_src 0
		.amdhsa_exception_fp_ieee_div_zero 0
		.amdhsa_exception_fp_ieee_overflow 0
		.amdhsa_exception_fp_ieee_underflow 0
		.amdhsa_exception_fp_ieee_inexact 0
		.amdhsa_exception_int_div_zero 0
	.end_amdhsa_kernel
	.section	.text._ZL24rocblas_dot_kernel_magsqIlLb1ELi1024ELi32ELb0EDF16_PKDF16_DF16_EviT5_lT_liPT6_PT4_,"axG",@progbits,_ZL24rocblas_dot_kernel_magsqIlLb1ELi1024ELi32ELb0EDF16_PKDF16_DF16_EviT5_lT_liPT6_PT4_,comdat
.Lfunc_end13:
	.size	_ZL24rocblas_dot_kernel_magsqIlLb1ELi1024ELi32ELb0EDF16_PKDF16_DF16_EviT5_lT_liPT6_PT4_, .Lfunc_end13-_ZL24rocblas_dot_kernel_magsqIlLb1ELi1024ELi32ELb0EDF16_PKDF16_DF16_EviT5_lT_liPT6_PT4_
                                        ; -- End function
	.section	.AMDGPU.csdata,"",@progbits
; Kernel info:
; codeLenInByte = 952
; NumSgprs: 24
; NumVgprs: 10
; NumAgprs: 0
; TotalNumVgprs: 10
; ScratchSize: 0
; MemoryBound: 0
; FloatMode: 240
; IeeeMode: 1
; LDSByteSize: 128 bytes/workgroup (compile time only)
; SGPRBlocks: 2
; VGPRBlocks: 1
; NumSGPRsForWavesPerEU: 24
; NumVGPRsForWavesPerEU: 10
; AccumOffset: 12
; Occupancy: 8
; WaveLimiterHint : 0
; COMPUTE_PGM_RSRC2:SCRATCH_EN: 0
; COMPUTE_PGM_RSRC2:USER_SGPR: 6
; COMPUTE_PGM_RSRC2:TRAP_HANDLER: 0
; COMPUTE_PGM_RSRC2:TGID_X_EN: 1
; COMPUTE_PGM_RSRC2:TGID_Y_EN: 0
; COMPUTE_PGM_RSRC2:TGID_Z_EN: 1
; COMPUTE_PGM_RSRC2:TIDIG_COMP_CNT: 0
; COMPUTE_PGM_RSRC3_GFX90A:ACCUM_OFFSET: 2
; COMPUTE_PGM_RSRC3_GFX90A:TG_SPLIT: 0
	.section	.text._ZL38rocblas_dot_kernel_gfx942_float_doubleIlLi1024EDF16_PKDF16_DF16_EviT2_lT_lS2_lS3_lPT3_PT1_,"axG",@progbits,_ZL38rocblas_dot_kernel_gfx942_float_doubleIlLi1024EDF16_PKDF16_DF16_EviT2_lT_lS2_lS3_lPT3_PT1_,comdat
	.globl	_ZL38rocblas_dot_kernel_gfx942_float_doubleIlLi1024EDF16_PKDF16_DF16_EviT2_lT_lS2_lS3_lPT3_PT1_ ; -- Begin function _ZL38rocblas_dot_kernel_gfx942_float_doubleIlLi1024EDF16_PKDF16_DF16_EviT2_lT_lS2_lS3_lPT3_PT1_
	.p2align	8
	.type	_ZL38rocblas_dot_kernel_gfx942_float_doubleIlLi1024EDF16_PKDF16_DF16_EviT2_lT_lS2_lS3_lPT3_PT1_,@function
_ZL38rocblas_dot_kernel_gfx942_float_doubleIlLi1024EDF16_PKDF16_DF16_EviT2_lT_lS2_lS3_lPT3_PT1_: ; @_ZL38rocblas_dot_kernel_gfx942_float_doubleIlLi1024EDF16_PKDF16_DF16_EviT2_lT_lS2_lS3_lPT3_PT1_
; %bb.0:
	s_endpgm
	.section	.rodata,"a",@progbits
	.p2align	6, 0x0
	.amdhsa_kernel _ZL38rocblas_dot_kernel_gfx942_float_doubleIlLi1024EDF16_PKDF16_DF16_EviT2_lT_lS2_lS3_lPT3_PT1_
		.amdhsa_group_segment_fixed_size 0
		.amdhsa_private_segment_fixed_size 0
		.amdhsa_kernarg_size 88
		.amdhsa_user_sgpr_count 6
		.amdhsa_user_sgpr_private_segment_buffer 1
		.amdhsa_user_sgpr_dispatch_ptr 0
		.amdhsa_user_sgpr_queue_ptr 0
		.amdhsa_user_sgpr_kernarg_segment_ptr 1
		.amdhsa_user_sgpr_dispatch_id 0
		.amdhsa_user_sgpr_flat_scratch_init 0
		.amdhsa_user_sgpr_kernarg_preload_length 0
		.amdhsa_user_sgpr_kernarg_preload_offset 0
		.amdhsa_user_sgpr_private_segment_size 0
		.amdhsa_uses_dynamic_stack 0
		.amdhsa_system_sgpr_private_segment_wavefront_offset 0
		.amdhsa_system_sgpr_workgroup_id_x 1
		.amdhsa_system_sgpr_workgroup_id_y 0
		.amdhsa_system_sgpr_workgroup_id_z 0
		.amdhsa_system_sgpr_workgroup_info 0
		.amdhsa_system_vgpr_workitem_id 0
		.amdhsa_next_free_vgpr 1
		.amdhsa_next_free_sgpr 0
		.amdhsa_accum_offset 4
		.amdhsa_reserve_vcc 0
		.amdhsa_reserve_flat_scratch 0
		.amdhsa_float_round_mode_32 0
		.amdhsa_float_round_mode_16_64 0
		.amdhsa_float_denorm_mode_32 3
		.amdhsa_float_denorm_mode_16_64 3
		.amdhsa_dx10_clamp 1
		.amdhsa_ieee_mode 1
		.amdhsa_fp16_overflow 0
		.amdhsa_tg_split 0
		.amdhsa_exception_fp_ieee_invalid_op 0
		.amdhsa_exception_fp_denorm_src 0
		.amdhsa_exception_fp_ieee_div_zero 0
		.amdhsa_exception_fp_ieee_overflow 0
		.amdhsa_exception_fp_ieee_underflow 0
		.amdhsa_exception_fp_ieee_inexact 0
		.amdhsa_exception_int_div_zero 0
	.end_amdhsa_kernel
	.section	.text._ZL38rocblas_dot_kernel_gfx942_float_doubleIlLi1024EDF16_PKDF16_DF16_EviT2_lT_lS2_lS3_lPT3_PT1_,"axG",@progbits,_ZL38rocblas_dot_kernel_gfx942_float_doubleIlLi1024EDF16_PKDF16_DF16_EviT2_lT_lS2_lS3_lPT3_PT1_,comdat
.Lfunc_end14:
	.size	_ZL38rocblas_dot_kernel_gfx942_float_doubleIlLi1024EDF16_PKDF16_DF16_EviT2_lT_lS2_lS3_lPT3_PT1_, .Lfunc_end14-_ZL38rocblas_dot_kernel_gfx942_float_doubleIlLi1024EDF16_PKDF16_DF16_EviT2_lT_lS2_lS3_lPT3_PT1_
                                        ; -- End function
	.section	.AMDGPU.csdata,"",@progbits
; Kernel info:
; codeLenInByte = 4
; NumSgprs: 4
; NumVgprs: 0
; NumAgprs: 0
; TotalNumVgprs: 0
; ScratchSize: 0
; MemoryBound: 0
; FloatMode: 240
; IeeeMode: 1
; LDSByteSize: 0 bytes/workgroup (compile time only)
; SGPRBlocks: 0
; VGPRBlocks: 0
; NumSGPRsForWavesPerEU: 4
; NumVGPRsForWavesPerEU: 1
; AccumOffset: 4
; Occupancy: 8
; WaveLimiterHint : 0
; COMPUTE_PGM_RSRC2:SCRATCH_EN: 0
; COMPUTE_PGM_RSRC2:USER_SGPR: 6
; COMPUTE_PGM_RSRC2:TRAP_HANDLER: 0
; COMPUTE_PGM_RSRC2:TGID_X_EN: 1
; COMPUTE_PGM_RSRC2:TGID_Y_EN: 0
; COMPUTE_PGM_RSRC2:TGID_Z_EN: 0
; COMPUTE_PGM_RSRC2:TIDIG_COMP_CNT: 0
; COMPUTE_PGM_RSRC3_GFX90A:ACCUM_OFFSET: 0
; COMPUTE_PGM_RSRC3_GFX90A:TG_SPLIT: 0
	.section	.text._ZL18rocblas_dot_kernelIlLb0ELi512ELi8ELb0EDF16_PKDF16_DF16_EviT5_lT_lS2_lS3_liPT6_PT4_,"axG",@progbits,_ZL18rocblas_dot_kernelIlLb0ELi512ELi8ELb0EDF16_PKDF16_DF16_EviT5_lT_lS2_lS3_liPT6_PT4_,comdat
	.globl	_ZL18rocblas_dot_kernelIlLb0ELi512ELi8ELb0EDF16_PKDF16_DF16_EviT5_lT_lS2_lS3_liPT6_PT4_ ; -- Begin function _ZL18rocblas_dot_kernelIlLb0ELi512ELi8ELb0EDF16_PKDF16_DF16_EviT5_lT_lS2_lS3_liPT6_PT4_
	.p2align	8
	.type	_ZL18rocblas_dot_kernelIlLb0ELi512ELi8ELb0EDF16_PKDF16_DF16_EviT5_lT_lS2_lS3_liPT6_PT4_,@function
_ZL18rocblas_dot_kernelIlLb0ELi512ELi8ELb0EDF16_PKDF16_DF16_EviT5_lT_lS2_lS3_liPT6_PT4_: ; @_ZL18rocblas_dot_kernelIlLb0ELi512ELi8ELb0EDF16_PKDF16_DF16_EviT5_lT_lS2_lS3_liPT6_PT4_
; %bb.0:
	s_mov_b32 s2, s7
	s_load_dword s22, s[4:5], 0x60
	s_load_dword s7, s[4:5], 0x0
	s_load_dwordx4 s[16:19], s[4:5], 0x50
	v_lshl_or_b32 v4, s6, 9, v0
	s_mov_b32 s3, 0
	v_mov_b32_e32 v6, 0
	s_waitcnt lgkmcnt(0)
	v_cmp_gt_i32_e32 vcc, s7, v4
	s_and_saveexec_b64 s[20:21], vcc
	s_cbranch_execz .LBB15_4
; %bb.1:
	s_load_dwordx8 s[8:15], s[4:5], 0x20
	s_load_dwordx2 s[0:1], s[4:5], 0x8
	s_load_dwordx4 s[24:27], s[4:5], 0x10
	s_load_dwordx2 s[28:29], s[4:5], 0x40
	s_lshl_b32 s23, s22, 9
	v_ashrrev_i32_e32 v5, 31, v4
	v_add_u32_e32 v1, s23, v4
	s_waitcnt lgkmcnt(0)
	v_mad_u64_u32 v[2:3], s[4:5], s26, v4, 0
	s_mul_i32 s4, s9, s2
	s_mul_hi_u32 s5, s8, s2
	s_add_i32 s5, s5, s4
	s_mul_i32 s4, s8, s2
	s_lshl_b64 s[4:5], s[4:5], 1
	s_lshl_b64 s[8:9], s[24:25], 1
	s_add_u32 s0, s0, s8
	v_mul_lo_u32 v6, s27, v4
	v_mul_lo_u32 v7, s26, v5
	s_addc_u32 s1, s1, s9
	v_add3_u32 v3, v3, v7, v6
	s_add_u32 s0, s0, s4
	v_lshlrev_b64 v[2:3], 1, v[2:3]
	s_addc_u32 s1, s1, s5
	s_ashr_i32 s24, s23, 31
	v_mov_b32_e32 v6, s1
	v_add_co_u32_e32 v2, vcc, s0, v2
	s_mul_i32 s0, s26, s24
	s_mul_hi_u32 s1, s26, s23
	s_add_i32 s0, s1, s0
	s_mul_i32 s1, s27, s23
	s_add_i32 s1, s0, s1
	s_mul_i32 s0, s26, s23
	v_addc_co_u32_e32 v3, vcc, v6, v3, vcc
	s_lshl_b64 s[4:5], s[0:1], 1
	v_mul_lo_u32 v6, s15, v4
	v_mul_lo_u32 v7, s14, v5
	v_mad_u64_u32 v[4:5], s[0:1], s14, v4, 0
	s_mul_i32 s0, s29, s2
	s_mul_hi_u32 s1, s28, s2
	s_add_i32 s1, s1, s0
	s_mul_i32 s0, s28, s2
	s_lshl_b64 s[0:1], s[0:1], 1
	s_lshl_b64 s[8:9], s[12:13], 1
	s_add_u32 s8, s10, s8
	s_addc_u32 s9, s11, s9
	v_add3_u32 v5, v5, v7, v6
	s_add_u32 s0, s8, s0
	v_lshlrev_b64 v[4:5], 1, v[4:5]
	s_addc_u32 s1, s9, s1
	v_mov_b32_e32 v6, s1
	v_add_co_u32_e32 v4, vcc, s0, v4
	s_mul_i32 s0, s14, s24
	s_mul_hi_u32 s1, s14, s23
	s_add_i32 s0, s1, s0
	s_mul_i32 s1, s15, s23
	s_add_i32 s1, s0, s1
	s_mul_i32 s0, s14, s23
	s_lshl_b64 s[10:11], s[0:1], 1
	v_addc_co_u32_e32 v5, vcc, v6, v5, vcc
	s_mov_b64 s[8:9], 0
	v_mov_b32_e32 v6, 0
	v_mov_b32_e32 v7, s5
	;; [unrolled: 1-line block ×3, first 2 shown]
	s_mov_b32 s5, s3
.LBB15_2:                               ; =>This Inner Loop Header: Depth=1
	global_load_ushort v9, v[4:5], off
	global_load_ushort v10, v[2:3], off
	v_add_co_u32_e64 v2, s[0:1], s4, v2
	v_addc_co_u32_e64 v3, s[0:1], v3, v7, s[0:1]
	s_add_i32 s11, s5, 1
	v_add_co_u32_e64 v4, s[0:1], s10, v4
	v_addc_co_u32_e64 v5, s[0:1], v5, v8, s[0:1]
	s_cmp_gt_u32 s5, 6
	v_cmp_le_i32_e32 vcc, s7, v1
	s_cselect_b64 s[0:1], -1, 0
	s_or_b64 s[0:1], s[0:1], vcc
	s_and_b64 s[0:1], exec, s[0:1]
	v_add_u32_e32 v1, s23, v1
	s_mov_b32 s5, s11
	s_or_b64 s[8:9], s[0:1], s[8:9]
	s_waitcnt vmcnt(0)
	v_fma_f16 v6, v9, v10, v6
	s_andn2_b64 exec, exec, s[8:9]
	s_cbranch_execnz .LBB15_2
; %bb.3:
	s_or_b64 exec, exec, s[8:9]
.LBB15_4:
	s_or_b64 exec, exec, s[20:21]
	v_and_b32_e32 v2, 63, v0
	v_cmp_gt_u32_e32 vcc, 64, v0
	v_lshlrev_b32_e32 v1, 1, v2
	s_and_saveexec_b64 s[0:1], vcc
	s_cbranch_execz .LBB15_6
; %bb.5:
	v_mov_b32_e32 v3, 0
	ds_write_b16 v1, v3
.LBB15_6:
	s_or_b64 exec, exec, s[0:1]
	v_mbcnt_lo_u32_b32 v3, -1, 0
	v_mbcnt_hi_u32_b32 v5, -1, v3
	v_and_b32_e32 v7, 63, v5
	v_cmp_gt_u32_e64 s[0:1], 32, v7
	v_cndmask_b32_e64 v4, 0, 1, s[0:1]
	v_lshlrev_b32_e32 v4, 5, v4
	v_and_b32_e32 v3, 0xffff, v6
	v_add_lshl_u32 v4, v4, v5, 2
	ds_bpermute_b32 v3, v4, v3
	v_cmp_gt_u32_e64 s[0:1], 48, v7
	s_mov_b32 s4, 0xffff0000
	s_waitcnt lgkmcnt(0)
	s_barrier
	v_add_f16_e32 v4, v6, v3
	v_cndmask_b32_e64 v6, 0, 1, s[0:1]
	v_lshlrev_b32_e32 v6, 4, v6
	v_and_or_b32 v3, v3, s4, v4
	v_add_lshl_u32 v6, v6, v5, 2
	ds_bpermute_b32 v3, v6, v3
	v_cmp_gt_u32_e64 s[0:1], 56, v7
	v_cndmask_b32_e64 v6, 0, 1, s[0:1]
	v_lshlrev_b32_e32 v6, 3, v6
	v_add_lshl_u32 v6, v6, v5, 2
	s_waitcnt lgkmcnt(0)
	v_add_f16_e32 v4, v4, v3
	v_and_or_b32 v3, v3, s4, v4
	ds_bpermute_b32 v3, v6, v3
	v_cmp_gt_u32_e64 s[0:1], 60, v7
	s_waitcnt lgkmcnt(0)
	v_add_f16_e32 v4, v4, v3
	v_and_or_b32 v6, v3, s4, v4
	v_cndmask_b32_e64 v3, 0, 1, s[0:1]
	v_lshlrev_b32_e32 v3, 2, v3
	v_add_lshl_u32 v3, v3, v5, 2
	ds_bpermute_b32 v6, v3, v6
	v_cmp_gt_u32_e64 s[0:1], 62, v7
	s_waitcnt lgkmcnt(0)
	v_add_f16_e32 v8, v4, v6
	v_cndmask_b32_e64 v4, 0, 1, s[0:1]
	v_lshlrev_b32_e32 v4, 1, v4
	v_and_or_b32 v6, v6, s4, v8
	v_add_lshl_u32 v4, v4, v5, 2
	ds_bpermute_b32 v9, v4, v6
	v_cmp_ne_u32_e64 s[0:1], 63, v7
	v_addc_co_u32_e64 v5, s[0:1], 0, v5, s[0:1]
	v_lshlrev_b32_e32 v5, 2, v5
	s_waitcnt lgkmcnt(0)
	v_add_f16_e32 v6, v8, v9
	v_and_or_b32 v8, v9, s4, v6
	ds_bpermute_b32 v7, v5, v8
	v_cmp_eq_u32_e64 s[0:1], 0, v2
	s_and_saveexec_b64 s[4:5], s[0:1]
	s_cbranch_execz .LBB15_8
; %bb.7:
	s_waitcnt lgkmcnt(0)
	v_add_f16_e32 v2, v6, v7
	v_lshrrev_b32_e32 v6, 5, v0
	v_and_b32_e32 v6, 14, v6
	ds_write_b16 v6, v2
.LBB15_8:
	s_or_b64 exec, exec, s[4:5]
	v_cmp_gt_u32_e64 s[0:1], 8, v0
	v_mov_b32_e32 v2, 0
	s_waitcnt lgkmcnt(0)
	s_barrier
	s_and_saveexec_b64 s[4:5], s[0:1]
	s_cbranch_execnz .LBB15_12
; %bb.9:
	s_or_b64 exec, exec, s[4:5]
	s_and_saveexec_b64 s[0:1], vcc
	s_cbranch_execnz .LBB15_13
.LBB15_10:
	s_or_b64 exec, exec, s[0:1]
	v_cmp_eq_u32_e32 vcc, 0, v0
	s_and_saveexec_b64 s[0:1], vcc
	s_cbranch_execnz .LBB15_14
.LBB15_11:
	s_endpgm
.LBB15_12:
	ds_read_u16 v2, v1
	s_or_b64 exec, exec, s[4:5]
	s_and_saveexec_b64 s[0:1], vcc
	s_cbranch_execz .LBB15_10
.LBB15_13:
	s_waitcnt lgkmcnt(0)
	v_and_b32_e32 v1, 0xffff, v2
	ds_bpermute_b32 v1, v3, v1
	s_mov_b32 s4, 0xffff0000
	s_waitcnt lgkmcnt(0)
	v_add_f16_e32 v2, v2, v1
	v_and_or_b32 v1, v1, s4, v2
	ds_bpermute_b32 v1, v4, v1
	s_waitcnt lgkmcnt(0)
	v_add_f16_e32 v2, v2, v1
	v_and_or_b32 v1, v1, s4, v2
	ds_bpermute_b32 v1, v5, v1
	s_waitcnt lgkmcnt(0)
	v_add_f16_e32 v2, v2, v1
	s_or_b64 exec, exec, s[0:1]
	v_cmp_eq_u32_e32 vcc, 0, v0
	s_and_saveexec_b64 s[0:1], vcc
	s_cbranch_execz .LBB15_11
.LBB15_14:
	s_cmp_lg_u32 s22, 1
	s_cbranch_scc0 .LBB15_16
; %bb.15:
	s_mul_hi_u32 s1, s22, s2
	s_mul_i32 s0, s22, s2
	s_lshl_b64 s[0:1], s[0:1], 1
	s_mov_b32 s7, 0
	s_add_u32 s4, s16, s0
	s_addc_u32 s5, s17, s1
	s_lshl_b64 s[0:1], s[6:7], 1
	s_add_u32 s0, s4, s0
	s_addc_u32 s1, s5, s1
	s_cbranch_execz .LBB15_17
	s_branch .LBB15_18
.LBB15_16:
                                        ; implicit-def: $sgpr0_sgpr1
.LBB15_17:
	s_lshl_b64 s[0:1], s[2:3], 1
	s_add_u32 s0, s18, s0
	s_addc_u32 s1, s19, s1
.LBB15_18:
	v_mov_b32_e32 v0, 0
	s_waitcnt lgkmcnt(0)
	global_store_short v0, v2, s[0:1]
	s_endpgm
	.section	.rodata,"a",@progbits
	.p2align	6, 0x0
	.amdhsa_kernel _ZL18rocblas_dot_kernelIlLb0ELi512ELi8ELb0EDF16_PKDF16_DF16_EviT5_lT_lS2_lS3_liPT6_PT4_
		.amdhsa_group_segment_fixed_size 128
		.amdhsa_private_segment_fixed_size 0
		.amdhsa_kernarg_size 352
		.amdhsa_user_sgpr_count 6
		.amdhsa_user_sgpr_private_segment_buffer 1
		.amdhsa_user_sgpr_dispatch_ptr 0
		.amdhsa_user_sgpr_queue_ptr 0
		.amdhsa_user_sgpr_kernarg_segment_ptr 1
		.amdhsa_user_sgpr_dispatch_id 0
		.amdhsa_user_sgpr_flat_scratch_init 0
		.amdhsa_user_sgpr_kernarg_preload_length 0
		.amdhsa_user_sgpr_kernarg_preload_offset 0
		.amdhsa_user_sgpr_private_segment_size 0
		.amdhsa_uses_dynamic_stack 0
		.amdhsa_system_sgpr_private_segment_wavefront_offset 0
		.amdhsa_system_sgpr_workgroup_id_x 1
		.amdhsa_system_sgpr_workgroup_id_y 0
		.amdhsa_system_sgpr_workgroup_id_z 1
		.amdhsa_system_sgpr_workgroup_info 0
		.amdhsa_system_vgpr_workitem_id 0
		.amdhsa_next_free_vgpr 11
		.amdhsa_next_free_sgpr 30
		.amdhsa_accum_offset 12
		.amdhsa_reserve_vcc 1
		.amdhsa_reserve_flat_scratch 0
		.amdhsa_float_round_mode_32 0
		.amdhsa_float_round_mode_16_64 0
		.amdhsa_float_denorm_mode_32 3
		.amdhsa_float_denorm_mode_16_64 3
		.amdhsa_dx10_clamp 1
		.amdhsa_ieee_mode 1
		.amdhsa_fp16_overflow 0
		.amdhsa_tg_split 0
		.amdhsa_exception_fp_ieee_invalid_op 0
		.amdhsa_exception_fp_denorm_src 0
		.amdhsa_exception_fp_ieee_div_zero 0
		.amdhsa_exception_fp_ieee_overflow 0
		.amdhsa_exception_fp_ieee_underflow 0
		.amdhsa_exception_fp_ieee_inexact 0
		.amdhsa_exception_int_div_zero 0
	.end_amdhsa_kernel
	.section	.text._ZL18rocblas_dot_kernelIlLb0ELi512ELi8ELb0EDF16_PKDF16_DF16_EviT5_lT_lS2_lS3_liPT6_PT4_,"axG",@progbits,_ZL18rocblas_dot_kernelIlLb0ELi512ELi8ELb0EDF16_PKDF16_DF16_EviT5_lT_lS2_lS3_liPT6_PT4_,comdat
.Lfunc_end15:
	.size	_ZL18rocblas_dot_kernelIlLb0ELi512ELi8ELb0EDF16_PKDF16_DF16_EviT5_lT_lS2_lS3_liPT6_PT4_, .Lfunc_end15-_ZL18rocblas_dot_kernelIlLb0ELi512ELi8ELb0EDF16_PKDF16_DF16_EviT5_lT_lS2_lS3_liPT6_PT4_
                                        ; -- End function
	.section	.AMDGPU.csdata,"",@progbits
; Kernel info:
; codeLenInByte = 1156
; NumSgprs: 34
; NumVgprs: 11
; NumAgprs: 0
; TotalNumVgprs: 11
; ScratchSize: 0
; MemoryBound: 0
; FloatMode: 240
; IeeeMode: 1
; LDSByteSize: 128 bytes/workgroup (compile time only)
; SGPRBlocks: 4
; VGPRBlocks: 1
; NumSGPRsForWavesPerEU: 34
; NumVGPRsForWavesPerEU: 11
; AccumOffset: 12
; Occupancy: 8
; WaveLimiterHint : 0
; COMPUTE_PGM_RSRC2:SCRATCH_EN: 0
; COMPUTE_PGM_RSRC2:USER_SGPR: 6
; COMPUTE_PGM_RSRC2:TRAP_HANDLER: 0
; COMPUTE_PGM_RSRC2:TGID_X_EN: 1
; COMPUTE_PGM_RSRC2:TGID_Y_EN: 0
; COMPUTE_PGM_RSRC2:TGID_Z_EN: 1
; COMPUTE_PGM_RSRC2:TIDIG_COMP_CNT: 0
; COMPUTE_PGM_RSRC3_GFX90A:ACCUM_OFFSET: 2
; COMPUTE_PGM_RSRC3_GFX90A:TG_SPLIT: 0
	.section	.text._ZL24rocblas_dot_kernel_magsqIlLb0ELi512ELi8ELb0EDF16_PKDF16_DF16_EviT5_lT_liPT6_PT4_,"axG",@progbits,_ZL24rocblas_dot_kernel_magsqIlLb0ELi512ELi8ELb0EDF16_PKDF16_DF16_EviT5_lT_liPT6_PT4_,comdat
	.globl	_ZL24rocblas_dot_kernel_magsqIlLb0ELi512ELi8ELb0EDF16_PKDF16_DF16_EviT5_lT_liPT6_PT4_ ; -- Begin function _ZL24rocblas_dot_kernel_magsqIlLb0ELi512ELi8ELb0EDF16_PKDF16_DF16_EviT5_lT_liPT6_PT4_
	.p2align	8
	.type	_ZL24rocblas_dot_kernel_magsqIlLb0ELi512ELi8ELb0EDF16_PKDF16_DF16_EviT5_lT_liPT6_PT4_,@function
_ZL24rocblas_dot_kernel_magsqIlLb0ELi512ELi8ELb0EDF16_PKDF16_DF16_EviT5_lT_liPT6_PT4_: ; @_ZL24rocblas_dot_kernel_magsqIlLb0ELi512ELi8ELb0EDF16_PKDF16_DF16_EviT5_lT_liPT6_PT4_
; %bb.0:
	s_mov_b32 s2, s7
	s_load_dword s7, s[4:5], 0x0
	s_load_dwordx4 s[8:11], s[4:5], 0x30
	s_load_dword s16, s[4:5], 0x40
	v_lshl_or_b32 v2, s6, 9, v0
	s_mov_b32 s3, 0
	s_waitcnt lgkmcnt(0)
	v_cmp_gt_i32_e32 vcc, s7, v2
	v_mov_b32_e32 v4, 0
	s_and_saveexec_b64 s[12:13], vcc
	s_cbranch_execz .LBB16_4
; %bb.1:
	s_load_dwordx2 s[0:1], s[4:5], 0x8
	s_load_dwordx4 s[20:23], s[4:5], 0x10
	s_load_dwordx2 s[14:15], s[4:5], 0x20
	s_lshl_b32 s17, s16, 9
	v_ashrrev_i32_e32 v3, 31, v2
	v_add_u32_e32 v1, s17, v2
	s_waitcnt lgkmcnt(0)
	v_mul_lo_u32 v4, s23, v2
	v_mul_lo_u32 v5, s22, v3
	v_mad_u64_u32 v[2:3], s[4:5], s22, v2, 0
	s_mul_i32 s4, s15, s2
	s_mul_hi_u32 s5, s14, s2
	s_add_i32 s5, s5, s4
	s_mul_i32 s4, s14, s2
	s_lshl_b64 s[4:5], s[4:5], 1
	s_lshl_b64 s[14:15], s[20:21], 1
	s_add_u32 s0, s0, s14
	v_add3_u32 v3, v3, v5, v4
	s_addc_u32 s1, s1, s15
	v_lshlrev_b64 v[2:3], 1, v[2:3]
	s_add_u32 s0, s0, s4
	s_addc_u32 s1, s1, s5
	v_add_co_u32_e32 v2, vcc, s0, v2
	s_ashr_i32 s0, s17, 31
	v_mov_b32_e32 v4, s1
	s_mul_i32 s0, s22, s0
	s_mul_hi_u32 s1, s22, s17
	s_add_i32 s0, s1, s0
	s_mul_i32 s1, s23, s17
	s_add_i32 s1, s0, s1
	s_mul_i32 s0, s22, s17
	s_lshl_b64 s[14:15], s[0:1], 1
	v_addc_co_u32_e32 v3, vcc, v4, v3, vcc
	s_mov_b64 s[4:5], 0
	v_mov_b32_e32 v4, 0
	v_mov_b32_e32 v5, s15
	s_mov_b32 s15, s3
.LBB16_2:                               ; =>This Inner Loop Header: Depth=1
	global_load_ushort v6, v[2:3], off
	s_add_i32 s18, s15, 1
	v_add_co_u32_e64 v2, s[0:1], s14, v2
	v_addc_co_u32_e64 v3, s[0:1], v3, v5, s[0:1]
	s_cmp_gt_u32 s15, 6
	v_cmp_le_i32_e32 vcc, s7, v1
	s_cselect_b64 s[0:1], -1, 0
	s_or_b64 s[0:1], s[0:1], vcc
	s_and_b64 s[0:1], exec, s[0:1]
	v_add_u32_e32 v1, s17, v1
	s_mov_b32 s15, s18
	s_or_b64 s[4:5], s[0:1], s[4:5]
	s_waitcnt vmcnt(0)
	v_fma_f16 v4, v6, v6, v4
	s_andn2_b64 exec, exec, s[4:5]
	s_cbranch_execnz .LBB16_2
; %bb.3:
	s_or_b64 exec, exec, s[4:5]
.LBB16_4:
	s_or_b64 exec, exec, s[12:13]
	v_and_b32_e32 v2, 63, v0
	v_cmp_gt_u32_e32 vcc, 64, v0
	v_lshlrev_b32_e32 v1, 1, v2
	s_and_saveexec_b64 s[0:1], vcc
	s_cbranch_execz .LBB16_6
; %bb.5:
	v_mov_b32_e32 v3, 0
	ds_write_b16 v1, v3
.LBB16_6:
	s_or_b64 exec, exec, s[0:1]
	v_mbcnt_lo_u32_b32 v3, -1, 0
	v_mbcnt_hi_u32_b32 v5, -1, v3
	v_and_b32_e32 v7, 63, v5
	v_cmp_gt_u32_e64 s[0:1], 32, v7
	v_cndmask_b32_e64 v6, 0, 1, s[0:1]
	v_lshlrev_b32_e32 v6, 5, v6
	v_and_b32_e32 v3, 0xffff, v4
	v_add_lshl_u32 v6, v6, v5, 2
	ds_bpermute_b32 v3, v6, v3
	v_cmp_gt_u32_e64 s[0:1], 48, v7
	v_cndmask_b32_e64 v6, 0, 1, s[0:1]
	s_mov_b32 s4, 0xffff0000
	v_lshlrev_b32_e32 v6, 4, v6
	s_waitcnt lgkmcnt(0)
	v_add_f16_e32 v4, v4, v3
	v_and_or_b32 v3, v3, s4, v4
	v_add_lshl_u32 v6, v6, v5, 2
	ds_bpermute_b32 v3, v6, v3
	v_cmp_gt_u32_e64 s[0:1], 56, v7
	v_cndmask_b32_e64 v6, 0, 1, s[0:1]
	v_lshlrev_b32_e32 v6, 3, v6
	v_add_lshl_u32 v6, v6, v5, 2
	s_waitcnt lgkmcnt(0)
	v_add_f16_e32 v4, v4, v3
	v_and_or_b32 v3, v3, s4, v4
	ds_bpermute_b32 v3, v6, v3
	v_cmp_gt_u32_e64 s[0:1], 60, v7
	s_waitcnt lgkmcnt(0)
	s_barrier
	v_add_f16_e32 v4, v4, v3
	v_and_or_b32 v6, v3, s4, v4
	v_cndmask_b32_e64 v3, 0, 1, s[0:1]
	v_lshlrev_b32_e32 v3, 2, v3
	v_add_lshl_u32 v3, v3, v5, 2
	ds_bpermute_b32 v6, v3, v6
	v_cmp_gt_u32_e64 s[0:1], 62, v7
	s_waitcnt lgkmcnt(0)
	v_add_f16_e32 v8, v4, v6
	v_cndmask_b32_e64 v4, 0, 1, s[0:1]
	v_lshlrev_b32_e32 v4, 1, v4
	v_and_or_b32 v6, v6, s4, v8
	v_add_lshl_u32 v4, v4, v5, 2
	ds_bpermute_b32 v9, v4, v6
	v_cmp_ne_u32_e64 s[0:1], 63, v7
	v_addc_co_u32_e64 v5, s[0:1], 0, v5, s[0:1]
	v_lshlrev_b32_e32 v5, 2, v5
	s_waitcnt lgkmcnt(0)
	v_add_f16_e32 v6, v8, v9
	v_and_or_b32 v8, v9, s4, v6
	ds_bpermute_b32 v7, v5, v8
	v_cmp_eq_u32_e64 s[0:1], 0, v2
	s_and_saveexec_b64 s[4:5], s[0:1]
	s_cbranch_execz .LBB16_8
; %bb.7:
	s_waitcnt lgkmcnt(0)
	v_add_f16_e32 v2, v6, v7
	v_lshrrev_b32_e32 v6, 5, v0
	v_and_b32_e32 v6, 14, v6
	ds_write_b16 v6, v2
.LBB16_8:
	s_or_b64 exec, exec, s[4:5]
	v_cmp_gt_u32_e64 s[0:1], 8, v0
	v_mov_b32_e32 v2, 0
	s_waitcnt lgkmcnt(0)
	s_barrier
	s_and_saveexec_b64 s[4:5], s[0:1]
	s_cbranch_execnz .LBB16_12
; %bb.9:
	s_or_b64 exec, exec, s[4:5]
	s_and_saveexec_b64 s[0:1], vcc
	s_cbranch_execnz .LBB16_13
.LBB16_10:
	s_or_b64 exec, exec, s[0:1]
	v_cmp_eq_u32_e32 vcc, 0, v0
	s_and_saveexec_b64 s[0:1], vcc
	s_cbranch_execnz .LBB16_14
.LBB16_11:
	s_endpgm
.LBB16_12:
	ds_read_u16 v2, v1
	s_or_b64 exec, exec, s[4:5]
	s_and_saveexec_b64 s[0:1], vcc
	s_cbranch_execz .LBB16_10
.LBB16_13:
	s_waitcnt lgkmcnt(0)
	v_and_b32_e32 v1, 0xffff, v2
	ds_bpermute_b32 v1, v3, v1
	s_mov_b32 s4, 0xffff0000
	s_waitcnt lgkmcnt(0)
	v_add_f16_e32 v2, v2, v1
	v_and_or_b32 v1, v1, s4, v2
	ds_bpermute_b32 v1, v4, v1
	s_waitcnt lgkmcnt(0)
	v_add_f16_e32 v2, v2, v1
	v_and_or_b32 v1, v1, s4, v2
	ds_bpermute_b32 v1, v5, v1
	s_waitcnt lgkmcnt(0)
	v_add_f16_e32 v2, v2, v1
	s_or_b64 exec, exec, s[0:1]
	v_cmp_eq_u32_e32 vcc, 0, v0
	s_and_saveexec_b64 s[0:1], vcc
	s_cbranch_execz .LBB16_11
.LBB16_14:
	s_cmp_lg_u32 s16, 1
	s_cbranch_scc0 .LBB16_16
; %bb.15:
	s_mul_hi_u32 s1, s16, s2
	s_mul_i32 s0, s16, s2
	s_lshl_b64 s[0:1], s[0:1], 1
	s_mov_b32 s7, 0
	s_add_u32 s4, s8, s0
	s_addc_u32 s5, s9, s1
	s_lshl_b64 s[0:1], s[6:7], 1
	s_add_u32 s0, s4, s0
	s_addc_u32 s1, s5, s1
	s_cbranch_execz .LBB16_17
	s_branch .LBB16_18
.LBB16_16:
                                        ; implicit-def: $sgpr0_sgpr1
.LBB16_17:
	s_lshl_b64 s[0:1], s[2:3], 1
	s_add_u32 s0, s10, s0
	s_addc_u32 s1, s11, s1
.LBB16_18:
	v_mov_b32_e32 v0, 0
	s_waitcnt lgkmcnt(0)
	global_store_short v0, v2, s[0:1]
	s_endpgm
	.section	.rodata,"a",@progbits
	.p2align	6, 0x0
	.amdhsa_kernel _ZL24rocblas_dot_kernel_magsqIlLb0ELi512ELi8ELb0EDF16_PKDF16_DF16_EviT5_lT_liPT6_PT4_
		.amdhsa_group_segment_fixed_size 128
		.amdhsa_private_segment_fixed_size 0
		.amdhsa_kernarg_size 320
		.amdhsa_user_sgpr_count 6
		.amdhsa_user_sgpr_private_segment_buffer 1
		.amdhsa_user_sgpr_dispatch_ptr 0
		.amdhsa_user_sgpr_queue_ptr 0
		.amdhsa_user_sgpr_kernarg_segment_ptr 1
		.amdhsa_user_sgpr_dispatch_id 0
		.amdhsa_user_sgpr_flat_scratch_init 0
		.amdhsa_user_sgpr_kernarg_preload_length 0
		.amdhsa_user_sgpr_kernarg_preload_offset 0
		.amdhsa_user_sgpr_private_segment_size 0
		.amdhsa_uses_dynamic_stack 0
		.amdhsa_system_sgpr_private_segment_wavefront_offset 0
		.amdhsa_system_sgpr_workgroup_id_x 1
		.amdhsa_system_sgpr_workgroup_id_y 0
		.amdhsa_system_sgpr_workgroup_id_z 1
		.amdhsa_system_sgpr_workgroup_info 0
		.amdhsa_system_vgpr_workitem_id 0
		.amdhsa_next_free_vgpr 10
		.amdhsa_next_free_sgpr 24
		.amdhsa_accum_offset 12
		.amdhsa_reserve_vcc 1
		.amdhsa_reserve_flat_scratch 0
		.amdhsa_float_round_mode_32 0
		.amdhsa_float_round_mode_16_64 0
		.amdhsa_float_denorm_mode_32 3
		.amdhsa_float_denorm_mode_16_64 3
		.amdhsa_dx10_clamp 1
		.amdhsa_ieee_mode 1
		.amdhsa_fp16_overflow 0
		.amdhsa_tg_split 0
		.amdhsa_exception_fp_ieee_invalid_op 0
		.amdhsa_exception_fp_denorm_src 0
		.amdhsa_exception_fp_ieee_div_zero 0
		.amdhsa_exception_fp_ieee_overflow 0
		.amdhsa_exception_fp_ieee_underflow 0
		.amdhsa_exception_fp_ieee_inexact 0
		.amdhsa_exception_int_div_zero 0
	.end_amdhsa_kernel
	.section	.text._ZL24rocblas_dot_kernel_magsqIlLb0ELi512ELi8ELb0EDF16_PKDF16_DF16_EviT5_lT_liPT6_PT4_,"axG",@progbits,_ZL24rocblas_dot_kernel_magsqIlLb0ELi512ELi8ELb0EDF16_PKDF16_DF16_EviT5_lT_liPT6_PT4_,comdat
.Lfunc_end16:
	.size	_ZL24rocblas_dot_kernel_magsqIlLb0ELi512ELi8ELb0EDF16_PKDF16_DF16_EviT5_lT_liPT6_PT4_, .Lfunc_end16-_ZL24rocblas_dot_kernel_magsqIlLb0ELi512ELi8ELb0EDF16_PKDF16_DF16_EviT5_lT_liPT6_PT4_
                                        ; -- End function
	.section	.AMDGPU.csdata,"",@progbits
; Kernel info:
; codeLenInByte = 1000
; NumSgprs: 28
; NumVgprs: 10
; NumAgprs: 0
; TotalNumVgprs: 10
; ScratchSize: 0
; MemoryBound: 0
; FloatMode: 240
; IeeeMode: 1
; LDSByteSize: 128 bytes/workgroup (compile time only)
; SGPRBlocks: 3
; VGPRBlocks: 1
; NumSGPRsForWavesPerEU: 28
; NumVGPRsForWavesPerEU: 10
; AccumOffset: 12
; Occupancy: 8
; WaveLimiterHint : 0
; COMPUTE_PGM_RSRC2:SCRATCH_EN: 0
; COMPUTE_PGM_RSRC2:USER_SGPR: 6
; COMPUTE_PGM_RSRC2:TRAP_HANDLER: 0
; COMPUTE_PGM_RSRC2:TGID_X_EN: 1
; COMPUTE_PGM_RSRC2:TGID_Y_EN: 0
; COMPUTE_PGM_RSRC2:TGID_Z_EN: 1
; COMPUTE_PGM_RSRC2:TIDIG_COMP_CNT: 0
; COMPUTE_PGM_RSRC3_GFX90A:ACCUM_OFFSET: 2
; COMPUTE_PGM_RSRC3_GFX90A:TG_SPLIT: 0
	.section	.text._ZL28rocblas_dot_batched_4_kernelIiLi32ELi4ELb0Ef16rocblas_bfloat16PKS0_EviT5_lT_lS3_lS4_liPT4_,"axG",@progbits,_ZL28rocblas_dot_batched_4_kernelIiLi32ELi4ELb0Ef16rocblas_bfloat16PKS0_EviT5_lT_lS3_lS4_liPT4_,comdat
	.globl	_ZL28rocblas_dot_batched_4_kernelIiLi32ELi4ELb0Ef16rocblas_bfloat16PKS0_EviT5_lT_lS3_lS4_liPT4_ ; -- Begin function _ZL28rocblas_dot_batched_4_kernelIiLi32ELi4ELb0Ef16rocblas_bfloat16PKS0_EviT5_lT_lS3_lS4_liPT4_
	.p2align	8
	.type	_ZL28rocblas_dot_batched_4_kernelIiLi32ELi4ELb0Ef16rocblas_bfloat16PKS0_EviT5_lT_lS3_lS4_liPT4_,@function
_ZL28rocblas_dot_batched_4_kernelIiLi32ELi4ELb0Ef16rocblas_bfloat16PKS0_EviT5_lT_lS3_lS4_liPT4_: ; @_ZL28rocblas_dot_batched_4_kernelIiLi32ELi4ELb0Ef16rocblas_bfloat16PKS0_EviT5_lT_lS3_lS4_liPT4_
; %bb.0:
	s_load_dword s0, s[4:5], 0x48
	v_bfe_u32 v1, v0, 10, 10
	v_lshl_add_u32 v2, s6, 2, v1
	s_waitcnt lgkmcnt(0)
	v_cmp_gt_u32_e32 vcc, s0, v2
	s_and_saveexec_b64 s[0:1], vcc
	s_cbranch_execz .LBB17_11
; %bb.1:
	s_load_dword s10, s[4:5], 0x0
	s_load_dwordx2 s[0:1], s[4:5], 0x50
	v_mov_b32_e32 v3, 0
	v_and_b32_e32 v6, 0x3ff, v0
	v_mov_b32_e32 v7, v3
	s_waitcnt lgkmcnt(0)
	v_cmp_gt_i32_e32 vcc, s10, v6
	s_and_saveexec_b64 s[2:3], vcc
	s_cbranch_execz .LBB17_5
; %bb.2:
	s_load_dwordx4 s[12:15], s[4:5], 0x8
	s_load_dword s6, s[4:5], 0x18
	s_load_dword s8, s[4:5], 0x38
	s_load_dwordx4 s[16:19], s[4:5], 0x20
	s_load_dwordx2 s[20:21], s[4:5], 0x30
	s_load_dwordx2 s[22:23], s[4:5], 0x40
	s_waitcnt lgkmcnt(0)
	v_mad_i64_i32 v[0:1], s[4:5], s6, v6, 0
	v_mad_u64_u32 v[4:5], s[4:5], s16, v2, 0
	v_mov_b32_e32 v8, v5
	v_mad_u64_u32 v[8:9], s[4:5], s17, v2, v[8:9]
	v_mov_b32_e32 v5, v8
	s_ashr_i32 s7, s6, 31
	s_ashr_i32 s9, s8, 31
	v_lshlrev_b64 v[0:1], 1, v[0:1]
	v_lshlrev_b64 v[4:5], 1, v[4:5]
	s_lshl_b64 s[4:5], s[14:15], 1
	v_add_co_u32_e32 v0, vcc, v0, v4
	s_add_u32 s4, s12, s4
	v_addc_co_u32_e32 v1, vcc, v1, v5, vcc
	s_addc_u32 s5, s13, s5
	v_mov_b32_e32 v4, s5
	v_add_co_u32_e32 v0, vcc, s4, v0
	s_lshl_b64 s[4:5], s[6:7], 6
	v_mad_u64_u32 v[8:9], s[6:7], s22, v2, 0
	v_mov_b32_e32 v10, v9
	v_mad_u64_u32 v[10:11], s[6:7], s23, v2, v[10:11]
	v_addc_co_u32_e32 v1, vcc, v4, v1, vcc
	v_mad_i64_i32 v[4:5], s[6:7], s8, v6, 0
	v_mov_b32_e32 v9, v10
	v_lshlrev_b64 v[4:5], 1, v[4:5]
	v_lshlrev_b64 v[8:9], 1, v[8:9]
	s_lshl_b64 s[6:7], s[20:21], 1
	v_add_co_u32_e32 v4, vcc, v4, v8
	s_add_u32 s6, s18, s6
	v_addc_co_u32_e32 v5, vcc, v5, v9, vcc
	s_addc_u32 s7, s19, s7
	v_mov_b32_e32 v7, s7
	v_add_co_u32_e32 v4, vcc, s6, v4
	s_lshl_b64 s[8:9], s[8:9], 6
	v_addc_co_u32_e32 v5, vcc, v7, v5, vcc
	s_mov_b64 s[6:7], 0
	v_mov_b32_e32 v7, 0
	v_mov_b32_e32 v8, s5
	;; [unrolled: 1-line block ×4, first 2 shown]
.LBB17_3:                               ; =>This Inner Loop Header: Depth=1
	global_load_ushort v11, v[0:1], off
	global_load_ushort v12, v[4:5], off
	v_add_co_u32_e32 v0, vcc, s4, v0
	v_addc_co_u32_e32 v1, vcc, v1, v8, vcc
	v_add_co_u32_e32 v4, vcc, s8, v4
	v_add_u32_e32 v10, 32, v10
	v_addc_co_u32_e32 v5, vcc, v5, v9, vcc
	v_cmp_le_i32_e32 vcc, s10, v10
	s_or_b64 s[6:7], vcc, s[6:7]
	s_waitcnt vmcnt(1)
	v_lshlrev_b32_e32 v11, 16, v11
	s_waitcnt vmcnt(0)
	v_lshlrev_b32_e32 v12, 16, v12
	v_fmac_f32_e32 v7, v12, v11
	s_andn2_b64 exec, exec, s[6:7]
	s_cbranch_execnz .LBB17_3
; %bb.4:
	s_or_b64 exec, exec, s[6:7]
.LBB17_5:
	s_or_b64 exec, exec, s[2:3]
	v_mbcnt_lo_u32_b32 v0, -1, 0
	v_mbcnt_hi_u32_b32 v0, -1, v0
	v_and_b32_e32 v1, 63, v0
	v_cmp_gt_u32_e32 vcc, 48, v1
	v_cndmask_b32_e64 v4, 0, 1, vcc
	v_lshlrev_b32_e32 v4, 4, v4
	v_add_lshl_u32 v4, v4, v0, 2
	ds_bpermute_b32 v4, v4, v7
	v_cmp_gt_u32_e32 vcc, 56, v1
	v_cndmask_b32_e64 v5, 0, 1, vcc
	v_lshlrev_b32_e32 v5, 3, v5
	v_add_lshl_u32 v5, v5, v0, 2
	s_waitcnt lgkmcnt(0)
	v_add_f32_e32 v4, v7, v4
	ds_bpermute_b32 v5, v5, v4
	v_cmp_gt_u32_e32 vcc, 60, v1
	v_cndmask_b32_e64 v7, 0, 1, vcc
	v_lshlrev_b32_e32 v7, 2, v7
	v_cmp_gt_u32_e32 vcc, 62, v1
	s_waitcnt lgkmcnt(0)
	v_add_f32_e32 v4, v4, v5
	v_add_lshl_u32 v5, v7, v0, 2
	ds_bpermute_b32 v5, v5, v4
	v_cndmask_b32_e64 v7, 0, 1, vcc
	v_lshlrev_b32_e32 v7, 1, v7
	v_cmp_ne_u32_e32 vcc, 63, v1
	v_addc_co_u32_e32 v1, vcc, 0, v0, vcc
	s_waitcnt lgkmcnt(0)
	v_add_f32_e32 v4, v4, v5
	v_add_lshl_u32 v5, v7, v0, 2
	ds_bpermute_b32 v5, v5, v4
	v_lshlrev_b32_e32 v1, 2, v1
	v_cmp_eq_u32_e32 vcc, 0, v6
	s_waitcnt lgkmcnt(0)
	s_barrier
	v_add_f32_e32 v0, v4, v5
	ds_bpermute_b32 v1, v1, v0
	s_waitcnt lgkmcnt(0)
	s_and_b64 exec, exec, vcc
	s_cbranch_execz .LBB17_11
; %bb.6:
	v_add_f32_e32 v1, v0, v1
	s_mov_b32 s2, 0x7f800000
	v_and_b32_e32 v0, 0x7f800000, v1
	v_cmp_ne_u32_e32 vcc, s2, v0
                                        ; implicit-def: $vgpr0
	s_and_saveexec_b64 s[2:3], vcc
	s_xor_b64 s[2:3], exec, s[2:3]
; %bb.7:
	v_bfe_u32 v0, v1, 16, 1
	s_movk_i32 s4, 0x7fff
	v_add3_u32 v0, v1, v0, s4
                                        ; implicit-def: $vgpr1
; %bb.8:
	s_andn2_saveexec_b64 s[2:3], s[2:3]
; %bb.9:
	v_mov_b32_e32 v0, 0
	v_or_b32_e32 v4, 0x10000, v1
	v_cmp_eq_u32_sdwa vcc, v1, v0 src0_sel:WORD_0 src1_sel:DWORD
	v_cndmask_b32_e32 v0, v4, v1, vcc
; %bb.10:
	s_or_b64 exec, exec, s[2:3]
	v_lshlrev_b64 v[2:3], 1, v[2:3]
	v_mov_b32_e32 v1, s1
	v_add_co_u32_e32 v2, vcc, s0, v2
	v_addc_co_u32_e32 v3, vcc, v1, v3, vcc
	global_store_short_d16_hi v[2:3], v0, off
.LBB17_11:
	s_endpgm
	.section	.rodata,"a",@progbits
	.p2align	6, 0x0
	.amdhsa_kernel _ZL28rocblas_dot_batched_4_kernelIiLi32ELi4ELb0Ef16rocblas_bfloat16PKS0_EviT5_lT_lS3_lS4_liPT4_
		.amdhsa_group_segment_fixed_size 0
		.amdhsa_private_segment_fixed_size 0
		.amdhsa_kernarg_size 88
		.amdhsa_user_sgpr_count 6
		.amdhsa_user_sgpr_private_segment_buffer 1
		.amdhsa_user_sgpr_dispatch_ptr 0
		.amdhsa_user_sgpr_queue_ptr 0
		.amdhsa_user_sgpr_kernarg_segment_ptr 1
		.amdhsa_user_sgpr_dispatch_id 0
		.amdhsa_user_sgpr_flat_scratch_init 0
		.amdhsa_user_sgpr_kernarg_preload_length 0
		.amdhsa_user_sgpr_kernarg_preload_offset 0
		.amdhsa_user_sgpr_private_segment_size 0
		.amdhsa_uses_dynamic_stack 0
		.amdhsa_system_sgpr_private_segment_wavefront_offset 0
		.amdhsa_system_sgpr_workgroup_id_x 1
		.amdhsa_system_sgpr_workgroup_id_y 0
		.amdhsa_system_sgpr_workgroup_id_z 0
		.amdhsa_system_sgpr_workgroup_info 0
		.amdhsa_system_vgpr_workitem_id 1
		.amdhsa_next_free_vgpr 13
		.amdhsa_next_free_sgpr 24
		.amdhsa_accum_offset 16
		.amdhsa_reserve_vcc 1
		.amdhsa_reserve_flat_scratch 0
		.amdhsa_float_round_mode_32 0
		.amdhsa_float_round_mode_16_64 0
		.amdhsa_float_denorm_mode_32 3
		.amdhsa_float_denorm_mode_16_64 3
		.amdhsa_dx10_clamp 1
		.amdhsa_ieee_mode 1
		.amdhsa_fp16_overflow 0
		.amdhsa_tg_split 0
		.amdhsa_exception_fp_ieee_invalid_op 0
		.amdhsa_exception_fp_denorm_src 0
		.amdhsa_exception_fp_ieee_div_zero 0
		.amdhsa_exception_fp_ieee_overflow 0
		.amdhsa_exception_fp_ieee_underflow 0
		.amdhsa_exception_fp_ieee_inexact 0
		.amdhsa_exception_int_div_zero 0
	.end_amdhsa_kernel
	.section	.text._ZL28rocblas_dot_batched_4_kernelIiLi32ELi4ELb0Ef16rocblas_bfloat16PKS0_EviT5_lT_lS3_lS4_liPT4_,"axG",@progbits,_ZL28rocblas_dot_batched_4_kernelIiLi32ELi4ELb0Ef16rocblas_bfloat16PKS0_EviT5_lT_lS3_lS4_liPT4_,comdat
.Lfunc_end17:
	.size	_ZL28rocblas_dot_batched_4_kernelIiLi32ELi4ELb0Ef16rocblas_bfloat16PKS0_EviT5_lT_lS3_lS4_liPT4_, .Lfunc_end17-_ZL28rocblas_dot_batched_4_kernelIiLi32ELi4ELb0Ef16rocblas_bfloat16PKS0_EviT5_lT_lS3_lS4_liPT4_
                                        ; -- End function
	.section	.AMDGPU.csdata,"",@progbits
; Kernel info:
; codeLenInByte = 752
; NumSgprs: 28
; NumVgprs: 13
; NumAgprs: 0
; TotalNumVgprs: 13
; ScratchSize: 0
; MemoryBound: 0
; FloatMode: 240
; IeeeMode: 1
; LDSByteSize: 0 bytes/workgroup (compile time only)
; SGPRBlocks: 3
; VGPRBlocks: 1
; NumSGPRsForWavesPerEU: 28
; NumVGPRsForWavesPerEU: 13
; AccumOffset: 16
; Occupancy: 8
; WaveLimiterHint : 0
; COMPUTE_PGM_RSRC2:SCRATCH_EN: 0
; COMPUTE_PGM_RSRC2:USER_SGPR: 6
; COMPUTE_PGM_RSRC2:TRAP_HANDLER: 0
; COMPUTE_PGM_RSRC2:TGID_X_EN: 1
; COMPUTE_PGM_RSRC2:TGID_Y_EN: 0
; COMPUTE_PGM_RSRC2:TGID_Z_EN: 0
; COMPUTE_PGM_RSRC2:TIDIG_COMP_CNT: 1
; COMPUTE_PGM_RSRC3_GFX90A:ACCUM_OFFSET: 3
; COMPUTE_PGM_RSRC3_GFX90A:TG_SPLIT: 0
	.section	.text._ZL28rocblas_dot_batched_4_kernelIiLi64ELi4ELb0Ef16rocblas_bfloat16PKS0_EviT5_lT_lS3_lS4_liPT4_,"axG",@progbits,_ZL28rocblas_dot_batched_4_kernelIiLi64ELi4ELb0Ef16rocblas_bfloat16PKS0_EviT5_lT_lS3_lS4_liPT4_,comdat
	.globl	_ZL28rocblas_dot_batched_4_kernelIiLi64ELi4ELb0Ef16rocblas_bfloat16PKS0_EviT5_lT_lS3_lS4_liPT4_ ; -- Begin function _ZL28rocblas_dot_batched_4_kernelIiLi64ELi4ELb0Ef16rocblas_bfloat16PKS0_EviT5_lT_lS3_lS4_liPT4_
	.p2align	8
	.type	_ZL28rocblas_dot_batched_4_kernelIiLi64ELi4ELb0Ef16rocblas_bfloat16PKS0_EviT5_lT_lS3_lS4_liPT4_,@function
_ZL28rocblas_dot_batched_4_kernelIiLi64ELi4ELb0Ef16rocblas_bfloat16PKS0_EviT5_lT_lS3_lS4_liPT4_: ; @_ZL28rocblas_dot_batched_4_kernelIiLi64ELi4ELb0Ef16rocblas_bfloat16PKS0_EviT5_lT_lS3_lS4_liPT4_
; %bb.0:
	s_load_dword s0, s[4:5], 0x48
	v_bfe_u32 v1, v0, 10, 10
	v_lshl_add_u32 v2, s6, 2, v1
	s_waitcnt lgkmcnt(0)
	v_cmp_gt_u32_e32 vcc, s0, v2
	s_and_saveexec_b64 s[0:1], vcc
	s_cbranch_execz .LBB18_11
; %bb.1:
	s_load_dword s10, s[4:5], 0x0
	s_load_dwordx2 s[0:1], s[4:5], 0x50
	v_mov_b32_e32 v3, 0
	v_and_b32_e32 v6, 0x3ff, v0
	v_mov_b32_e32 v7, v3
	s_waitcnt lgkmcnt(0)
	v_cmp_gt_i32_e32 vcc, s10, v6
	s_and_saveexec_b64 s[2:3], vcc
	s_cbranch_execz .LBB18_5
; %bb.2:
	s_load_dwordx4 s[12:15], s[4:5], 0x8
	s_load_dword s6, s[4:5], 0x18
	s_load_dword s8, s[4:5], 0x38
	s_load_dwordx4 s[16:19], s[4:5], 0x20
	s_load_dwordx2 s[20:21], s[4:5], 0x30
	s_load_dwordx2 s[22:23], s[4:5], 0x40
	s_waitcnt lgkmcnt(0)
	v_mad_i64_i32 v[0:1], s[4:5], s6, v6, 0
	v_mad_u64_u32 v[4:5], s[4:5], s16, v2, 0
	v_mov_b32_e32 v8, v5
	v_mad_u64_u32 v[8:9], s[4:5], s17, v2, v[8:9]
	v_mov_b32_e32 v5, v8
	s_ashr_i32 s7, s6, 31
	s_ashr_i32 s9, s8, 31
	v_lshlrev_b64 v[0:1], 1, v[0:1]
	v_lshlrev_b64 v[4:5], 1, v[4:5]
	s_lshl_b64 s[4:5], s[14:15], 1
	v_add_co_u32_e32 v0, vcc, v0, v4
	s_add_u32 s4, s12, s4
	v_addc_co_u32_e32 v1, vcc, v1, v5, vcc
	s_addc_u32 s5, s13, s5
	v_mov_b32_e32 v4, s5
	v_add_co_u32_e32 v0, vcc, s4, v0
	s_lshl_b64 s[4:5], s[6:7], 7
	v_mad_u64_u32 v[8:9], s[6:7], s22, v2, 0
	v_mov_b32_e32 v10, v9
	v_mad_u64_u32 v[10:11], s[6:7], s23, v2, v[10:11]
	v_addc_co_u32_e32 v1, vcc, v4, v1, vcc
	v_mad_i64_i32 v[4:5], s[6:7], s8, v6, 0
	v_mov_b32_e32 v9, v10
	v_lshlrev_b64 v[4:5], 1, v[4:5]
	v_lshlrev_b64 v[8:9], 1, v[8:9]
	s_lshl_b64 s[6:7], s[20:21], 1
	v_add_co_u32_e32 v4, vcc, v4, v8
	s_add_u32 s6, s18, s6
	v_addc_co_u32_e32 v5, vcc, v5, v9, vcc
	s_addc_u32 s7, s19, s7
	v_mov_b32_e32 v7, s7
	v_add_co_u32_e32 v4, vcc, s6, v4
	s_lshl_b64 s[8:9], s[8:9], 7
	v_addc_co_u32_e32 v5, vcc, v7, v5, vcc
	s_mov_b64 s[6:7], 0
	v_mov_b32_e32 v7, 0
	v_mov_b32_e32 v8, s5
	v_mov_b32_e32 v9, s9
	v_mov_b32_e32 v10, v6
.LBB18_3:                               ; =>This Inner Loop Header: Depth=1
	global_load_ushort v11, v[0:1], off
	global_load_ushort v12, v[4:5], off
	v_add_co_u32_e32 v0, vcc, s4, v0
	v_addc_co_u32_e32 v1, vcc, v1, v8, vcc
	v_add_co_u32_e32 v4, vcc, s8, v4
	v_add_u32_e32 v10, 64, v10
	v_addc_co_u32_e32 v5, vcc, v5, v9, vcc
	v_cmp_le_i32_e32 vcc, s10, v10
	s_or_b64 s[6:7], vcc, s[6:7]
	s_waitcnt vmcnt(1)
	v_lshlrev_b32_e32 v11, 16, v11
	s_waitcnt vmcnt(0)
	v_lshlrev_b32_e32 v12, 16, v12
	v_fmac_f32_e32 v7, v12, v11
	s_andn2_b64 exec, exec, s[6:7]
	s_cbranch_execnz .LBB18_3
; %bb.4:
	s_or_b64 exec, exec, s[6:7]
.LBB18_5:
	s_or_b64 exec, exec, s[2:3]
	v_mbcnt_lo_u32_b32 v0, -1, 0
	v_mbcnt_hi_u32_b32 v0, -1, v0
	v_and_b32_e32 v1, 63, v0
	v_cmp_gt_u32_e32 vcc, 32, v1
	v_cndmask_b32_e64 v4, 0, 1, vcc
	v_lshlrev_b32_e32 v4, 5, v4
	v_add_lshl_u32 v4, v4, v0, 2
	ds_bpermute_b32 v4, v4, v7
	v_cmp_gt_u32_e32 vcc, 48, v1
	v_cndmask_b32_e64 v5, 0, 1, vcc
	v_lshlrev_b32_e32 v5, 4, v5
	v_add_lshl_u32 v5, v5, v0, 2
	s_waitcnt lgkmcnt(0)
	v_add_f32_e32 v4, v7, v4
	ds_bpermute_b32 v5, v5, v4
	v_cmp_gt_u32_e32 vcc, 56, v1
	v_cndmask_b32_e64 v7, 0, 1, vcc
	v_lshlrev_b32_e32 v7, 3, v7
	v_cmp_gt_u32_e32 vcc, 60, v1
	s_waitcnt lgkmcnt(0)
	v_add_f32_e32 v4, v4, v5
	v_add_lshl_u32 v5, v7, v0, 2
	ds_bpermute_b32 v5, v5, v4
	v_cndmask_b32_e64 v7, 0, 1, vcc
	v_lshlrev_b32_e32 v7, 2, v7
	v_cmp_gt_u32_e32 vcc, 62, v1
	s_waitcnt lgkmcnt(0)
	v_add_f32_e32 v4, v4, v5
	v_add_lshl_u32 v5, v7, v0, 2
	ds_bpermute_b32 v5, v5, v4
	v_cndmask_b32_e64 v7, 0, 1, vcc
	v_lshlrev_b32_e32 v7, 1, v7
	v_cmp_ne_u32_e32 vcc, 63, v1
	v_addc_co_u32_e32 v1, vcc, 0, v0, vcc
	s_waitcnt lgkmcnt(0)
	v_add_f32_e32 v4, v4, v5
	v_add_lshl_u32 v5, v7, v0, 2
	ds_bpermute_b32 v5, v5, v4
	v_lshlrev_b32_e32 v1, 2, v1
	v_cmp_eq_u32_e32 vcc, 0, v6
	s_barrier
	s_waitcnt lgkmcnt(0)
	v_add_f32_e32 v0, v4, v5
	ds_bpermute_b32 v1, v1, v0
	s_and_b64 exec, exec, vcc
	s_cbranch_execz .LBB18_11
; %bb.6:
	s_waitcnt lgkmcnt(0)
	v_add_f32_e32 v1, v0, v1
	s_mov_b32 s2, 0x7f800000
	v_and_b32_e32 v0, 0x7f800000, v1
	v_cmp_ne_u32_e32 vcc, s2, v0
                                        ; implicit-def: $vgpr0
	s_and_saveexec_b64 s[2:3], vcc
	s_xor_b64 s[2:3], exec, s[2:3]
; %bb.7:
	v_bfe_u32 v0, v1, 16, 1
	s_movk_i32 s4, 0x7fff
	v_add3_u32 v0, v1, v0, s4
                                        ; implicit-def: $vgpr1
; %bb.8:
	s_andn2_saveexec_b64 s[2:3], s[2:3]
; %bb.9:
	v_mov_b32_e32 v0, 0
	v_or_b32_e32 v4, 0x10000, v1
	v_cmp_eq_u32_sdwa vcc, v1, v0 src0_sel:WORD_0 src1_sel:DWORD
	v_cndmask_b32_e32 v0, v4, v1, vcc
; %bb.10:
	s_or_b64 exec, exec, s[2:3]
	v_lshlrev_b64 v[2:3], 1, v[2:3]
	v_mov_b32_e32 v1, s1
	v_add_co_u32_e32 v2, vcc, s0, v2
	v_addc_co_u32_e32 v3, vcc, v1, v3, vcc
	global_store_short_d16_hi v[2:3], v0, off
.LBB18_11:
	s_endpgm
	.section	.rodata,"a",@progbits
	.p2align	6, 0x0
	.amdhsa_kernel _ZL28rocblas_dot_batched_4_kernelIiLi64ELi4ELb0Ef16rocblas_bfloat16PKS0_EviT5_lT_lS3_lS4_liPT4_
		.amdhsa_group_segment_fixed_size 0
		.amdhsa_private_segment_fixed_size 0
		.amdhsa_kernarg_size 88
		.amdhsa_user_sgpr_count 6
		.amdhsa_user_sgpr_private_segment_buffer 1
		.amdhsa_user_sgpr_dispatch_ptr 0
		.amdhsa_user_sgpr_queue_ptr 0
		.amdhsa_user_sgpr_kernarg_segment_ptr 1
		.amdhsa_user_sgpr_dispatch_id 0
		.amdhsa_user_sgpr_flat_scratch_init 0
		.amdhsa_user_sgpr_kernarg_preload_length 0
		.amdhsa_user_sgpr_kernarg_preload_offset 0
		.amdhsa_user_sgpr_private_segment_size 0
		.amdhsa_uses_dynamic_stack 0
		.amdhsa_system_sgpr_private_segment_wavefront_offset 0
		.amdhsa_system_sgpr_workgroup_id_x 1
		.amdhsa_system_sgpr_workgroup_id_y 0
		.amdhsa_system_sgpr_workgroup_id_z 0
		.amdhsa_system_sgpr_workgroup_info 0
		.amdhsa_system_vgpr_workitem_id 1
		.amdhsa_next_free_vgpr 13
		.amdhsa_next_free_sgpr 24
		.amdhsa_accum_offset 16
		.amdhsa_reserve_vcc 1
		.amdhsa_reserve_flat_scratch 0
		.amdhsa_float_round_mode_32 0
		.amdhsa_float_round_mode_16_64 0
		.amdhsa_float_denorm_mode_32 3
		.amdhsa_float_denorm_mode_16_64 3
		.amdhsa_dx10_clamp 1
		.amdhsa_ieee_mode 1
		.amdhsa_fp16_overflow 0
		.amdhsa_tg_split 0
		.amdhsa_exception_fp_ieee_invalid_op 0
		.amdhsa_exception_fp_denorm_src 0
		.amdhsa_exception_fp_ieee_div_zero 0
		.amdhsa_exception_fp_ieee_overflow 0
		.amdhsa_exception_fp_ieee_underflow 0
		.amdhsa_exception_fp_ieee_inexact 0
		.amdhsa_exception_int_div_zero 0
	.end_amdhsa_kernel
	.section	.text._ZL28rocblas_dot_batched_4_kernelIiLi64ELi4ELb0Ef16rocblas_bfloat16PKS0_EviT5_lT_lS3_lS4_liPT4_,"axG",@progbits,_ZL28rocblas_dot_batched_4_kernelIiLi64ELi4ELb0Ef16rocblas_bfloat16PKS0_EviT5_lT_lS3_lS4_liPT4_,comdat
.Lfunc_end18:
	.size	_ZL28rocblas_dot_batched_4_kernelIiLi64ELi4ELb0Ef16rocblas_bfloat16PKS0_EviT5_lT_lS3_lS4_liPT4_, .Lfunc_end18-_ZL28rocblas_dot_batched_4_kernelIiLi64ELi4ELb0Ef16rocblas_bfloat16PKS0_EviT5_lT_lS3_lS4_liPT4_
                                        ; -- End function
	.section	.AMDGPU.csdata,"",@progbits
; Kernel info:
; codeLenInByte = 792
; NumSgprs: 28
; NumVgprs: 13
; NumAgprs: 0
; TotalNumVgprs: 13
; ScratchSize: 0
; MemoryBound: 0
; FloatMode: 240
; IeeeMode: 1
; LDSByteSize: 0 bytes/workgroup (compile time only)
; SGPRBlocks: 3
; VGPRBlocks: 1
; NumSGPRsForWavesPerEU: 28
; NumVGPRsForWavesPerEU: 13
; AccumOffset: 16
; Occupancy: 8
; WaveLimiterHint : 0
; COMPUTE_PGM_RSRC2:SCRATCH_EN: 0
; COMPUTE_PGM_RSRC2:USER_SGPR: 6
; COMPUTE_PGM_RSRC2:TRAP_HANDLER: 0
; COMPUTE_PGM_RSRC2:TGID_X_EN: 1
; COMPUTE_PGM_RSRC2:TGID_Y_EN: 0
; COMPUTE_PGM_RSRC2:TGID_Z_EN: 0
; COMPUTE_PGM_RSRC2:TIDIG_COMP_CNT: 1
; COMPUTE_PGM_RSRC3_GFX90A:ACCUM_OFFSET: 3
; COMPUTE_PGM_RSRC3_GFX90A:TG_SPLIT: 0
	.section	.text._ZL26rocblas_dot_kernel_inc1by2ILb1ELi1024ELi32ELb0E16rocblas_bfloat16PKS0_fEviT4_llS3_lliPT5_PT3_,"axG",@progbits,_ZL26rocblas_dot_kernel_inc1by2ILb1ELi1024ELi32ELb0E16rocblas_bfloat16PKS0_fEviT4_llS3_lliPT5_PT3_,comdat
	.globl	_ZL26rocblas_dot_kernel_inc1by2ILb1ELi1024ELi32ELb0E16rocblas_bfloat16PKS0_fEviT4_llS3_lliPT5_PT3_ ; -- Begin function _ZL26rocblas_dot_kernel_inc1by2ILb1ELi1024ELi32ELb0E16rocblas_bfloat16PKS0_fEviT4_llS3_lliPT5_PT3_
	.p2align	8
	.type	_ZL26rocblas_dot_kernel_inc1by2ILb1ELi1024ELi32ELb0E16rocblas_bfloat16PKS0_fEviT4_llS3_lliPT5_PT3_,@function
_ZL26rocblas_dot_kernel_inc1by2ILb1ELi1024ELi32ELb0E16rocblas_bfloat16PKS0_fEviT4_llS3_lliPT5_PT3_: ; @_ZL26rocblas_dot_kernel_inc1by2ILb1ELi1024ELi32ELb0E16rocblas_bfloat16PKS0_fEviT4_llS3_lliPT5_PT3_
; %bb.0:
	s_mov_b32 s2, s7
	s_load_dword s24, s[4:5], 0x0
	s_load_dwordx2 s[18:19], s[4:5], 0x8
	s_load_dwordx4 s[12:15], s[4:5], 0x10
	s_load_dwordx2 s[16:17], s[4:5], 0x20
	s_load_dwordx2 s[6:7], s[4:5], 0x48
	s_load_dwordx4 s[8:11], s[4:5], 0x28
	v_lshlrev_b32_e32 v6, 1, v0
	s_waitcnt lgkmcnt(0)
	s_mul_i32 s0, s2, s15
	s_mul_hi_u32 s1, s2, s14
	s_add_i32 s15, s1, s0
	s_mul_i32 s0, s2, s11
	s_mul_hi_u32 s1, s2, s10
	s_add_i32 s4, s24, -1
	s_mov_b32 s3, 0
	s_mul_i32 s14, s2, s14
	s_add_i32 s11, s1, s0
	s_mul_i32 s10, s2, s10
	v_cmp_gt_i32_e32 vcc, s4, v6
	v_mov_b32_e32 v1, 0
	s_and_saveexec_b64 s[20:21], vcc
	s_cbranch_execz .LBB19_4
; %bb.1:
	s_lshl_b64 s[0:1], s[10:11], 1
	s_lshl_b64 s[22:23], s[8:9], 1
	s_add_u32 s5, s16, s22
	s_addc_u32 s22, s17, s23
	s_add_u32 s0, s5, s0
	v_lshlrev_b32_e32 v4, 2, v0
	s_addc_u32 s1, s22, s1
	v_mov_b32_e32 v3, s1
	v_add_co_u32_e32 v2, vcc, s0, v4
	s_lshl_b64 s[0:1], s[14:15], 1
	s_lshl_b64 s[22:23], s[12:13], 1
	s_add_u32 s5, s18, s22
	s_addc_u32 s22, s19, s23
	s_add_u32 s0, s5, s0
	v_addc_co_u32_e32 v3, vcc, 0, v3, vcc
	s_addc_u32 s1, s22, s1
	v_mov_b32_e32 v5, s1
	v_add_co_u32_e32 v4, vcc, s0, v4
	v_mov_b32_e32 v1, 0
	v_addc_co_u32_e32 v5, vcc, 0, v5, vcc
	s_mov_b64 s[22:23], 0
	s_mov_b32 s5, s3
.LBB19_2:                               ; =>This Inner Loop Header: Depth=1
	global_load_dword v7, v[2:3], off
	global_load_dword v10, v[4:5], off
	s_add_i32 s25, s5, 1
	v_add_u32_e32 v6, 0x800, v6
	s_cmp_gt_u32 s5, 30
	v_add_co_u32_e32 v2, vcc, 0x1000, v2
	v_cmp_le_i32_e64 s[0:1], s4, v6
	s_cselect_b64 s[26:27], -1, 0
	v_addc_co_u32_e32 v3, vcc, 0, v3, vcc
	s_or_b64 s[0:1], s[26:27], s[0:1]
	v_add_co_u32_e32 v4, vcc, 0x1000, v4
	s_and_b64 s[0:1], exec, s[0:1]
	s_mov_b32 s5, s25
	v_addc_co_u32_e32 v5, vcc, 0, v5, vcc
	s_or_b64 s[22:23], s[0:1], s[22:23]
	s_waitcnt vmcnt(1)
	v_and_b32_e32 v9, 0xffff0000, v7
	v_lshlrev_b32_e32 v8, 16, v7
	s_waitcnt vmcnt(0)
	v_and_b32_e32 v11, 0xffff0000, v10
	v_lshlrev_b32_e32 v10, 16, v10
	v_pk_mul_f32 v[8:9], v[8:9], v[10:11]
	v_add_f32_e32 v1, v1, v8
	v_add_f32_e32 v1, v1, v9
	s_andn2_b64 exec, exec, s[22:23]
	s_cbranch_execnz .LBB19_2
; %bb.3:
	s_or_b64 exec, exec, s[22:23]
.LBB19_4:
	s_or_b64 exec, exec, s[20:21]
	s_bitcmp1_b32 s24, 0
	s_cselect_b64 s[0:1], -1, 0
	v_cmp_eq_u32_e32 vcc, s4, v6
	s_and_b64 s[20:21], s[0:1], vcc
	s_and_saveexec_b64 s[0:1], s[20:21]
	s_cbranch_execz .LBB19_6
; %bb.5:
	s_lshl_b64 s[14:15], s[14:15], 1
	s_add_u32 s5, s18, s14
	s_addc_u32 s14, s19, s15
	s_lshl_b64 s[12:13], s[12:13], 1
	s_add_u32 s12, s5, s12
	s_addc_u32 s13, s14, s13
	;; [unrolled: 3-line block ×3, first 2 shown]
	s_lshl_b64 s[8:9], s[8:9], 1
	s_add_u32 s8, s5, s8
	s_mov_b32 s5, 0
	s_addc_u32 s9, s10, s9
	s_lshl_b64 s[4:5], s[4:5], 1
	s_add_u32 s8, s8, s4
	s_addc_u32 s9, s9, s5
	v_mov_b32_e32 v2, 0
	s_add_u32 s4, s12, s4
	s_addc_u32 s5, s13, s5
	global_load_ushort v3, v2, s[8:9]
	global_load_ushort v4, v2, s[4:5]
	s_waitcnt vmcnt(1)
	v_lshlrev_b32_e32 v2, 16, v3
	s_waitcnt vmcnt(0)
	v_lshlrev_b32_e32 v3, 16, v4
	v_fmac_f32_e32 v1, v3, v2
.LBB19_6:
	s_or_b64 exec, exec, s[0:1]
	v_and_b32_e32 v3, 63, v0
	v_cmp_gt_u32_e32 vcc, 64, v0
	v_lshlrev_b32_e32 v2, 2, v3
	s_and_saveexec_b64 s[0:1], vcc
	s_cbranch_execz .LBB19_8
; %bb.7:
	v_mov_b32_e32 v4, 0
	ds_write_b32 v2, v4
.LBB19_8:
	s_or_b64 exec, exec, s[0:1]
	v_mbcnt_lo_u32_b32 v4, -1, 0
	v_mbcnt_hi_u32_b32 v6, -1, v4
	v_and_b32_e32 v7, 63, v6
	v_cmp_gt_u32_e64 s[0:1], 32, v7
	v_cndmask_b32_e64 v4, 0, 1, s[0:1]
	v_lshlrev_b32_e32 v4, 5, v4
	v_add_lshl_u32 v4, v4, v6, 2
	ds_bpermute_b32 v4, v4, v1
	v_cmp_gt_u32_e64 s[0:1], 48, v7
	v_cndmask_b32_e64 v5, 0, 1, s[0:1]
	v_lshlrev_b32_e32 v5, 4, v5
	v_cmp_gt_u32_e64 s[0:1], 56, v7
	s_waitcnt lgkmcnt(0)
	v_add_f32_e32 v1, v1, v4
	v_add_lshl_u32 v4, v5, v6, 2
	ds_bpermute_b32 v4, v4, v1
	v_cndmask_b32_e64 v5, 0, 1, s[0:1]
	v_lshlrev_b32_e32 v5, 3, v5
	v_cmp_gt_u32_e64 s[0:1], 60, v7
	v_cndmask_b32_e64 v8, 0, 1, s[0:1]
	s_waitcnt lgkmcnt(0)
	v_add_f32_e32 v4, v1, v4
	v_add_lshl_u32 v1, v5, v6, 2
	ds_bpermute_b32 v5, v1, v4
	v_lshlrev_b32_e32 v8, 2, v8
	v_cmp_gt_u32_e64 s[0:1], 62, v7
	v_cndmask_b32_e64 v9, 0, 1, s[0:1]
	v_lshlrev_b32_e32 v9, 1, v9
	s_waitcnt lgkmcnt(0)
	v_add_f32_e32 v5, v4, v5
	v_add_lshl_u32 v4, v8, v6, 2
	ds_bpermute_b32 v8, v4, v5
	v_cmp_ne_u32_e64 s[0:1], 63, v7
	s_waitcnt lgkmcnt(0)
	s_barrier
	v_add_f32_e32 v8, v5, v8
	v_add_lshl_u32 v5, v9, v6, 2
	ds_bpermute_b32 v9, v5, v8
	v_addc_co_u32_e64 v6, s[0:1], 0, v6, s[0:1]
	v_lshlrev_b32_e32 v6, 2, v6
	v_cmp_eq_u32_e64 s[0:1], 0, v3
	s_waitcnt lgkmcnt(0)
	v_add_f32_e32 v7, v8, v9
	ds_bpermute_b32 v8, v6, v7
	s_and_saveexec_b64 s[4:5], s[0:1]
	s_cbranch_execz .LBB19_10
; %bb.9:
	s_waitcnt lgkmcnt(0)
	v_add_f32_e32 v3, v7, v8
	v_lshrrev_b32_e32 v7, 4, v0
	v_and_b32_e32 v7, 60, v7
	ds_write_b32 v7, v3
.LBB19_10:
	s_or_b64 exec, exec, s[4:5]
	v_cmp_gt_u32_e64 s[0:1], 16, v0
	v_mov_b32_e32 v3, 0
	s_waitcnt lgkmcnt(0)
	s_barrier
	s_and_saveexec_b64 s[4:5], s[0:1]
	s_cbranch_execnz .LBB19_14
; %bb.11:
	s_or_b64 exec, exec, s[4:5]
	s_and_saveexec_b64 s[0:1], vcc
	s_cbranch_execnz .LBB19_15
.LBB19_12:
	s_or_b64 exec, exec, s[0:1]
	v_cmp_eq_u32_e32 vcc, 0, v0
	s_and_saveexec_b64 s[0:1], vcc
	s_cbranch_execnz .LBB19_16
.LBB19_13:
	s_endpgm
.LBB19_14:
	ds_read_b32 v3, v2
	s_or_b64 exec, exec, s[4:5]
	s_and_saveexec_b64 s[0:1], vcc
	s_cbranch_execz .LBB19_12
.LBB19_15:
	s_waitcnt lgkmcnt(0)
	ds_bpermute_b32 v1, v1, v3
	s_waitcnt lgkmcnt(0)
	v_add_f32_e32 v1, v3, v1
	ds_bpermute_b32 v2, v4, v1
	s_waitcnt lgkmcnt(0)
	v_add_f32_e32 v1, v1, v2
	;; [unrolled: 3-line block ×4, first 2 shown]
	s_or_b64 exec, exec, s[0:1]
	v_cmp_eq_u32_e32 vcc, 0, v0
	s_and_saveexec_b64 s[0:1], vcc
	s_cbranch_execz .LBB19_13
.LBB19_16:
	s_mov_b32 s0, 0x7f800000
	s_waitcnt lgkmcnt(0)
	v_and_b32_e32 v0, 0x7f800000, v3
	v_cmp_ne_u32_e32 vcc, s0, v0
                                        ; implicit-def: $vgpr0
	s_and_saveexec_b64 s[0:1], vcc
	s_xor_b64 s[0:1], exec, s[0:1]
; %bb.17:
	v_bfe_u32 v0, v3, 16, 1
	s_movk_i32 s4, 0x7fff
	v_add3_u32 v0, v3, v0, s4
                                        ; implicit-def: $vgpr3
; %bb.18:
	s_andn2_saveexec_b64 s[0:1], s[0:1]
; %bb.19:
	v_mov_b32_e32 v0, 0
	v_or_b32_e32 v1, 0x10000, v3
	v_cmp_eq_u32_sdwa vcc, v3, v0 src0_sel:WORD_0 src1_sel:DWORD
	v_cndmask_b32_e32 v0, v1, v3, vcc
; %bb.20:
	s_or_b64 exec, exec, s[0:1]
	s_lshl_b64 s[0:1], s[2:3], 1
	s_add_u32 s0, s6, s0
	s_addc_u32 s1, s7, s1
	v_mov_b32_e32 v1, 0
	global_store_short_d16_hi v1, v0, s[0:1]
	s_endpgm
	.section	.rodata,"a",@progbits
	.p2align	6, 0x0
	.amdhsa_kernel _ZL26rocblas_dot_kernel_inc1by2ILb1ELi1024ELi32ELb0E16rocblas_bfloat16PKS0_fEviT4_llS3_lliPT5_PT3_
		.amdhsa_group_segment_fixed_size 256
		.amdhsa_private_segment_fixed_size 0
		.amdhsa_kernarg_size 80
		.amdhsa_user_sgpr_count 6
		.amdhsa_user_sgpr_private_segment_buffer 1
		.amdhsa_user_sgpr_dispatch_ptr 0
		.amdhsa_user_sgpr_queue_ptr 0
		.amdhsa_user_sgpr_kernarg_segment_ptr 1
		.amdhsa_user_sgpr_dispatch_id 0
		.amdhsa_user_sgpr_flat_scratch_init 0
		.amdhsa_user_sgpr_kernarg_preload_length 0
		.amdhsa_user_sgpr_kernarg_preload_offset 0
		.amdhsa_user_sgpr_private_segment_size 0
		.amdhsa_uses_dynamic_stack 0
		.amdhsa_system_sgpr_private_segment_wavefront_offset 0
		.amdhsa_system_sgpr_workgroup_id_x 1
		.amdhsa_system_sgpr_workgroup_id_y 0
		.amdhsa_system_sgpr_workgroup_id_z 1
		.amdhsa_system_sgpr_workgroup_info 0
		.amdhsa_system_vgpr_workitem_id 0
		.amdhsa_next_free_vgpr 12
		.amdhsa_next_free_sgpr 28
		.amdhsa_accum_offset 12
		.amdhsa_reserve_vcc 1
		.amdhsa_reserve_flat_scratch 0
		.amdhsa_float_round_mode_32 0
		.amdhsa_float_round_mode_16_64 0
		.amdhsa_float_denorm_mode_32 3
		.amdhsa_float_denorm_mode_16_64 3
		.amdhsa_dx10_clamp 1
		.amdhsa_ieee_mode 1
		.amdhsa_fp16_overflow 0
		.amdhsa_tg_split 0
		.amdhsa_exception_fp_ieee_invalid_op 0
		.amdhsa_exception_fp_denorm_src 0
		.amdhsa_exception_fp_ieee_div_zero 0
		.amdhsa_exception_fp_ieee_overflow 0
		.amdhsa_exception_fp_ieee_underflow 0
		.amdhsa_exception_fp_ieee_inexact 0
		.amdhsa_exception_int_div_zero 0
	.end_amdhsa_kernel
	.section	.text._ZL26rocblas_dot_kernel_inc1by2ILb1ELi1024ELi32ELb0E16rocblas_bfloat16PKS0_fEviT4_llS3_lliPT5_PT3_,"axG",@progbits,_ZL26rocblas_dot_kernel_inc1by2ILb1ELi1024ELi32ELb0E16rocblas_bfloat16PKS0_fEviT4_llS3_lliPT5_PT3_,comdat
.Lfunc_end19:
	.size	_ZL26rocblas_dot_kernel_inc1by2ILb1ELi1024ELi32ELb0E16rocblas_bfloat16PKS0_fEviT4_llS3_lliPT5_PT3_, .Lfunc_end19-_ZL26rocblas_dot_kernel_inc1by2ILb1ELi1024ELi32ELb0E16rocblas_bfloat16PKS0_fEviT4_llS3_lliPT5_PT3_
                                        ; -- End function
	.section	.AMDGPU.csdata,"",@progbits
; Kernel info:
; codeLenInByte = 1120
; NumSgprs: 32
; NumVgprs: 12
; NumAgprs: 0
; TotalNumVgprs: 12
; ScratchSize: 0
; MemoryBound: 0
; FloatMode: 240
; IeeeMode: 1
; LDSByteSize: 256 bytes/workgroup (compile time only)
; SGPRBlocks: 3
; VGPRBlocks: 1
; NumSGPRsForWavesPerEU: 32
; NumVGPRsForWavesPerEU: 12
; AccumOffset: 12
; Occupancy: 8
; WaveLimiterHint : 0
; COMPUTE_PGM_RSRC2:SCRATCH_EN: 0
; COMPUTE_PGM_RSRC2:USER_SGPR: 6
; COMPUTE_PGM_RSRC2:TRAP_HANDLER: 0
; COMPUTE_PGM_RSRC2:TGID_X_EN: 1
; COMPUTE_PGM_RSRC2:TGID_Y_EN: 0
; COMPUTE_PGM_RSRC2:TGID_Z_EN: 1
; COMPUTE_PGM_RSRC2:TIDIG_COMP_CNT: 0
; COMPUTE_PGM_RSRC3_GFX90A:ACCUM_OFFSET: 2
; COMPUTE_PGM_RSRC3_GFX90A:TG_SPLIT: 0
	.section	.text._ZL18rocblas_dot_kernelIiLb1ELi1024ELi32ELb0E16rocblas_bfloat16PKS0_fEviT5_lT_lS3_lS4_liPT6_PT4_,"axG",@progbits,_ZL18rocblas_dot_kernelIiLb1ELi1024ELi32ELb0E16rocblas_bfloat16PKS0_fEviT5_lT_lS3_lS4_liPT6_PT4_,comdat
	.globl	_ZL18rocblas_dot_kernelIiLb1ELi1024ELi32ELb0E16rocblas_bfloat16PKS0_fEviT5_lT_lS3_lS4_liPT6_PT4_ ; -- Begin function _ZL18rocblas_dot_kernelIiLb1ELi1024ELi32ELb0E16rocblas_bfloat16PKS0_fEviT5_lT_lS3_lS4_liPT6_PT4_
	.p2align	8
	.type	_ZL18rocblas_dot_kernelIiLb1ELi1024ELi32ELb0E16rocblas_bfloat16PKS0_fEviT5_lT_lS3_lS4_liPT6_PT4_,@function
_ZL18rocblas_dot_kernelIiLb1ELi1024ELi32ELb0E16rocblas_bfloat16PKS0_fEviT5_lT_lS3_lS4_liPT6_PT4_: ; @_ZL18rocblas_dot_kernelIiLb1ELi1024ELi32ELb0E16rocblas_bfloat16PKS0_fEviT5_lT_lS3_lS4_liPT6_PT4_
; %bb.0:
	s_load_dword s14, s[4:5], 0x0
	s_load_dwordx2 s[8:9], s[4:5], 0x58
	s_mov_b32 s6, s7
	s_mov_b32 s7, 0
	v_mov_b32_e32 v6, 0
	s_waitcnt lgkmcnt(0)
	v_cmp_gt_i32_e32 vcc, s14, v0
	s_and_saveexec_b64 s[10:11], vcc
	s_cbranch_execz .LBB20_4
; %bb.1:
	s_load_dword s22, s[4:5], 0x38
	s_load_dwordx2 s[12:13], s[4:5], 0x40
	s_load_dword s15, s[4:5], 0x60
	s_load_dwordx4 s[0:3], s[4:5], 0x20
	s_load_dwordx4 s[16:19], s[4:5], 0x8
	s_load_dword s23, s[4:5], 0x18
	s_load_dwordx2 s[20:21], s[4:5], 0x30
	s_waitcnt lgkmcnt(0)
	s_lshl_b32 s15, s15, 10
	s_mul_i32 s1, s1, s6
	s_mul_hi_u32 s4, s0, s6
	s_add_i32 s1, s4, s1
	s_mul_i32 s0, s0, s6
	v_mad_i64_i32 v[2:3], s[4:5], s23, v0, 0
	s_lshl_b64 s[0:1], s[0:1], 1
	s_lshl_b64 s[4:5], s[18:19], 1
	s_add_u32 s4, s16, s4
	s_addc_u32 s5, s17, s5
	s_add_u32 s0, s4, s0
	v_lshlrev_b64 v[2:3], 1, v[2:3]
	s_addc_u32 s1, s5, s1
	v_mov_b32_e32 v4, s1
	v_add_co_u32_e32 v2, vcc, s0, v2
	s_mul_hi_i32 s1, s23, s15
	s_mul_i32 s0, s23, s15
	s_lshl_b64 s[4:5], s[0:1], 1
	s_mul_i32 s0, s13, s6
	s_mul_hi_u32 s1, s12, s6
	v_addc_co_u32_e32 v3, vcc, v4, v3, vcc
	s_add_i32 s1, s1, s0
	s_mul_i32 s0, s12, s6
	v_mad_i64_i32 v[4:5], s[12:13], s22, v0, 0
	s_lshl_b64 s[0:1], s[0:1], 1
	s_lshl_b64 s[12:13], s[20:21], 1
	s_add_u32 s2, s2, s12
	s_addc_u32 s3, s3, s13
	s_add_u32 s0, s2, s0
	v_lshlrev_b64 v[4:5], 1, v[4:5]
	s_addc_u32 s1, s3, s1
	v_mov_b32_e32 v6, s1
	v_add_co_u32_e32 v4, vcc, s0, v4
	s_mul_hi_i32 s1, s22, s15
	s_mul_i32 s0, s22, s15
	s_lshl_b64 s[12:13], s[0:1], 1
	v_or_b32_e32 v1, s15, v0
	v_addc_co_u32_e32 v5, vcc, v6, v5, vcc
	s_mov_b64 s[2:3], 0
	v_mov_b32_e32 v6, 0
	v_mov_b32_e32 v7, s5
	v_mov_b32_e32 v8, s13
	s_mov_b32 s5, s7
.LBB20_2:                               ; =>This Inner Loop Header: Depth=1
	global_load_ushort v9, v[4:5], off
	global_load_ushort v10, v[2:3], off
	v_add_co_u32_e64 v2, s[0:1], s4, v2
	v_addc_co_u32_e64 v3, s[0:1], v3, v7, s[0:1]
	s_add_i32 s13, s5, 1
	v_add_co_u32_e64 v4, s[0:1], s12, v4
	v_addc_co_u32_e64 v5, s[0:1], v5, v8, s[0:1]
	s_cmp_gt_u32 s5, 30
	v_cmp_le_i32_e32 vcc, s14, v1
	s_cselect_b64 s[0:1], -1, 0
	s_or_b64 s[0:1], s[0:1], vcc
	s_and_b64 s[0:1], exec, s[0:1]
	v_add_u32_e32 v1, s15, v1
	s_mov_b32 s5, s13
	s_or_b64 s[2:3], s[0:1], s[2:3]
	s_waitcnt vmcnt(1)
	v_lshlrev_b32_e32 v9, 16, v9
	s_waitcnt vmcnt(0)
	v_lshlrev_b32_e32 v10, 16, v10
	v_fmac_f32_e32 v6, v10, v9
	s_andn2_b64 exec, exec, s[2:3]
	s_cbranch_execnz .LBB20_2
; %bb.3:
	s_or_b64 exec, exec, s[2:3]
.LBB20_4:
	s_or_b64 exec, exec, s[10:11]
	v_and_b32_e32 v2, 63, v0
	v_cmp_gt_u32_e32 vcc, 64, v0
	v_lshlrev_b32_e32 v1, 2, v2
	s_and_saveexec_b64 s[0:1], vcc
	s_cbranch_execz .LBB20_6
; %bb.5:
	v_mov_b32_e32 v3, 0
	ds_write_b32 v1, v3
.LBB20_6:
	s_or_b64 exec, exec, s[0:1]
	v_mbcnt_lo_u32_b32 v3, -1, 0
	v_mbcnt_hi_u32_b32 v7, -1, v3
	v_and_b32_e32 v8, 63, v7
	v_cmp_gt_u32_e64 s[0:1], 32, v8
	v_cndmask_b32_e64 v3, 0, 1, s[0:1]
	v_lshlrev_b32_e32 v3, 5, v3
	v_add_lshl_u32 v3, v3, v7, 2
	ds_bpermute_b32 v3, v3, v6
	v_cmp_gt_u32_e64 s[0:1], 48, v8
	v_cndmask_b32_e64 v4, 0, 1, s[0:1]
	v_lshlrev_b32_e32 v4, 4, v4
	v_add_lshl_u32 v4, v4, v7, 2
	s_waitcnt lgkmcnt(0)
	v_add_f32_e32 v3, v6, v3
	ds_bpermute_b32 v4, v4, v3
	v_cmp_gt_u32_e64 s[0:1], 56, v8
	v_cndmask_b32_e64 v5, 0, 1, s[0:1]
	v_lshlrev_b32_e32 v5, 3, v5
	v_cmp_gt_u32_e64 s[0:1], 60, v8
	s_waitcnt lgkmcnt(0)
	v_add_f32_e32 v4, v3, v4
	v_add_lshl_u32 v3, v5, v7, 2
	ds_bpermute_b32 v5, v3, v4
	v_cndmask_b32_e64 v6, 0, 1, s[0:1]
	v_lshlrev_b32_e32 v6, 2, v6
	v_cmp_gt_u32_e64 s[0:1], 62, v8
	v_cndmask_b32_e64 v9, 0, 1, s[0:1]
	s_waitcnt lgkmcnt(0)
	v_add_f32_e32 v5, v4, v5
	v_add_lshl_u32 v4, v6, v7, 2
	ds_bpermute_b32 v6, v4, v5
	v_lshlrev_b32_e32 v9, 1, v9
	v_cmp_ne_u32_e64 s[0:1], 63, v8
	v_addc_co_u32_e64 v8, s[0:1], 0, v7, s[0:1]
	s_waitcnt lgkmcnt(0)
	v_add_f32_e32 v6, v5, v6
	v_add_lshl_u32 v5, v9, v7, 2
	ds_bpermute_b32 v9, v5, v6
	v_cmp_eq_u32_e64 s[0:1], 0, v2
	s_waitcnt lgkmcnt(0)
	s_barrier
	v_add_f32_e32 v7, v6, v9
	v_lshlrev_b32_e32 v6, 2, v8
	ds_bpermute_b32 v8, v6, v7
	s_and_saveexec_b64 s[2:3], s[0:1]
	s_cbranch_execz .LBB20_8
; %bb.7:
	s_waitcnt lgkmcnt(0)
	v_add_f32_e32 v2, v7, v8
	v_lshrrev_b32_e32 v7, 4, v0
	v_and_b32_e32 v7, 60, v7
	ds_write_b32 v7, v2
.LBB20_8:
	s_or_b64 exec, exec, s[2:3]
	v_cmp_gt_u32_e64 s[0:1], 16, v0
	v_mov_b32_e32 v2, 0
	s_waitcnt lgkmcnt(0)
	s_barrier
	s_and_saveexec_b64 s[2:3], s[0:1]
	s_cbranch_execnz .LBB20_12
; %bb.9:
	s_or_b64 exec, exec, s[2:3]
	s_and_saveexec_b64 s[0:1], vcc
	s_cbranch_execnz .LBB20_13
.LBB20_10:
	s_or_b64 exec, exec, s[0:1]
	v_cmp_eq_u32_e32 vcc, 0, v0
	s_and_saveexec_b64 s[0:1], vcc
	s_cbranch_execnz .LBB20_14
.LBB20_11:
	s_endpgm
.LBB20_12:
	ds_read_b32 v2, v1
	s_or_b64 exec, exec, s[2:3]
	s_and_saveexec_b64 s[0:1], vcc
	s_cbranch_execz .LBB20_10
.LBB20_13:
	s_waitcnt lgkmcnt(0)
	ds_bpermute_b32 v1, v3, v2
	s_waitcnt lgkmcnt(0)
	v_add_f32_e32 v1, v2, v1
	ds_bpermute_b32 v2, v4, v1
	s_waitcnt lgkmcnt(0)
	v_add_f32_e32 v1, v1, v2
	;; [unrolled: 3-line block ×4, first 2 shown]
	s_or_b64 exec, exec, s[0:1]
	v_cmp_eq_u32_e32 vcc, 0, v0
	s_and_saveexec_b64 s[0:1], vcc
	s_cbranch_execz .LBB20_11
.LBB20_14:
	s_mov_b32 s0, 0x7f800000
	s_waitcnt lgkmcnt(0)
	v_and_b32_e32 v0, 0x7f800000, v2
	v_cmp_ne_u32_e32 vcc, s0, v0
                                        ; implicit-def: $vgpr0
	s_and_saveexec_b64 s[0:1], vcc
	s_xor_b64 s[0:1], exec, s[0:1]
; %bb.15:
	v_bfe_u32 v0, v2, 16, 1
	s_movk_i32 s2, 0x7fff
	v_add3_u32 v0, v2, v0, s2
                                        ; implicit-def: $vgpr2
; %bb.16:
	s_andn2_saveexec_b64 s[0:1], s[0:1]
; %bb.17:
	v_mov_b32_e32 v0, 0
	v_or_b32_e32 v1, 0x10000, v2
	v_cmp_eq_u32_sdwa vcc, v2, v0 src0_sel:WORD_0 src1_sel:DWORD
	v_cndmask_b32_e32 v0, v1, v2, vcc
; %bb.18:
	s_or_b64 exec, exec, s[0:1]
	s_lshl_b64 s[0:1], s[6:7], 1
	s_add_u32 s0, s8, s0
	s_addc_u32 s1, s9, s1
	v_mov_b32_e32 v1, 0
	global_store_short_d16_hi v1, v0, s[0:1]
	s_endpgm
	.section	.rodata,"a",@progbits
	.p2align	6, 0x0
	.amdhsa_kernel _ZL18rocblas_dot_kernelIiLb1ELi1024ELi32ELb0E16rocblas_bfloat16PKS0_fEviT5_lT_lS3_lS4_liPT6_PT4_
		.amdhsa_group_segment_fixed_size 256
		.amdhsa_private_segment_fixed_size 0
		.amdhsa_kernarg_size 352
		.amdhsa_user_sgpr_count 6
		.amdhsa_user_sgpr_private_segment_buffer 1
		.amdhsa_user_sgpr_dispatch_ptr 0
		.amdhsa_user_sgpr_queue_ptr 0
		.amdhsa_user_sgpr_kernarg_segment_ptr 1
		.amdhsa_user_sgpr_dispatch_id 0
		.amdhsa_user_sgpr_flat_scratch_init 0
		.amdhsa_user_sgpr_kernarg_preload_length 0
		.amdhsa_user_sgpr_kernarg_preload_offset 0
		.amdhsa_user_sgpr_private_segment_size 0
		.amdhsa_uses_dynamic_stack 0
		.amdhsa_system_sgpr_private_segment_wavefront_offset 0
		.amdhsa_system_sgpr_workgroup_id_x 1
		.amdhsa_system_sgpr_workgroup_id_y 0
		.amdhsa_system_sgpr_workgroup_id_z 1
		.amdhsa_system_sgpr_workgroup_info 0
		.amdhsa_system_vgpr_workitem_id 0
		.amdhsa_next_free_vgpr 11
		.amdhsa_next_free_sgpr 24
		.amdhsa_accum_offset 12
		.amdhsa_reserve_vcc 1
		.amdhsa_reserve_flat_scratch 0
		.amdhsa_float_round_mode_32 0
		.amdhsa_float_round_mode_16_64 0
		.amdhsa_float_denorm_mode_32 3
		.amdhsa_float_denorm_mode_16_64 3
		.amdhsa_dx10_clamp 1
		.amdhsa_ieee_mode 1
		.amdhsa_fp16_overflow 0
		.amdhsa_tg_split 0
		.amdhsa_exception_fp_ieee_invalid_op 0
		.amdhsa_exception_fp_denorm_src 0
		.amdhsa_exception_fp_ieee_div_zero 0
		.amdhsa_exception_fp_ieee_overflow 0
		.amdhsa_exception_fp_ieee_underflow 0
		.amdhsa_exception_fp_ieee_inexact 0
		.amdhsa_exception_int_div_zero 0
	.end_amdhsa_kernel
	.section	.text._ZL18rocblas_dot_kernelIiLb1ELi1024ELi32ELb0E16rocblas_bfloat16PKS0_fEviT5_lT_lS3_lS4_liPT6_PT4_,"axG",@progbits,_ZL18rocblas_dot_kernelIiLb1ELi1024ELi32ELb0E16rocblas_bfloat16PKS0_fEviT5_lT_lS3_lS4_liPT6_PT4_,comdat
.Lfunc_end20:
	.size	_ZL18rocblas_dot_kernelIiLb1ELi1024ELi32ELb0E16rocblas_bfloat16PKS0_fEviT5_lT_lS3_lS4_liPT6_PT4_, .Lfunc_end20-_ZL18rocblas_dot_kernelIiLb1ELi1024ELi32ELb0E16rocblas_bfloat16PKS0_fEviT5_lT_lS3_lS4_liPT6_PT4_
                                        ; -- End function
	.section	.AMDGPU.csdata,"",@progbits
; Kernel info:
; codeLenInByte = 1040
; NumSgprs: 28
; NumVgprs: 11
; NumAgprs: 0
; TotalNumVgprs: 11
; ScratchSize: 0
; MemoryBound: 0
; FloatMode: 240
; IeeeMode: 1
; LDSByteSize: 256 bytes/workgroup (compile time only)
; SGPRBlocks: 3
; VGPRBlocks: 1
; NumSGPRsForWavesPerEU: 28
; NumVGPRsForWavesPerEU: 11
; AccumOffset: 12
; Occupancy: 8
; WaveLimiterHint : 0
; COMPUTE_PGM_RSRC2:SCRATCH_EN: 0
; COMPUTE_PGM_RSRC2:USER_SGPR: 6
; COMPUTE_PGM_RSRC2:TRAP_HANDLER: 0
; COMPUTE_PGM_RSRC2:TGID_X_EN: 1
; COMPUTE_PGM_RSRC2:TGID_Y_EN: 0
; COMPUTE_PGM_RSRC2:TGID_Z_EN: 1
; COMPUTE_PGM_RSRC2:TIDIG_COMP_CNT: 0
; COMPUTE_PGM_RSRC3_GFX90A:ACCUM_OFFSET: 2
; COMPUTE_PGM_RSRC3_GFX90A:TG_SPLIT: 0
	.section	.text._ZL24rocblas_dot_kernel_magsqIiLb1ELi1024ELi32ELb0E16rocblas_bfloat16PKS0_fEviT5_lT_liPT6_PT4_,"axG",@progbits,_ZL24rocblas_dot_kernel_magsqIiLb1ELi1024ELi32ELb0E16rocblas_bfloat16PKS0_fEviT5_lT_liPT6_PT4_,comdat
	.globl	_ZL24rocblas_dot_kernel_magsqIiLb1ELi1024ELi32ELb0E16rocblas_bfloat16PKS0_fEviT5_lT_liPT6_PT4_ ; -- Begin function _ZL24rocblas_dot_kernel_magsqIiLb1ELi1024ELi32ELb0E16rocblas_bfloat16PKS0_fEviT5_lT_liPT6_PT4_
	.p2align	8
	.type	_ZL24rocblas_dot_kernel_magsqIiLb1ELi1024ELi32ELb0E16rocblas_bfloat16PKS0_fEviT5_lT_liPT6_PT4_,@function
_ZL24rocblas_dot_kernel_magsqIiLb1ELi1024ELi32ELb0E16rocblas_bfloat16PKS0_fEviT5_lT_liPT6_PT4_: ; @_ZL24rocblas_dot_kernel_magsqIiLb1ELi1024ELi32ELb0E16rocblas_bfloat16PKS0_fEviT5_lT_liPT6_PT4_
; %bb.0:
	s_mov_b32 s2, s7
	s_load_dword s12, s[4:5], 0x0
	s_load_dwordx2 s[6:7], s[4:5], 0x38
	s_mov_b32 s3, 0
	v_mov_b32_e32 v1, 0
	s_waitcnt lgkmcnt(0)
	v_cmp_gt_i32_e32 vcc, s12, v0
	s_and_saveexec_b64 s[8:9], vcc
	s_cbranch_execz .LBB21_4
; %bb.1:
	s_load_dword s10, s[4:5], 0x40
	s_load_dwordx2 s[0:1], s[4:5], 0x20
	s_load_dwordx4 s[16:19], s[4:5], 0x8
	s_load_dword s11, s[4:5], 0x18
	s_waitcnt lgkmcnt(0)
	s_lshl_b32 s13, s10, 10
	s_mul_i32 s1, s1, s2
	s_mul_hi_u32 s4, s0, s2
	s_add_i32 s1, s4, s1
	s_mul_i32 s0, s0, s2
	v_mad_i64_i32 v[2:3], s[4:5], s11, v0, 0
	s_lshl_b64 s[0:1], s[0:1], 1
	s_lshl_b64 s[4:5], s[18:19], 1
	s_add_u32 s4, s16, s4
	s_addc_u32 s5, s17, s5
	s_add_u32 s0, s4, s0
	v_lshlrev_b64 v[2:3], 1, v[2:3]
	s_addc_u32 s1, s5, s1
	v_mov_b32_e32 v1, s1
	v_add_co_u32_e32 v2, vcc, s0, v2
	s_mul_hi_i32 s1, s11, s13
	s_mul_i32 s0, s11, s13
	s_lshl_b64 s[10:11], s[0:1], 1
	v_or_b32_e32 v4, s13, v0
	v_addc_co_u32_e32 v3, vcc, v1, v3, vcc
	s_mov_b64 s[4:5], 0
	v_mov_b32_e32 v1, 0
	v_mov_b32_e32 v5, s11
	s_mov_b32 s11, s3
.LBB21_2:                               ; =>This Inner Loop Header: Depth=1
	global_load_ushort v6, v[2:3], off
	s_add_i32 s14, s11, 1
	v_add_co_u32_e64 v2, s[0:1], s10, v2
	v_addc_co_u32_e64 v3, s[0:1], v3, v5, s[0:1]
	s_cmp_gt_u32 s11, 30
	v_cmp_le_i32_e32 vcc, s12, v4
	s_cselect_b64 s[0:1], -1, 0
	s_or_b64 s[0:1], s[0:1], vcc
	s_and_b64 s[0:1], exec, s[0:1]
	v_add_u32_e32 v4, s13, v4
	s_mov_b32 s11, s14
	s_or_b64 s[4:5], s[0:1], s[4:5]
	s_waitcnt vmcnt(0)
	v_lshlrev_b32_e32 v6, 16, v6
	v_fmac_f32_e32 v1, v6, v6
	s_andn2_b64 exec, exec, s[4:5]
	s_cbranch_execnz .LBB21_2
; %bb.3:
	s_or_b64 exec, exec, s[4:5]
.LBB21_4:
	s_or_b64 exec, exec, s[8:9]
	v_and_b32_e32 v3, 63, v0
	v_cmp_gt_u32_e32 vcc, 64, v0
	v_lshlrev_b32_e32 v2, 2, v3
	s_and_saveexec_b64 s[0:1], vcc
	s_cbranch_execz .LBB21_6
; %bb.5:
	v_mov_b32_e32 v4, 0
	ds_write_b32 v2, v4
.LBB21_6:
	s_or_b64 exec, exec, s[0:1]
	v_mbcnt_lo_u32_b32 v4, -1, 0
	v_mbcnt_hi_u32_b32 v6, -1, v4
	v_and_b32_e32 v7, 63, v6
	v_cmp_gt_u32_e64 s[0:1], 32, v7
	v_cndmask_b32_e64 v4, 0, 1, s[0:1]
	v_lshlrev_b32_e32 v4, 5, v4
	v_add_lshl_u32 v4, v4, v6, 2
	ds_bpermute_b32 v4, v4, v1
	v_cmp_gt_u32_e64 s[0:1], 48, v7
	v_cndmask_b32_e64 v5, 0, 1, s[0:1]
	v_lshlrev_b32_e32 v5, 4, v5
	v_cmp_gt_u32_e64 s[0:1], 56, v7
	s_waitcnt lgkmcnt(0)
	v_add_f32_e32 v1, v1, v4
	v_add_lshl_u32 v4, v5, v6, 2
	ds_bpermute_b32 v4, v4, v1
	v_cndmask_b32_e64 v5, 0, 1, s[0:1]
	v_lshlrev_b32_e32 v5, 3, v5
	v_cmp_gt_u32_e64 s[0:1], 60, v7
	v_cndmask_b32_e64 v8, 0, 1, s[0:1]
	s_waitcnt lgkmcnt(0)
	v_add_f32_e32 v4, v1, v4
	v_add_lshl_u32 v1, v5, v6, 2
	ds_bpermute_b32 v5, v1, v4
	v_lshlrev_b32_e32 v8, 2, v8
	v_cmp_gt_u32_e64 s[0:1], 62, v7
	v_cndmask_b32_e64 v9, 0, 1, s[0:1]
	v_lshlrev_b32_e32 v9, 1, v9
	s_waitcnt lgkmcnt(0)
	v_add_f32_e32 v5, v4, v5
	v_add_lshl_u32 v4, v8, v6, 2
	ds_bpermute_b32 v8, v4, v5
	v_cmp_ne_u32_e64 s[0:1], 63, v7
	s_waitcnt lgkmcnt(0)
	s_barrier
	v_add_f32_e32 v8, v5, v8
	v_add_lshl_u32 v5, v9, v6, 2
	ds_bpermute_b32 v9, v5, v8
	v_addc_co_u32_e64 v6, s[0:1], 0, v6, s[0:1]
	v_lshlrev_b32_e32 v6, 2, v6
	v_cmp_eq_u32_e64 s[0:1], 0, v3
	s_waitcnt lgkmcnt(0)
	v_add_f32_e32 v7, v8, v9
	ds_bpermute_b32 v8, v6, v7
	s_and_saveexec_b64 s[4:5], s[0:1]
	s_cbranch_execz .LBB21_8
; %bb.7:
	s_waitcnt lgkmcnt(0)
	v_add_f32_e32 v3, v7, v8
	v_lshrrev_b32_e32 v7, 4, v0
	v_and_b32_e32 v7, 60, v7
	ds_write_b32 v7, v3
.LBB21_8:
	s_or_b64 exec, exec, s[4:5]
	v_cmp_gt_u32_e64 s[0:1], 16, v0
	v_mov_b32_e32 v3, 0
	s_waitcnt lgkmcnt(0)
	s_barrier
	s_and_saveexec_b64 s[4:5], s[0:1]
	s_cbranch_execnz .LBB21_12
; %bb.9:
	s_or_b64 exec, exec, s[4:5]
	s_and_saveexec_b64 s[0:1], vcc
	s_cbranch_execnz .LBB21_13
.LBB21_10:
	s_or_b64 exec, exec, s[0:1]
	v_cmp_eq_u32_e32 vcc, 0, v0
	s_and_saveexec_b64 s[0:1], vcc
	s_cbranch_execnz .LBB21_14
.LBB21_11:
	s_endpgm
.LBB21_12:
	ds_read_b32 v3, v2
	s_or_b64 exec, exec, s[4:5]
	s_and_saveexec_b64 s[0:1], vcc
	s_cbranch_execz .LBB21_10
.LBB21_13:
	s_waitcnt lgkmcnt(0)
	ds_bpermute_b32 v1, v1, v3
	s_waitcnt lgkmcnt(0)
	v_add_f32_e32 v1, v3, v1
	ds_bpermute_b32 v2, v4, v1
	s_waitcnt lgkmcnt(0)
	v_add_f32_e32 v1, v1, v2
	;; [unrolled: 3-line block ×4, first 2 shown]
	s_or_b64 exec, exec, s[0:1]
	v_cmp_eq_u32_e32 vcc, 0, v0
	s_and_saveexec_b64 s[0:1], vcc
	s_cbranch_execz .LBB21_11
.LBB21_14:
	s_mov_b32 s0, 0x7f800000
	s_waitcnt lgkmcnt(0)
	v_and_b32_e32 v0, 0x7f800000, v3
	v_cmp_ne_u32_e32 vcc, s0, v0
                                        ; implicit-def: $vgpr0
	s_and_saveexec_b64 s[0:1], vcc
	s_xor_b64 s[0:1], exec, s[0:1]
; %bb.15:
	v_bfe_u32 v0, v3, 16, 1
	s_movk_i32 s4, 0x7fff
	v_add3_u32 v0, v3, v0, s4
                                        ; implicit-def: $vgpr3
; %bb.16:
	s_andn2_saveexec_b64 s[0:1], s[0:1]
; %bb.17:
	v_mov_b32_e32 v0, 0
	v_or_b32_e32 v1, 0x10000, v3
	v_cmp_eq_u32_sdwa vcc, v3, v0 src0_sel:WORD_0 src1_sel:DWORD
	v_cndmask_b32_e32 v0, v1, v3, vcc
; %bb.18:
	s_or_b64 exec, exec, s[0:1]
	s_lshl_b64 s[0:1], s[2:3], 1
	s_add_u32 s0, s6, s0
	s_addc_u32 s1, s7, s1
	v_mov_b32_e32 v1, 0
	global_store_short_d16_hi v1, v0, s[0:1]
	s_endpgm
	.section	.rodata,"a",@progbits
	.p2align	6, 0x0
	.amdhsa_kernel _ZL24rocblas_dot_kernel_magsqIiLb1ELi1024ELi32ELb0E16rocblas_bfloat16PKS0_fEviT5_lT_liPT6_PT4_
		.amdhsa_group_segment_fixed_size 256
		.amdhsa_private_segment_fixed_size 0
		.amdhsa_kernarg_size 320
		.amdhsa_user_sgpr_count 6
		.amdhsa_user_sgpr_private_segment_buffer 1
		.amdhsa_user_sgpr_dispatch_ptr 0
		.amdhsa_user_sgpr_queue_ptr 0
		.amdhsa_user_sgpr_kernarg_segment_ptr 1
		.amdhsa_user_sgpr_dispatch_id 0
		.amdhsa_user_sgpr_flat_scratch_init 0
		.amdhsa_user_sgpr_kernarg_preload_length 0
		.amdhsa_user_sgpr_kernarg_preload_offset 0
		.amdhsa_user_sgpr_private_segment_size 0
		.amdhsa_uses_dynamic_stack 0
		.amdhsa_system_sgpr_private_segment_wavefront_offset 0
		.amdhsa_system_sgpr_workgroup_id_x 1
		.amdhsa_system_sgpr_workgroup_id_y 0
		.amdhsa_system_sgpr_workgroup_id_z 1
		.amdhsa_system_sgpr_workgroup_info 0
		.amdhsa_system_vgpr_workitem_id 0
		.amdhsa_next_free_vgpr 10
		.amdhsa_next_free_sgpr 20
		.amdhsa_accum_offset 12
		.amdhsa_reserve_vcc 1
		.amdhsa_reserve_flat_scratch 0
		.amdhsa_float_round_mode_32 0
		.amdhsa_float_round_mode_16_64 0
		.amdhsa_float_denorm_mode_32 3
		.amdhsa_float_denorm_mode_16_64 3
		.amdhsa_dx10_clamp 1
		.amdhsa_ieee_mode 1
		.amdhsa_fp16_overflow 0
		.amdhsa_tg_split 0
		.amdhsa_exception_fp_ieee_invalid_op 0
		.amdhsa_exception_fp_denorm_src 0
		.amdhsa_exception_fp_ieee_div_zero 0
		.amdhsa_exception_fp_ieee_overflow 0
		.amdhsa_exception_fp_ieee_underflow 0
		.amdhsa_exception_fp_ieee_inexact 0
		.amdhsa_exception_int_div_zero 0
	.end_amdhsa_kernel
	.section	.text._ZL24rocblas_dot_kernel_magsqIiLb1ELi1024ELi32ELb0E16rocblas_bfloat16PKS0_fEviT5_lT_liPT6_PT4_,"axG",@progbits,_ZL24rocblas_dot_kernel_magsqIiLb1ELi1024ELi32ELb0E16rocblas_bfloat16PKS0_fEviT5_lT_liPT6_PT4_,comdat
.Lfunc_end21:
	.size	_ZL24rocblas_dot_kernel_magsqIiLb1ELi1024ELi32ELb0E16rocblas_bfloat16PKS0_fEviT5_lT_liPT6_PT4_, .Lfunc_end21-_ZL24rocblas_dot_kernel_magsqIiLb1ELi1024ELi32ELb0E16rocblas_bfloat16PKS0_fEviT5_lT_liPT6_PT4_
                                        ; -- End function
	.section	.AMDGPU.csdata,"",@progbits
; Kernel info:
; codeLenInByte = 900
; NumSgprs: 24
; NumVgprs: 10
; NumAgprs: 0
; TotalNumVgprs: 10
; ScratchSize: 0
; MemoryBound: 0
; FloatMode: 240
; IeeeMode: 1
; LDSByteSize: 256 bytes/workgroup (compile time only)
; SGPRBlocks: 2
; VGPRBlocks: 1
; NumSGPRsForWavesPerEU: 24
; NumVGPRsForWavesPerEU: 10
; AccumOffset: 12
; Occupancy: 8
; WaveLimiterHint : 0
; COMPUTE_PGM_RSRC2:SCRATCH_EN: 0
; COMPUTE_PGM_RSRC2:USER_SGPR: 6
; COMPUTE_PGM_RSRC2:TRAP_HANDLER: 0
; COMPUTE_PGM_RSRC2:TGID_X_EN: 1
; COMPUTE_PGM_RSRC2:TGID_Y_EN: 0
; COMPUTE_PGM_RSRC2:TGID_Z_EN: 1
; COMPUTE_PGM_RSRC2:TIDIG_COMP_CNT: 0
; COMPUTE_PGM_RSRC3_GFX90A:ACCUM_OFFSET: 2
; COMPUTE_PGM_RSRC3_GFX90A:TG_SPLIT: 0
	.section	.text._ZL38rocblas_dot_kernel_gfx942_float_doubleIiLi1024E16rocblas_bfloat16PKS0_fEviT2_lT_lS3_lS4_lPT3_PT1_,"axG",@progbits,_ZL38rocblas_dot_kernel_gfx942_float_doubleIiLi1024E16rocblas_bfloat16PKS0_fEviT2_lT_lS3_lS4_lPT3_PT1_,comdat
	.globl	_ZL38rocblas_dot_kernel_gfx942_float_doubleIiLi1024E16rocblas_bfloat16PKS0_fEviT2_lT_lS3_lS4_lPT3_PT1_ ; -- Begin function _ZL38rocblas_dot_kernel_gfx942_float_doubleIiLi1024E16rocblas_bfloat16PKS0_fEviT2_lT_lS3_lS4_lPT3_PT1_
	.p2align	8
	.type	_ZL38rocblas_dot_kernel_gfx942_float_doubleIiLi1024E16rocblas_bfloat16PKS0_fEviT2_lT_lS3_lS4_lPT3_PT1_,@function
_ZL38rocblas_dot_kernel_gfx942_float_doubleIiLi1024E16rocblas_bfloat16PKS0_fEviT2_lT_lS3_lS4_lPT3_PT1_: ; @_ZL38rocblas_dot_kernel_gfx942_float_doubleIiLi1024E16rocblas_bfloat16PKS0_fEviT2_lT_lS3_lS4_lPT3_PT1_
; %bb.0:
	s_endpgm
	.section	.rodata,"a",@progbits
	.p2align	6, 0x0
	.amdhsa_kernel _ZL38rocblas_dot_kernel_gfx942_float_doubleIiLi1024E16rocblas_bfloat16PKS0_fEviT2_lT_lS3_lS4_lPT3_PT1_
		.amdhsa_group_segment_fixed_size 0
		.amdhsa_private_segment_fixed_size 0
		.amdhsa_kernarg_size 88
		.amdhsa_user_sgpr_count 6
		.amdhsa_user_sgpr_private_segment_buffer 1
		.amdhsa_user_sgpr_dispatch_ptr 0
		.amdhsa_user_sgpr_queue_ptr 0
		.amdhsa_user_sgpr_kernarg_segment_ptr 1
		.amdhsa_user_sgpr_dispatch_id 0
		.amdhsa_user_sgpr_flat_scratch_init 0
		.amdhsa_user_sgpr_kernarg_preload_length 0
		.amdhsa_user_sgpr_kernarg_preload_offset 0
		.amdhsa_user_sgpr_private_segment_size 0
		.amdhsa_uses_dynamic_stack 0
		.amdhsa_system_sgpr_private_segment_wavefront_offset 0
		.amdhsa_system_sgpr_workgroup_id_x 1
		.amdhsa_system_sgpr_workgroup_id_y 0
		.amdhsa_system_sgpr_workgroup_id_z 0
		.amdhsa_system_sgpr_workgroup_info 0
		.amdhsa_system_vgpr_workitem_id 0
		.amdhsa_next_free_vgpr 1
		.amdhsa_next_free_sgpr 0
		.amdhsa_accum_offset 4
		.amdhsa_reserve_vcc 0
		.amdhsa_reserve_flat_scratch 0
		.amdhsa_float_round_mode_32 0
		.amdhsa_float_round_mode_16_64 0
		.amdhsa_float_denorm_mode_32 3
		.amdhsa_float_denorm_mode_16_64 3
		.amdhsa_dx10_clamp 1
		.amdhsa_ieee_mode 1
		.amdhsa_fp16_overflow 0
		.amdhsa_tg_split 0
		.amdhsa_exception_fp_ieee_invalid_op 0
		.amdhsa_exception_fp_denorm_src 0
		.amdhsa_exception_fp_ieee_div_zero 0
		.amdhsa_exception_fp_ieee_overflow 0
		.amdhsa_exception_fp_ieee_underflow 0
		.amdhsa_exception_fp_ieee_inexact 0
		.amdhsa_exception_int_div_zero 0
	.end_amdhsa_kernel
	.section	.text._ZL38rocblas_dot_kernel_gfx942_float_doubleIiLi1024E16rocblas_bfloat16PKS0_fEviT2_lT_lS3_lS4_lPT3_PT1_,"axG",@progbits,_ZL38rocblas_dot_kernel_gfx942_float_doubleIiLi1024E16rocblas_bfloat16PKS0_fEviT2_lT_lS3_lS4_lPT3_PT1_,comdat
.Lfunc_end22:
	.size	_ZL38rocblas_dot_kernel_gfx942_float_doubleIiLi1024E16rocblas_bfloat16PKS0_fEviT2_lT_lS3_lS4_lPT3_PT1_, .Lfunc_end22-_ZL38rocblas_dot_kernel_gfx942_float_doubleIiLi1024E16rocblas_bfloat16PKS0_fEviT2_lT_lS3_lS4_lPT3_PT1_
                                        ; -- End function
	.section	.AMDGPU.csdata,"",@progbits
; Kernel info:
; codeLenInByte = 4
; NumSgprs: 4
; NumVgprs: 0
; NumAgprs: 0
; TotalNumVgprs: 0
; ScratchSize: 0
; MemoryBound: 0
; FloatMode: 240
; IeeeMode: 1
; LDSByteSize: 0 bytes/workgroup (compile time only)
; SGPRBlocks: 0
; VGPRBlocks: 0
; NumSGPRsForWavesPerEU: 4
; NumVGPRsForWavesPerEU: 1
; AccumOffset: 4
; Occupancy: 8
; WaveLimiterHint : 0
; COMPUTE_PGM_RSRC2:SCRATCH_EN: 0
; COMPUTE_PGM_RSRC2:USER_SGPR: 6
; COMPUTE_PGM_RSRC2:TRAP_HANDLER: 0
; COMPUTE_PGM_RSRC2:TGID_X_EN: 1
; COMPUTE_PGM_RSRC2:TGID_Y_EN: 0
; COMPUTE_PGM_RSRC2:TGID_Z_EN: 0
; COMPUTE_PGM_RSRC2:TIDIG_COMP_CNT: 0
; COMPUTE_PGM_RSRC3_GFX90A:ACCUM_OFFSET: 0
; COMPUTE_PGM_RSRC3_GFX90A:TG_SPLIT: 0
	.section	.text._ZL30rocblas_reduction_kernel_part2ILi1024ELi4E25rocblas_finalize_identityf16rocblas_bfloat16EviPT2_PT3_,"axG",@progbits,_ZL30rocblas_reduction_kernel_part2ILi1024ELi4E25rocblas_finalize_identityf16rocblas_bfloat16EviPT2_PT3_,comdat
	.globl	_ZL30rocblas_reduction_kernel_part2ILi1024ELi4E25rocblas_finalize_identityf16rocblas_bfloat16EviPT2_PT3_ ; -- Begin function _ZL30rocblas_reduction_kernel_part2ILi1024ELi4E25rocblas_finalize_identityf16rocblas_bfloat16EviPT2_PT3_
	.p2align	8
	.type	_ZL30rocblas_reduction_kernel_part2ILi1024ELi4E25rocblas_finalize_identityf16rocblas_bfloat16EviPT2_PT3_,@function
_ZL30rocblas_reduction_kernel_part2ILi1024ELi4E25rocblas_finalize_identityf16rocblas_bfloat16EviPT2_PT3_: ; @_ZL30rocblas_reduction_kernel_part2ILi1024ELi4E25rocblas_finalize_identityf16rocblas_bfloat16EviPT2_PT3_
; %bb.0:
	s_load_dword s12, s[4:5], 0x0
	s_load_dwordx4 s[0:3], s[4:5], 0x8
	v_lshlrev_b32_e32 v4, 2, v0
	s_mov_b32 s7, 0
	v_mov_b32_e32 v1, 0
	s_waitcnt lgkmcnt(0)
	s_ashr_i32 s8, s12, 31
	s_mul_i32 s5, s8, s6
	s_lshr_b32 s8, s8, 30
	s_add_i32 s8, s12, s8
	s_mul_hi_u32 s4, s12, s6
	s_and_b32 s13, s8, -4
	s_add_i32 s5, s4, s5
	s_mul_i32 s4, s12, s6
	v_cmp_gt_i32_e32 vcc, s13, v4
	s_and_saveexec_b64 s[8:9], vcc
	s_cbranch_execz .LBB23_4
; %bb.1:
	s_lshl_b64 s[10:11], s[4:5], 2
	s_add_u32 s10, s0, s10
	v_lshlrev_b32_e32 v2, 4, v0
	s_addc_u32 s11, s1, s11
	v_mov_b32_e32 v3, s11
	v_add_co_u32_e32 v2, vcc, s10, v2
	v_addc_co_u32_e32 v3, vcc, 0, v3, vcc
	v_add_co_u32_e32 v2, vcc, 8, v2
	v_mov_b32_e32 v1, 0
	v_addc_co_u32_e32 v3, vcc, 0, v3, vcc
	s_mov_b64 s[10:11], 0
.LBB23_2:                               ; =>This Inner Loop Header: Depth=1
	global_load_dwordx4 v[6:9], v[2:3], off offset:-8
	v_add_co_u32_e32 v2, vcc, 0x4000, v2
	v_add_u32_e32 v4, 0x1000, v4
	v_addc_co_u32_e32 v3, vcc, 0, v3, vcc
	v_cmp_le_i32_e32 vcc, s13, v4
	s_or_b64 s[10:11], vcc, s[10:11]
	s_waitcnt vmcnt(0)
	v_add_f32_e32 v1, v1, v6
	v_add_f32_e32 v1, v1, v7
	;; [unrolled: 1-line block ×4, first 2 shown]
	s_andn2_b64 exec, exec, s[10:11]
	s_cbranch_execnz .LBB23_2
; %bb.3:
	s_or_b64 exec, exec, s[10:11]
.LBB23_4:
	s_or_b64 exec, exec, s[8:9]
	s_sub_i32 s8, s12, s13
	v_cmp_gt_u32_e32 vcc, s8, v0
	s_and_saveexec_b64 s[8:9], vcc
	s_cbranch_execz .LBB23_6
; %bb.5:
	s_lshl_b64 s[4:5], s[4:5], 2
	s_add_u32 s0, s0, s4
	v_xad_u32 v2, v0, -1, s12
	v_mov_b32_e32 v3, 0
	s_addc_u32 s1, s1, s5
	v_lshlrev_b64 v[2:3], 2, v[2:3]
	v_mov_b32_e32 v4, s1
	v_add_co_u32_e32 v2, vcc, s0, v2
	v_addc_co_u32_e32 v3, vcc, v4, v3, vcc
	global_load_dword v2, v[2:3], off
	s_waitcnt vmcnt(0)
	v_add_f32_e32 v1, v1, v2
.LBB23_6:
	s_or_b64 exec, exec, s[8:9]
	v_and_b32_e32 v3, 63, v0
	v_cmp_gt_u32_e32 vcc, 64, v0
	v_lshlrev_b32_e32 v2, 2, v3
	s_and_saveexec_b64 s[0:1], vcc
	s_cbranch_execz .LBB23_8
; %bb.7:
	v_mov_b32_e32 v4, 0
	ds_write_b32 v2, v4
.LBB23_8:
	s_or_b64 exec, exec, s[0:1]
	v_mbcnt_lo_u32_b32 v4, -1, 0
	v_mbcnt_hi_u32_b32 v6, -1, v4
	v_and_b32_e32 v7, 63, v6
	v_cmp_gt_u32_e64 s[0:1], 32, v7
	v_cndmask_b32_e64 v4, 0, 1, s[0:1]
	v_lshlrev_b32_e32 v4, 5, v4
	v_add_lshl_u32 v4, v4, v6, 2
	ds_bpermute_b32 v4, v4, v1
	v_cmp_gt_u32_e64 s[0:1], 48, v7
	v_cndmask_b32_e64 v5, 0, 1, s[0:1]
	v_lshlrev_b32_e32 v5, 4, v5
	v_cmp_gt_u32_e64 s[0:1], 56, v7
	s_waitcnt lgkmcnt(0)
	v_add_f32_e32 v1, v1, v4
	v_add_lshl_u32 v4, v5, v6, 2
	ds_bpermute_b32 v4, v4, v1
	v_cndmask_b32_e64 v5, 0, 1, s[0:1]
	v_lshlrev_b32_e32 v5, 3, v5
	v_cmp_gt_u32_e64 s[0:1], 60, v7
	v_cndmask_b32_e64 v8, 0, 1, s[0:1]
	s_waitcnt lgkmcnt(0)
	v_add_f32_e32 v4, v1, v4
	v_add_lshl_u32 v1, v5, v6, 2
	ds_bpermute_b32 v5, v1, v4
	v_lshlrev_b32_e32 v8, 2, v8
	v_cmp_gt_u32_e64 s[0:1], 62, v7
	v_cndmask_b32_e64 v9, 0, 1, s[0:1]
	v_lshlrev_b32_e32 v9, 1, v9
	s_waitcnt lgkmcnt(0)
	v_add_f32_e32 v5, v4, v5
	v_add_lshl_u32 v4, v8, v6, 2
	ds_bpermute_b32 v8, v4, v5
	v_cmp_ne_u32_e64 s[0:1], 63, v7
	s_waitcnt lgkmcnt(0)
	s_barrier
	v_add_f32_e32 v8, v5, v8
	v_add_lshl_u32 v5, v9, v6, 2
	ds_bpermute_b32 v9, v5, v8
	v_addc_co_u32_e64 v6, s[0:1], 0, v6, s[0:1]
	v_lshlrev_b32_e32 v6, 2, v6
	v_cmp_eq_u32_e64 s[0:1], 0, v3
	s_waitcnt lgkmcnt(0)
	v_add_f32_e32 v7, v8, v9
	ds_bpermute_b32 v8, v6, v7
	s_and_saveexec_b64 s[4:5], s[0:1]
	s_cbranch_execz .LBB23_10
; %bb.9:
	s_waitcnt lgkmcnt(0)
	v_add_f32_e32 v3, v7, v8
	v_lshrrev_b32_e32 v7, 4, v0
	v_and_b32_e32 v7, 60, v7
	ds_write_b32 v7, v3
.LBB23_10:
	s_or_b64 exec, exec, s[4:5]
	v_cmp_gt_u32_e64 s[0:1], 16, v0
	v_mov_b32_e32 v3, 0
	s_waitcnt lgkmcnt(0)
	s_barrier
	s_and_saveexec_b64 s[4:5], s[0:1]
	s_cbranch_execnz .LBB23_14
; %bb.11:
	s_or_b64 exec, exec, s[4:5]
	s_and_saveexec_b64 s[0:1], vcc
	s_cbranch_execnz .LBB23_15
.LBB23_12:
	s_or_b64 exec, exec, s[0:1]
	v_cmp_eq_u32_e32 vcc, 0, v0
	s_and_saveexec_b64 s[0:1], vcc
	s_cbranch_execnz .LBB23_16
.LBB23_13:
	s_endpgm
.LBB23_14:
	ds_read_b32 v3, v2
	s_or_b64 exec, exec, s[4:5]
	s_and_saveexec_b64 s[0:1], vcc
	s_cbranch_execz .LBB23_12
.LBB23_15:
	s_waitcnt lgkmcnt(0)
	ds_bpermute_b32 v1, v1, v3
	s_waitcnt lgkmcnt(0)
	v_add_f32_e32 v1, v3, v1
	ds_bpermute_b32 v2, v4, v1
	s_waitcnt lgkmcnt(0)
	v_add_f32_e32 v1, v1, v2
	;; [unrolled: 3-line block ×4, first 2 shown]
	s_or_b64 exec, exec, s[0:1]
	v_cmp_eq_u32_e32 vcc, 0, v0
	s_and_saveexec_b64 s[0:1], vcc
	s_cbranch_execz .LBB23_13
.LBB23_16:
	s_mov_b32 s0, 0x7f800000
	s_waitcnt lgkmcnt(0)
	v_and_b32_e32 v0, 0x7f800000, v3
	v_cmp_ne_u32_e32 vcc, s0, v0
                                        ; implicit-def: $vgpr0
	s_and_saveexec_b64 s[0:1], vcc
	s_xor_b64 s[0:1], exec, s[0:1]
; %bb.17:
	v_bfe_u32 v0, v3, 16, 1
	s_movk_i32 s4, 0x7fff
	v_add3_u32 v0, v3, v0, s4
                                        ; implicit-def: $vgpr3
; %bb.18:
	s_andn2_saveexec_b64 s[0:1], s[0:1]
; %bb.19:
	v_mov_b32_e32 v0, 0
	v_or_b32_e32 v1, 0x10000, v3
	v_cmp_eq_u32_sdwa vcc, v3, v0 src0_sel:WORD_0 src1_sel:DWORD
	v_cndmask_b32_e32 v0, v1, v3, vcc
; %bb.20:
	s_or_b64 exec, exec, s[0:1]
	s_lshl_b64 s[0:1], s[6:7], 1
	s_add_u32 s0, s2, s0
	s_addc_u32 s1, s3, s1
	v_mov_b32_e32 v1, 0
	global_store_short_d16_hi v1, v0, s[0:1]
	s_endpgm
	.section	.rodata,"a",@progbits
	.p2align	6, 0x0
	.amdhsa_kernel _ZL30rocblas_reduction_kernel_part2ILi1024ELi4E25rocblas_finalize_identityf16rocblas_bfloat16EviPT2_PT3_
		.amdhsa_group_segment_fixed_size 256
		.amdhsa_private_segment_fixed_size 0
		.amdhsa_kernarg_size 24
		.amdhsa_user_sgpr_count 6
		.amdhsa_user_sgpr_private_segment_buffer 1
		.amdhsa_user_sgpr_dispatch_ptr 0
		.amdhsa_user_sgpr_queue_ptr 0
		.amdhsa_user_sgpr_kernarg_segment_ptr 1
		.amdhsa_user_sgpr_dispatch_id 0
		.amdhsa_user_sgpr_flat_scratch_init 0
		.amdhsa_user_sgpr_kernarg_preload_length 0
		.amdhsa_user_sgpr_kernarg_preload_offset 0
		.amdhsa_user_sgpr_private_segment_size 0
		.amdhsa_uses_dynamic_stack 0
		.amdhsa_system_sgpr_private_segment_wavefront_offset 0
		.amdhsa_system_sgpr_workgroup_id_x 1
		.amdhsa_system_sgpr_workgroup_id_y 0
		.amdhsa_system_sgpr_workgroup_id_z 0
		.amdhsa_system_sgpr_workgroup_info 0
		.amdhsa_system_vgpr_workitem_id 0
		.amdhsa_next_free_vgpr 10
		.amdhsa_next_free_sgpr 14
		.amdhsa_accum_offset 12
		.amdhsa_reserve_vcc 1
		.amdhsa_reserve_flat_scratch 0
		.amdhsa_float_round_mode_32 0
		.amdhsa_float_round_mode_16_64 0
		.amdhsa_float_denorm_mode_32 3
		.amdhsa_float_denorm_mode_16_64 3
		.amdhsa_dx10_clamp 1
		.amdhsa_ieee_mode 1
		.amdhsa_fp16_overflow 0
		.amdhsa_tg_split 0
		.amdhsa_exception_fp_ieee_invalid_op 0
		.amdhsa_exception_fp_denorm_src 0
		.amdhsa_exception_fp_ieee_div_zero 0
		.amdhsa_exception_fp_ieee_overflow 0
		.amdhsa_exception_fp_ieee_underflow 0
		.amdhsa_exception_fp_ieee_inexact 0
		.amdhsa_exception_int_div_zero 0
	.end_amdhsa_kernel
	.section	.text._ZL30rocblas_reduction_kernel_part2ILi1024ELi4E25rocblas_finalize_identityf16rocblas_bfloat16EviPT2_PT3_,"axG",@progbits,_ZL30rocblas_reduction_kernel_part2ILi1024ELi4E25rocblas_finalize_identityf16rocblas_bfloat16EviPT2_PT3_,comdat
.Lfunc_end23:
	.size	_ZL30rocblas_reduction_kernel_part2ILi1024ELi4E25rocblas_finalize_identityf16rocblas_bfloat16EviPT2_PT3_, .Lfunc_end23-_ZL30rocblas_reduction_kernel_part2ILi1024ELi4E25rocblas_finalize_identityf16rocblas_bfloat16EviPT2_PT3_
                                        ; -- End function
	.section	.AMDGPU.csdata,"",@progbits
; Kernel info:
; codeLenInByte = 900
; NumSgprs: 18
; NumVgprs: 10
; NumAgprs: 0
; TotalNumVgprs: 10
; ScratchSize: 0
; MemoryBound: 0
; FloatMode: 240
; IeeeMode: 1
; LDSByteSize: 256 bytes/workgroup (compile time only)
; SGPRBlocks: 2
; VGPRBlocks: 1
; NumSGPRsForWavesPerEU: 18
; NumVGPRsForWavesPerEU: 10
; AccumOffset: 12
; Occupancy: 8
; WaveLimiterHint : 0
; COMPUTE_PGM_RSRC2:SCRATCH_EN: 0
; COMPUTE_PGM_RSRC2:USER_SGPR: 6
; COMPUTE_PGM_RSRC2:TRAP_HANDLER: 0
; COMPUTE_PGM_RSRC2:TGID_X_EN: 1
; COMPUTE_PGM_RSRC2:TGID_Y_EN: 0
; COMPUTE_PGM_RSRC2:TGID_Z_EN: 0
; COMPUTE_PGM_RSRC2:TIDIG_COMP_CNT: 0
; COMPUTE_PGM_RSRC3_GFX90A:ACCUM_OFFSET: 2
; COMPUTE_PGM_RSRC3_GFX90A:TG_SPLIT: 0
	.section	.text._ZL23rocblas_dot_kernel_inc1ILb0ELi512ELi8ELb0E16rocblas_bfloat16PKS0_fEviT4_llS3_lliPT5_PT3_,"axG",@progbits,_ZL23rocblas_dot_kernel_inc1ILb0ELi512ELi8ELb0E16rocblas_bfloat16PKS0_fEviT4_llS3_lliPT5_PT3_,comdat
	.globl	_ZL23rocblas_dot_kernel_inc1ILb0ELi512ELi8ELb0E16rocblas_bfloat16PKS0_fEviT4_llS3_lliPT5_PT3_ ; -- Begin function _ZL23rocblas_dot_kernel_inc1ILb0ELi512ELi8ELb0E16rocblas_bfloat16PKS0_fEviT4_llS3_lliPT5_PT3_
	.p2align	8
	.type	_ZL23rocblas_dot_kernel_inc1ILb0ELi512ELi8ELb0E16rocblas_bfloat16PKS0_fEviT4_llS3_lliPT5_PT3_,@function
_ZL23rocblas_dot_kernel_inc1ILb0ELi512ELi8ELb0E16rocblas_bfloat16PKS0_fEviT4_llS3_lliPT5_PT3_: ; @_ZL23rocblas_dot_kernel_inc1ILb0ELi512ELi8ELb0E16rocblas_bfloat16PKS0_fEviT4_llS3_lliPT5_PT3_
; %bb.0:
	s_mov_b32 s2, s7
	s_load_dword s18, s[4:5], 0x50
	s_load_dword s7, s[4:5], 0x0
	s_load_dwordx4 s[8:11], s[4:5], 0x40
	v_lshl_or_b32 v2, s6, 9, v0
	s_mov_b32 s3, 0
	v_mov_b32_e32 v1, 0
	s_waitcnt lgkmcnt(0)
	v_cmp_gt_i32_e32 vcc, s7, v2
	s_and_saveexec_b64 s[12:13], vcc
	s_cbranch_execz .LBB24_4
; %bb.1:
	s_load_dwordx4 s[20:23], s[4:5], 0x10
	s_load_dwordx2 s[0:1], s[4:5], 0x8
	s_load_dwordx2 s[14:15], s[4:5], 0x20
	s_load_dwordx4 s[24:27], s[4:5], 0x28
	v_ashrrev_i32_e32 v3, 31, v2
	s_waitcnt lgkmcnt(0)
	s_mul_i32 s4, s2, s23
	s_mul_hi_u32 s5, s2, s22
	s_add_i32 s5, s5, s4
	s_mul_i32 s4, s2, s22
	s_lshl_b64 s[4:5], s[4:5], 1
	s_add_u32 s4, s0, s4
	s_addc_u32 s5, s1, s5
	s_lshl_b64 s[0:1], s[20:21], 1
	s_add_u32 s19, s4, s0
	s_addc_u32 s21, s5, s1
	s_mul_i32 s0, s2, s27
	s_mul_hi_u32 s1, s2, s26
	s_add_i32 s1, s1, s0
	s_mul_i32 s0, s2, s26
	s_lshl_b64 s[0:1], s[0:1], 1
	s_add_u32 s4, s14, s0
	s_addc_u32 s5, s15, s1
	s_lshl_b64 s[0:1], s[24:25], 1
	s_add_u32 s20, s4, s0
	s_addc_u32 s0, s5, s1
	s_lshl_b32 s4, s18, 9
	s_ashr_i32 s5, s4, 31
	s_lshl_b64 s[16:17], s[4:5], 1
	v_add_u32_e32 v4, s4, v2
	v_lshlrev_b64 v[2:3], 1, v[2:3]
	s_mov_b64 s[14:15], 0
	v_mov_b32_e32 v1, 0
	v_mov_b32_e32 v5, s0
	;; [unrolled: 1-line block ×4, first 2 shown]
	s_mov_b32 s5, s3
.LBB24_2:                               ; =>This Inner Loop Header: Depth=1
	v_add_co_u32_e32 v8, vcc, s20, v2
	v_addc_co_u32_e32 v9, vcc, v5, v3, vcc
	v_add_co_u32_e32 v10, vcc, s19, v2
	v_addc_co_u32_e32 v11, vcc, v6, v3, vcc
	global_load_ushort v12, v[8:9], off
	global_load_ushort v13, v[10:11], off
	s_add_i32 s17, s5, 1
	v_add_co_u32_e64 v2, s[0:1], s16, v2
	v_addc_co_u32_e64 v3, s[0:1], v3, v7, s[0:1]
	s_cmp_gt_u32 s5, 6
	v_cmp_le_i32_e32 vcc, s7, v4
	s_cselect_b64 s[0:1], -1, 0
	s_or_b64 s[0:1], s[0:1], vcc
	s_and_b64 s[0:1], exec, s[0:1]
	v_add_u32_e32 v4, s4, v4
	s_mov_b32 s5, s17
	s_or_b64 s[14:15], s[0:1], s[14:15]
	s_waitcnt vmcnt(1)
	v_lshlrev_b32_e32 v8, 16, v12
	s_waitcnt vmcnt(0)
	v_lshlrev_b32_e32 v9, 16, v13
	v_fmac_f32_e32 v1, v9, v8
	s_andn2_b64 exec, exec, s[14:15]
	s_cbranch_execnz .LBB24_2
; %bb.3:
	s_or_b64 exec, exec, s[14:15]
.LBB24_4:
	s_or_b64 exec, exec, s[12:13]
	v_and_b32_e32 v3, 63, v0
	v_cmp_gt_u32_e32 vcc, 64, v0
	v_lshlrev_b32_e32 v2, 2, v3
	s_and_saveexec_b64 s[0:1], vcc
	s_cbranch_execz .LBB24_6
; %bb.5:
	v_mov_b32_e32 v4, 0
	ds_write_b32 v2, v4
.LBB24_6:
	s_or_b64 exec, exec, s[0:1]
	v_mbcnt_lo_u32_b32 v4, -1, 0
	v_mbcnt_hi_u32_b32 v6, -1, v4
	v_and_b32_e32 v7, 63, v6
	v_cmp_gt_u32_e64 s[0:1], 32, v7
	v_cndmask_b32_e64 v4, 0, 1, s[0:1]
	v_lshlrev_b32_e32 v4, 5, v4
	v_add_lshl_u32 v4, v4, v6, 2
	ds_bpermute_b32 v4, v4, v1
	v_cmp_gt_u32_e64 s[0:1], 48, v7
	v_cndmask_b32_e64 v5, 0, 1, s[0:1]
	v_lshlrev_b32_e32 v5, 4, v5
	v_cmp_gt_u32_e64 s[0:1], 56, v7
	s_waitcnt lgkmcnt(0)
	v_add_f32_e32 v1, v1, v4
	v_add_lshl_u32 v4, v5, v6, 2
	ds_bpermute_b32 v4, v4, v1
	v_cndmask_b32_e64 v5, 0, 1, s[0:1]
	v_lshlrev_b32_e32 v5, 3, v5
	v_cmp_gt_u32_e64 s[0:1], 60, v7
	s_waitcnt lgkmcnt(0)
	v_add_f32_e32 v1, v1, v4
	v_add_lshl_u32 v4, v5, v6, 2
	ds_bpermute_b32 v4, v4, v1
	v_cndmask_b32_e64 v5, 0, 1, s[0:1]
	v_lshlrev_b32_e32 v5, 2, v5
	v_cmp_gt_u32_e64 s[0:1], 62, v7
	v_cndmask_b32_e64 v8, 0, 1, s[0:1]
	s_waitcnt lgkmcnt(0)
	v_add_f32_e32 v1, v1, v4
	v_add_lshl_u32 v4, v5, v6, 2
	ds_bpermute_b32 v5, v4, v1
	v_lshlrev_b32_e32 v8, 1, v8
	v_cmp_ne_u32_e64 s[0:1], 63, v7
	s_barrier
	s_waitcnt lgkmcnt(0)
	v_add_f32_e32 v1, v1, v5
	v_add_lshl_u32 v5, v8, v6, 2
	ds_bpermute_b32 v8, v5, v1
	v_addc_co_u32_e64 v6, s[0:1], 0, v6, s[0:1]
	v_lshlrev_b32_e32 v6, 2, v6
	v_cmp_eq_u32_e64 s[0:1], 0, v3
	s_waitcnt lgkmcnt(0)
	v_add_f32_e32 v1, v1, v8
	ds_bpermute_b32 v7, v6, v1
	s_and_saveexec_b64 s[4:5], s[0:1]
	s_cbranch_execz .LBB24_8
; %bb.7:
	v_lshrrev_b32_e32 v3, 4, v0
	s_waitcnt lgkmcnt(0)
	v_add_f32_e32 v1, v1, v7
	v_and_b32_e32 v3, 28, v3
	ds_write_b32 v3, v1
.LBB24_8:
	s_or_b64 exec, exec, s[4:5]
	v_cmp_gt_u32_e64 s[0:1], 8, v0
	v_mov_b32_e32 v1, 0
	s_waitcnt lgkmcnt(0)
	s_barrier
	s_and_saveexec_b64 s[4:5], s[0:1]
	s_cbranch_execnz .LBB24_12
; %bb.9:
	s_or_b64 exec, exec, s[4:5]
	s_and_saveexec_b64 s[0:1], vcc
	s_cbranch_execnz .LBB24_13
.LBB24_10:
	s_or_b64 exec, exec, s[0:1]
	v_cmp_eq_u32_e32 vcc, 0, v0
	s_and_saveexec_b64 s[0:1], vcc
	s_cbranch_execnz .LBB24_14
.LBB24_11:
	s_endpgm
.LBB24_12:
	ds_read_b32 v1, v2
	s_or_b64 exec, exec, s[4:5]
	s_and_saveexec_b64 s[0:1], vcc
	s_cbranch_execz .LBB24_10
.LBB24_13:
	s_waitcnt lgkmcnt(0)
	ds_bpermute_b32 v2, v4, v1
	s_waitcnt lgkmcnt(0)
	v_add_f32_e32 v1, v1, v2
	ds_bpermute_b32 v2, v5, v1
	s_waitcnt lgkmcnt(0)
	v_add_f32_e32 v1, v1, v2
	;; [unrolled: 3-line block ×3, first 2 shown]
	s_or_b64 exec, exec, s[0:1]
	v_cmp_eq_u32_e32 vcc, 0, v0
	s_and_saveexec_b64 s[0:1], vcc
	s_cbranch_execz .LBB24_11
.LBB24_14:
	s_cmp_lg_u32 s18, 1
	s_mov_b64 s[0:1], -1
	s_cbranch_scc0 .LBB24_16
; %bb.15:
	s_mul_hi_u32 s1, s18, s2
	s_mul_i32 s0, s18, s2
	s_lshl_b64 s[0:1], s[0:1], 2
	s_mov_b32 s7, 0
	s_add_u32 s4, s8, s0
	s_addc_u32 s5, s9, s1
	s_lshl_b64 s[0:1], s[6:7], 2
	s_add_u32 s0, s4, s0
	s_addc_u32 s1, s5, s1
	v_mov_b32_e32 v0, 0
	s_waitcnt lgkmcnt(0)
	global_store_dword v0, v1, s[0:1]
	s_mov_b64 s[0:1], 0
.LBB24_16:
	s_andn2_b64 vcc, exec, s[0:1]
	s_cbranch_vccnz .LBB24_11
; %bb.17:
	s_mov_b32 s0, 0x7f800000
	s_waitcnt lgkmcnt(0)
	v_and_b32_e32 v0, 0x7f800000, v1
	v_cmp_ne_u32_e32 vcc, s0, v0
                                        ; implicit-def: $vgpr0
	s_and_saveexec_b64 s[0:1], vcc
	s_xor_b64 s[0:1], exec, s[0:1]
; %bb.18:
	v_bfe_u32 v0, v1, 16, 1
	s_movk_i32 s4, 0x7fff
	v_add3_u32 v0, v1, v0, s4
                                        ; implicit-def: $vgpr1
; %bb.19:
	s_andn2_saveexec_b64 s[0:1], s[0:1]
; %bb.20:
	v_mov_b32_e32 v0, 0
	v_or_b32_e32 v2, 0x10000, v1
	v_cmp_eq_u32_sdwa vcc, v1, v0 src0_sel:WORD_0 src1_sel:DWORD
	v_cndmask_b32_e32 v0, v2, v1, vcc
; %bb.21:
	s_or_b64 exec, exec, s[0:1]
	s_lshl_b64 s[0:1], s[2:3], 1
	s_add_u32 s0, s10, s0
	s_addc_u32 s1, s11, s1
	v_mov_b32_e32 v1, 0
	global_store_short_d16_hi v1, v0, s[0:1]
	s_endpgm
	.section	.rodata,"a",@progbits
	.p2align	6, 0x0
	.amdhsa_kernel _ZL23rocblas_dot_kernel_inc1ILb0ELi512ELi8ELb0E16rocblas_bfloat16PKS0_fEviT4_llS3_lliPT5_PT3_
		.amdhsa_group_segment_fixed_size 256
		.amdhsa_private_segment_fixed_size 0
		.amdhsa_kernarg_size 336
		.amdhsa_user_sgpr_count 6
		.amdhsa_user_sgpr_private_segment_buffer 1
		.amdhsa_user_sgpr_dispatch_ptr 0
		.amdhsa_user_sgpr_queue_ptr 0
		.amdhsa_user_sgpr_kernarg_segment_ptr 1
		.amdhsa_user_sgpr_dispatch_id 0
		.amdhsa_user_sgpr_flat_scratch_init 0
		.amdhsa_user_sgpr_kernarg_preload_length 0
		.amdhsa_user_sgpr_kernarg_preload_offset 0
		.amdhsa_user_sgpr_private_segment_size 0
		.amdhsa_uses_dynamic_stack 0
		.amdhsa_system_sgpr_private_segment_wavefront_offset 0
		.amdhsa_system_sgpr_workgroup_id_x 1
		.amdhsa_system_sgpr_workgroup_id_y 0
		.amdhsa_system_sgpr_workgroup_id_z 1
		.amdhsa_system_sgpr_workgroup_info 0
		.amdhsa_system_vgpr_workitem_id 0
		.amdhsa_next_free_vgpr 14
		.amdhsa_next_free_sgpr 28
		.amdhsa_accum_offset 16
		.amdhsa_reserve_vcc 1
		.amdhsa_reserve_flat_scratch 0
		.amdhsa_float_round_mode_32 0
		.amdhsa_float_round_mode_16_64 0
		.amdhsa_float_denorm_mode_32 3
		.amdhsa_float_denorm_mode_16_64 3
		.amdhsa_dx10_clamp 1
		.amdhsa_ieee_mode 1
		.amdhsa_fp16_overflow 0
		.amdhsa_tg_split 0
		.amdhsa_exception_fp_ieee_invalid_op 0
		.amdhsa_exception_fp_denorm_src 0
		.amdhsa_exception_fp_ieee_div_zero 0
		.amdhsa_exception_fp_ieee_overflow 0
		.amdhsa_exception_fp_ieee_underflow 0
		.amdhsa_exception_fp_ieee_inexact 0
		.amdhsa_exception_int_div_zero 0
	.end_amdhsa_kernel
	.section	.text._ZL23rocblas_dot_kernel_inc1ILb0ELi512ELi8ELb0E16rocblas_bfloat16PKS0_fEviT4_llS3_lliPT5_PT3_,"axG",@progbits,_ZL23rocblas_dot_kernel_inc1ILb0ELi512ELi8ELb0E16rocblas_bfloat16PKS0_fEviT4_llS3_lliPT5_PT3_,comdat
.Lfunc_end24:
	.size	_ZL23rocblas_dot_kernel_inc1ILb0ELi512ELi8ELb0E16rocblas_bfloat16PKS0_fEviT4_llS3_lliPT5_PT3_, .Lfunc_end24-_ZL23rocblas_dot_kernel_inc1ILb0ELi512ELi8ELb0E16rocblas_bfloat16PKS0_fEviT4_llS3_lliPT5_PT3_
                                        ; -- End function
	.section	.AMDGPU.csdata,"",@progbits
; Kernel info:
; codeLenInByte = 1036
; NumSgprs: 32
; NumVgprs: 14
; NumAgprs: 0
; TotalNumVgprs: 14
; ScratchSize: 0
; MemoryBound: 0
; FloatMode: 240
; IeeeMode: 1
; LDSByteSize: 256 bytes/workgroup (compile time only)
; SGPRBlocks: 3
; VGPRBlocks: 1
; NumSGPRsForWavesPerEU: 32
; NumVGPRsForWavesPerEU: 14
; AccumOffset: 16
; Occupancy: 8
; WaveLimiterHint : 0
; COMPUTE_PGM_RSRC2:SCRATCH_EN: 0
; COMPUTE_PGM_RSRC2:USER_SGPR: 6
; COMPUTE_PGM_RSRC2:TRAP_HANDLER: 0
; COMPUTE_PGM_RSRC2:TGID_X_EN: 1
; COMPUTE_PGM_RSRC2:TGID_Y_EN: 0
; COMPUTE_PGM_RSRC2:TGID_Z_EN: 1
; COMPUTE_PGM_RSRC2:TIDIG_COMP_CNT: 0
; COMPUTE_PGM_RSRC3_GFX90A:ACCUM_OFFSET: 3
; COMPUTE_PGM_RSRC3_GFX90A:TG_SPLIT: 0
	.section	.text._ZL18rocblas_dot_kernelIiLb0ELi512ELi8ELb0E16rocblas_bfloat16PKS0_fEviT5_lT_lS3_lS4_liPT6_PT4_,"axG",@progbits,_ZL18rocblas_dot_kernelIiLb0ELi512ELi8ELb0E16rocblas_bfloat16PKS0_fEviT5_lT_lS3_lS4_liPT6_PT4_,comdat
	.globl	_ZL18rocblas_dot_kernelIiLb0ELi512ELi8ELb0E16rocblas_bfloat16PKS0_fEviT5_lT_lS3_lS4_liPT6_PT4_ ; -- Begin function _ZL18rocblas_dot_kernelIiLb0ELi512ELi8ELb0E16rocblas_bfloat16PKS0_fEviT5_lT_lS3_lS4_liPT6_PT4_
	.p2align	8
	.type	_ZL18rocblas_dot_kernelIiLb0ELi512ELi8ELb0E16rocblas_bfloat16PKS0_fEviT5_lT_lS3_lS4_liPT6_PT4_,@function
_ZL18rocblas_dot_kernelIiLb0ELi512ELi8ELb0E16rocblas_bfloat16PKS0_fEviT5_lT_lS3_lS4_liPT6_PT4_: ; @_ZL18rocblas_dot_kernelIiLb0ELi512ELi8ELb0E16rocblas_bfloat16PKS0_fEviT5_lT_lS3_lS4_liPT6_PT4_
; %bb.0:
	s_mov_b32 s12, s7
	s_load_dword s18, s[4:5], 0x60
	s_load_dword s7, s[4:5], 0x0
	s_load_dwordx4 s[8:11], s[4:5], 0x50
	v_lshl_or_b32 v4, s6, 9, v0
	s_mov_b32 s13, 0
	v_mov_b32_e32 v6, 0
	s_waitcnt lgkmcnt(0)
	v_cmp_gt_i32_e32 vcc, s7, v4
	s_and_saveexec_b64 s[14:15], vcc
	s_cbranch_execz .LBB25_4
; %bb.1:
	s_load_dwordx4 s[20:23], s[4:5], 0x8
	s_load_dword s26, s[4:5], 0x18
	s_load_dwordx4 s[0:3], s[4:5], 0x20
	s_load_dwordx2 s[16:17], s[4:5], 0x30
	s_load_dword s27, s[4:5], 0x38
	s_load_dwordx2 s[24:25], s[4:5], 0x40
	s_waitcnt lgkmcnt(0)
	v_mad_i64_i32 v[2:3], s[4:5], s26, v4, 0
	s_mul_i32 s1, s1, s12
	s_mul_hi_u32 s4, s0, s12
	s_add_i32 s1, s4, s1
	s_mul_i32 s0, s0, s12
	s_lshl_b32 s19, s18, 9
	s_lshl_b64 s[0:1], s[0:1], 1
	s_lshl_b64 s[4:5], s[22:23], 1
	s_add_u32 s4, s20, s4
	s_addc_u32 s5, s21, s5
	s_add_u32 s0, s4, s0
	v_lshlrev_b64 v[2:3], 1, v[2:3]
	s_addc_u32 s1, s5, s1
	v_mov_b32_e32 v5, s1
	v_add_co_u32_e32 v2, vcc, s0, v2
	s_mul_hi_i32 s1, s26, s19
	s_mul_i32 s0, s26, s19
	v_add_u32_e32 v1, s19, v4
	v_addc_co_u32_e32 v3, vcc, v5, v3, vcc
	s_lshl_b64 s[4:5], s[0:1], 1
	v_mad_i64_i32 v[4:5], s[0:1], s27, v4, 0
	s_mul_i32 s0, s25, s12
	s_mul_hi_u32 s1, s24, s12
	s_add_i32 s1, s1, s0
	s_mul_i32 s0, s24, s12
	s_lshl_b64 s[0:1], s[0:1], 1
	s_lshl_b64 s[16:17], s[16:17], 1
	s_add_u32 s2, s2, s16
	s_addc_u32 s3, s3, s17
	s_add_u32 s0, s2, s0
	v_lshlrev_b64 v[4:5], 1, v[4:5]
	s_addc_u32 s1, s3, s1
	v_mov_b32_e32 v6, s1
	v_add_co_u32_e32 v4, vcc, s0, v4
	s_mul_hi_i32 s1, s27, s19
	s_mul_i32 s0, s27, s19
	s_lshl_b64 s[16:17], s[0:1], 1
	v_addc_co_u32_e32 v5, vcc, v6, v5, vcc
	s_mov_b64 s[2:3], 0
	v_mov_b32_e32 v6, 0
	v_mov_b32_e32 v7, s5
	;; [unrolled: 1-line block ×3, first 2 shown]
	s_mov_b32 s5, s13
.LBB25_2:                               ; =>This Inner Loop Header: Depth=1
	global_load_ushort v9, v[4:5], off
	global_load_ushort v10, v[2:3], off
	v_add_co_u32_e64 v2, s[0:1], s4, v2
	v_addc_co_u32_e64 v3, s[0:1], v3, v7, s[0:1]
	s_add_i32 s17, s5, 1
	v_add_co_u32_e64 v4, s[0:1], s16, v4
	v_addc_co_u32_e64 v5, s[0:1], v5, v8, s[0:1]
	s_cmp_gt_u32 s5, 6
	v_cmp_le_i32_e32 vcc, s7, v1
	s_cselect_b64 s[0:1], -1, 0
	s_or_b64 s[0:1], s[0:1], vcc
	s_and_b64 s[0:1], exec, s[0:1]
	v_add_u32_e32 v1, s19, v1
	s_mov_b32 s5, s17
	s_or_b64 s[2:3], s[0:1], s[2:3]
	s_waitcnt vmcnt(1)
	v_lshlrev_b32_e32 v9, 16, v9
	s_waitcnt vmcnt(0)
	v_lshlrev_b32_e32 v10, 16, v10
	v_fmac_f32_e32 v6, v10, v9
	s_andn2_b64 exec, exec, s[2:3]
	s_cbranch_execnz .LBB25_2
; %bb.3:
	s_or_b64 exec, exec, s[2:3]
.LBB25_4:
	s_or_b64 exec, exec, s[14:15]
	v_and_b32_e32 v1, 63, v0
	v_cmp_gt_u32_e32 vcc, 64, v0
	v_lshlrev_b32_e32 v2, 2, v1
	s_and_saveexec_b64 s[0:1], vcc
	s_cbranch_execz .LBB25_6
; %bb.5:
	v_mov_b32_e32 v3, 0
	ds_write_b32 v2, v3
.LBB25_6:
	s_or_b64 exec, exec, s[0:1]
	v_mbcnt_lo_u32_b32 v3, -1, 0
	v_mbcnt_hi_u32_b32 v5, -1, v3
	v_and_b32_e32 v7, 63, v5
	v_cmp_gt_u32_e64 s[0:1], 32, v7
	v_cndmask_b32_e64 v3, 0, 1, s[0:1]
	v_lshlrev_b32_e32 v3, 5, v3
	v_add_lshl_u32 v3, v3, v5, 2
	ds_bpermute_b32 v3, v3, v6
	v_cmp_gt_u32_e64 s[0:1], 48, v7
	v_cndmask_b32_e64 v4, 0, 1, s[0:1]
	v_lshlrev_b32_e32 v4, 4, v4
	v_add_lshl_u32 v4, v4, v5, 2
	s_waitcnt lgkmcnt(0)
	v_add_f32_e32 v3, v6, v3
	ds_bpermute_b32 v4, v4, v3
	v_cmp_gt_u32_e64 s[0:1], 56, v7
	v_cndmask_b32_e64 v6, 0, 1, s[0:1]
	v_lshlrev_b32_e32 v6, 3, v6
	v_cmp_gt_u32_e64 s[0:1], 60, v7
	s_waitcnt lgkmcnt(0)
	v_add_f32_e32 v3, v3, v4
	v_add_lshl_u32 v4, v6, v5, 2
	ds_bpermute_b32 v4, v4, v3
	v_cndmask_b32_e64 v6, 0, 1, s[0:1]
	v_lshlrev_b32_e32 v6, 2, v6
	v_cmp_gt_u32_e64 s[0:1], 62, v7
	v_cndmask_b32_e64 v8, 0, 1, s[0:1]
	s_waitcnt lgkmcnt(0)
	v_add_f32_e32 v4, v3, v4
	v_add_lshl_u32 v3, v6, v5, 2
	ds_bpermute_b32 v6, v3, v4
	v_lshlrev_b32_e32 v8, 1, v8
	v_cmp_ne_u32_e64 s[0:1], 63, v7
	s_waitcnt lgkmcnt(0)
	s_barrier
	v_add_f32_e32 v6, v4, v6
	v_add_lshl_u32 v4, v8, v5, 2
	ds_bpermute_b32 v8, v4, v6
	v_addc_co_u32_e64 v5, s[0:1], 0, v5, s[0:1]
	v_lshlrev_b32_e32 v5, 2, v5
	v_cmp_eq_u32_e64 s[0:1], 0, v1
	s_waitcnt lgkmcnt(0)
	v_add_f32_e32 v6, v6, v8
	ds_bpermute_b32 v7, v5, v6
	s_waitcnt lgkmcnt(0)
	s_and_saveexec_b64 s[2:3], s[0:1]
	s_cbranch_execz .LBB25_8
; %bb.7:
	v_add_f32_e32 v1, v6, v7
	v_lshrrev_b32_e32 v6, 4, v0
	v_and_b32_e32 v6, 28, v6
	ds_write_b32 v6, v1
.LBB25_8:
	s_or_b64 exec, exec, s[2:3]
	v_cmp_gt_u32_e64 s[0:1], 8, v0
	v_mov_b32_e32 v1, 0
	s_waitcnt lgkmcnt(0)
	s_barrier
	s_and_saveexec_b64 s[2:3], s[0:1]
	s_cbranch_execnz .LBB25_12
; %bb.9:
	s_or_b64 exec, exec, s[2:3]
	s_and_saveexec_b64 s[0:1], vcc
	s_cbranch_execnz .LBB25_13
.LBB25_10:
	s_or_b64 exec, exec, s[0:1]
	v_cmp_eq_u32_e32 vcc, 0, v0
	s_and_saveexec_b64 s[0:1], vcc
	s_cbranch_execnz .LBB25_14
.LBB25_11:
	s_endpgm
.LBB25_12:
	ds_read_b32 v1, v2
	s_or_b64 exec, exec, s[2:3]
	s_and_saveexec_b64 s[0:1], vcc
	s_cbranch_execz .LBB25_10
.LBB25_13:
	s_waitcnt lgkmcnt(0)
	ds_bpermute_b32 v2, v3, v1
	s_waitcnt lgkmcnt(0)
	v_add_f32_e32 v1, v1, v2
	ds_bpermute_b32 v2, v4, v1
	s_waitcnt lgkmcnt(0)
	v_add_f32_e32 v1, v1, v2
	;; [unrolled: 3-line block ×3, first 2 shown]
	s_or_b64 exec, exec, s[0:1]
	v_cmp_eq_u32_e32 vcc, 0, v0
	s_and_saveexec_b64 s[0:1], vcc
	s_cbranch_execz .LBB25_11
.LBB25_14:
	s_cmp_lg_u32 s18, 1
	s_mov_b64 s[0:1], -1
	s_cbranch_scc0 .LBB25_16
; %bb.15:
	s_mul_hi_u32 s1, s18, s12
	s_mul_i32 s0, s18, s12
	s_lshl_b64 s[0:1], s[0:1], 2
	s_mov_b32 s7, 0
	s_add_u32 s2, s8, s0
	s_addc_u32 s3, s9, s1
	s_lshl_b64 s[0:1], s[6:7], 2
	s_add_u32 s0, s2, s0
	s_addc_u32 s1, s3, s1
	v_mov_b32_e32 v0, 0
	s_waitcnt lgkmcnt(0)
	global_store_dword v0, v1, s[0:1]
	s_mov_b64 s[0:1], 0
.LBB25_16:
	s_andn2_b64 vcc, exec, s[0:1]
	s_cbranch_vccnz .LBB25_11
; %bb.17:
	s_mov_b32 s0, 0x7f800000
	s_waitcnt lgkmcnt(0)
	v_and_b32_e32 v0, 0x7f800000, v1
	v_cmp_ne_u32_e32 vcc, s0, v0
                                        ; implicit-def: $vgpr0
	s_and_saveexec_b64 s[0:1], vcc
	s_xor_b64 s[0:1], exec, s[0:1]
; %bb.18:
	v_bfe_u32 v0, v1, 16, 1
	s_movk_i32 s2, 0x7fff
	v_add3_u32 v0, v1, v0, s2
                                        ; implicit-def: $vgpr1
; %bb.19:
	s_andn2_saveexec_b64 s[0:1], s[0:1]
; %bb.20:
	v_mov_b32_e32 v0, 0
	v_or_b32_e32 v2, 0x10000, v1
	v_cmp_eq_u32_sdwa vcc, v1, v0 src0_sel:WORD_0 src1_sel:DWORD
	v_cndmask_b32_e32 v0, v2, v1, vcc
; %bb.21:
	s_or_b64 exec, exec, s[0:1]
	s_lshl_b64 s[0:1], s[12:13], 1
	s_add_u32 s0, s10, s0
	s_addc_u32 s1, s11, s1
	v_mov_b32_e32 v1, 0
	global_store_short_d16_hi v1, v0, s[0:1]
	s_endpgm
	.section	.rodata,"a",@progbits
	.p2align	6, 0x0
	.amdhsa_kernel _ZL18rocblas_dot_kernelIiLb0ELi512ELi8ELb0E16rocblas_bfloat16PKS0_fEviT5_lT_lS3_lS4_liPT6_PT4_
		.amdhsa_group_segment_fixed_size 256
		.amdhsa_private_segment_fixed_size 0
		.amdhsa_kernarg_size 352
		.amdhsa_user_sgpr_count 6
		.amdhsa_user_sgpr_private_segment_buffer 1
		.amdhsa_user_sgpr_dispatch_ptr 0
		.amdhsa_user_sgpr_queue_ptr 0
		.amdhsa_user_sgpr_kernarg_segment_ptr 1
		.amdhsa_user_sgpr_dispatch_id 0
		.amdhsa_user_sgpr_flat_scratch_init 0
		.amdhsa_user_sgpr_kernarg_preload_length 0
		.amdhsa_user_sgpr_kernarg_preload_offset 0
		.amdhsa_user_sgpr_private_segment_size 0
		.amdhsa_uses_dynamic_stack 0
		.amdhsa_system_sgpr_private_segment_wavefront_offset 0
		.amdhsa_system_sgpr_workgroup_id_x 1
		.amdhsa_system_sgpr_workgroup_id_y 0
		.amdhsa_system_sgpr_workgroup_id_z 1
		.amdhsa_system_sgpr_workgroup_info 0
		.amdhsa_system_vgpr_workitem_id 0
		.amdhsa_next_free_vgpr 11
		.amdhsa_next_free_sgpr 28
		.amdhsa_accum_offset 12
		.amdhsa_reserve_vcc 1
		.amdhsa_reserve_flat_scratch 0
		.amdhsa_float_round_mode_32 0
		.amdhsa_float_round_mode_16_64 0
		.amdhsa_float_denorm_mode_32 3
		.amdhsa_float_denorm_mode_16_64 3
		.amdhsa_dx10_clamp 1
		.amdhsa_ieee_mode 1
		.amdhsa_fp16_overflow 0
		.amdhsa_tg_split 0
		.amdhsa_exception_fp_ieee_invalid_op 0
		.amdhsa_exception_fp_denorm_src 0
		.amdhsa_exception_fp_ieee_div_zero 0
		.amdhsa_exception_fp_ieee_overflow 0
		.amdhsa_exception_fp_ieee_underflow 0
		.amdhsa_exception_fp_ieee_inexact 0
		.amdhsa_exception_int_div_zero 0
	.end_amdhsa_kernel
	.section	.text._ZL18rocblas_dot_kernelIiLb0ELi512ELi8ELb0E16rocblas_bfloat16PKS0_fEviT5_lT_lS3_lS4_liPT6_PT4_,"axG",@progbits,_ZL18rocblas_dot_kernelIiLb0ELi512ELi8ELb0E16rocblas_bfloat16PKS0_fEviT5_lT_lS3_lS4_liPT6_PT4_,comdat
.Lfunc_end25:
	.size	_ZL18rocblas_dot_kernelIiLb0ELi512ELi8ELb0E16rocblas_bfloat16PKS0_fEviT5_lT_lS3_lS4_liPT6_PT4_, .Lfunc_end25-_ZL18rocblas_dot_kernelIiLb0ELi512ELi8ELb0E16rocblas_bfloat16PKS0_fEviT5_lT_lS3_lS4_liPT6_PT4_
                                        ; -- End function
	.section	.AMDGPU.csdata,"",@progbits
; Kernel info:
; codeLenInByte = 1108
; NumSgprs: 32
; NumVgprs: 11
; NumAgprs: 0
; TotalNumVgprs: 11
; ScratchSize: 0
; MemoryBound: 0
; FloatMode: 240
; IeeeMode: 1
; LDSByteSize: 256 bytes/workgroup (compile time only)
; SGPRBlocks: 3
; VGPRBlocks: 1
; NumSGPRsForWavesPerEU: 32
; NumVGPRsForWavesPerEU: 11
; AccumOffset: 12
; Occupancy: 8
; WaveLimiterHint : 0
; COMPUTE_PGM_RSRC2:SCRATCH_EN: 0
; COMPUTE_PGM_RSRC2:USER_SGPR: 6
; COMPUTE_PGM_RSRC2:TRAP_HANDLER: 0
; COMPUTE_PGM_RSRC2:TGID_X_EN: 1
; COMPUTE_PGM_RSRC2:TGID_Y_EN: 0
; COMPUTE_PGM_RSRC2:TGID_Z_EN: 1
; COMPUTE_PGM_RSRC2:TIDIG_COMP_CNT: 0
; COMPUTE_PGM_RSRC3_GFX90A:ACCUM_OFFSET: 2
; COMPUTE_PGM_RSRC3_GFX90A:TG_SPLIT: 0
	.section	.text._ZL24rocblas_dot_kernel_magsqIiLb0ELi512ELi8ELb0E16rocblas_bfloat16PKS0_fEviT5_lT_liPT6_PT4_,"axG",@progbits,_ZL24rocblas_dot_kernel_magsqIiLb0ELi512ELi8ELb0E16rocblas_bfloat16PKS0_fEviT5_lT_liPT6_PT4_,comdat
	.globl	_ZL24rocblas_dot_kernel_magsqIiLb0ELi512ELi8ELb0E16rocblas_bfloat16PKS0_fEviT5_lT_liPT6_PT4_ ; -- Begin function _ZL24rocblas_dot_kernel_magsqIiLb0ELi512ELi8ELb0E16rocblas_bfloat16PKS0_fEviT5_lT_liPT6_PT4_
	.p2align	8
	.type	_ZL24rocblas_dot_kernel_magsqIiLb0ELi512ELi8ELb0E16rocblas_bfloat16PKS0_fEviT5_lT_liPT6_PT4_,@function
_ZL24rocblas_dot_kernel_magsqIiLb0ELi512ELi8ELb0E16rocblas_bfloat16PKS0_fEviT5_lT_liPT6_PT4_: ; @_ZL24rocblas_dot_kernel_magsqIiLb0ELi512ELi8ELb0E16rocblas_bfloat16PKS0_fEviT5_lT_liPT6_PT4_
; %bb.0:
	s_mov_b32 s2, s7
	s_load_dword s7, s[4:5], 0x0
	s_load_dwordx4 s[8:11], s[4:5], 0x30
	s_load_dword s16, s[4:5], 0x40
	v_lshl_or_b32 v2, s6, 9, v0
	s_mov_b32 s3, 0
	s_waitcnt lgkmcnt(0)
	v_cmp_gt_i32_e32 vcc, s7, v2
	v_mov_b32_e32 v1, 0
	s_and_saveexec_b64 s[12:13], vcc
	s_cbranch_execz .LBB26_4
; %bb.1:
	s_load_dwordx4 s[20:23], s[4:5], 0x8
	s_load_dword s14, s[4:5], 0x18
	s_load_dwordx2 s[0:1], s[4:5], 0x20
	s_lshl_b32 s17, s16, 9
	v_add_u32_e32 v4, s17, v2
	s_waitcnt lgkmcnt(0)
	v_mad_i64_i32 v[2:3], s[4:5], s14, v2, 0
	s_mul_i32 s1, s1, s2
	s_mul_hi_u32 s4, s0, s2
	s_add_i32 s1, s4, s1
	s_mul_i32 s0, s0, s2
	s_lshl_b64 s[0:1], s[0:1], 1
	s_lshl_b64 s[4:5], s[22:23], 1
	s_add_u32 s4, s20, s4
	s_addc_u32 s5, s21, s5
	s_add_u32 s0, s4, s0
	v_lshlrev_b64 v[2:3], 1, v[2:3]
	s_addc_u32 s1, s5, s1
	v_mov_b32_e32 v1, s1
	v_add_co_u32_e32 v2, vcc, s0, v2
	s_mul_hi_i32 s1, s14, s17
	s_mul_i32 s0, s14, s17
	s_lshl_b64 s[14:15], s[0:1], 1
	v_addc_co_u32_e32 v3, vcc, v1, v3, vcc
	s_mov_b64 s[4:5], 0
	v_mov_b32_e32 v1, 0
	v_mov_b32_e32 v5, s15
	s_mov_b32 s15, s3
.LBB26_2:                               ; =>This Inner Loop Header: Depth=1
	global_load_ushort v6, v[2:3], off
	s_add_i32 s18, s15, 1
	v_add_co_u32_e64 v2, s[0:1], s14, v2
	v_addc_co_u32_e64 v3, s[0:1], v3, v5, s[0:1]
	s_cmp_gt_u32 s15, 6
	v_cmp_le_i32_e32 vcc, s7, v4
	s_cselect_b64 s[0:1], -1, 0
	s_or_b64 s[0:1], s[0:1], vcc
	s_and_b64 s[0:1], exec, s[0:1]
	v_add_u32_e32 v4, s17, v4
	s_mov_b32 s15, s18
	s_or_b64 s[4:5], s[0:1], s[4:5]
	s_waitcnt vmcnt(0)
	v_lshlrev_b32_e32 v6, 16, v6
	v_fmac_f32_e32 v1, v6, v6
	s_andn2_b64 exec, exec, s[4:5]
	s_cbranch_execnz .LBB26_2
; %bb.3:
	s_or_b64 exec, exec, s[4:5]
.LBB26_4:
	s_or_b64 exec, exec, s[12:13]
	v_and_b32_e32 v3, 63, v0
	v_cmp_gt_u32_e32 vcc, 64, v0
	v_lshlrev_b32_e32 v2, 2, v3
	s_and_saveexec_b64 s[0:1], vcc
	s_cbranch_execz .LBB26_6
; %bb.5:
	v_mov_b32_e32 v4, 0
	ds_write_b32 v2, v4
.LBB26_6:
	s_or_b64 exec, exec, s[0:1]
	v_mbcnt_lo_u32_b32 v4, -1, 0
	v_mbcnt_hi_u32_b32 v6, -1, v4
	v_and_b32_e32 v7, 63, v6
	v_cmp_gt_u32_e64 s[0:1], 32, v7
	v_cndmask_b32_e64 v4, 0, 1, s[0:1]
	v_lshlrev_b32_e32 v4, 5, v4
	v_add_lshl_u32 v4, v4, v6, 2
	ds_bpermute_b32 v4, v4, v1
	v_cmp_gt_u32_e64 s[0:1], 48, v7
	v_cndmask_b32_e64 v5, 0, 1, s[0:1]
	v_lshlrev_b32_e32 v5, 4, v5
	v_cmp_gt_u32_e64 s[0:1], 56, v7
	s_waitcnt lgkmcnt(0)
	v_add_f32_e32 v1, v1, v4
	v_add_lshl_u32 v4, v5, v6, 2
	ds_bpermute_b32 v4, v4, v1
	v_cndmask_b32_e64 v5, 0, 1, s[0:1]
	v_lshlrev_b32_e32 v5, 3, v5
	v_cmp_gt_u32_e64 s[0:1], 60, v7
	s_waitcnt lgkmcnt(0)
	v_add_f32_e32 v1, v1, v4
	v_add_lshl_u32 v4, v5, v6, 2
	ds_bpermute_b32 v4, v4, v1
	v_cndmask_b32_e64 v5, 0, 1, s[0:1]
	v_lshlrev_b32_e32 v5, 2, v5
	v_cmp_gt_u32_e64 s[0:1], 62, v7
	v_cndmask_b32_e64 v8, 0, 1, s[0:1]
	s_waitcnt lgkmcnt(0)
	v_add_f32_e32 v1, v1, v4
	v_add_lshl_u32 v4, v5, v6, 2
	ds_bpermute_b32 v5, v4, v1
	v_lshlrev_b32_e32 v8, 1, v8
	v_cmp_ne_u32_e64 s[0:1], 63, v7
	s_barrier
	s_waitcnt lgkmcnt(0)
	v_add_f32_e32 v1, v1, v5
	v_add_lshl_u32 v5, v8, v6, 2
	ds_bpermute_b32 v8, v5, v1
	v_addc_co_u32_e64 v6, s[0:1], 0, v6, s[0:1]
	v_lshlrev_b32_e32 v6, 2, v6
	v_cmp_eq_u32_e64 s[0:1], 0, v3
	s_waitcnt lgkmcnt(0)
	v_add_f32_e32 v1, v1, v8
	ds_bpermute_b32 v7, v6, v1
	s_and_saveexec_b64 s[4:5], s[0:1]
	s_cbranch_execz .LBB26_8
; %bb.7:
	v_lshrrev_b32_e32 v3, 4, v0
	s_waitcnt lgkmcnt(0)
	v_add_f32_e32 v1, v1, v7
	v_and_b32_e32 v3, 28, v3
	ds_write_b32 v3, v1
.LBB26_8:
	s_or_b64 exec, exec, s[4:5]
	v_cmp_gt_u32_e64 s[0:1], 8, v0
	v_mov_b32_e32 v1, 0
	s_waitcnt lgkmcnt(0)
	s_barrier
	s_and_saveexec_b64 s[4:5], s[0:1]
	s_cbranch_execnz .LBB26_12
; %bb.9:
	s_or_b64 exec, exec, s[4:5]
	s_and_saveexec_b64 s[0:1], vcc
	s_cbranch_execnz .LBB26_13
.LBB26_10:
	s_or_b64 exec, exec, s[0:1]
	v_cmp_eq_u32_e32 vcc, 0, v0
	s_and_saveexec_b64 s[0:1], vcc
	s_cbranch_execnz .LBB26_14
.LBB26_11:
	s_endpgm
.LBB26_12:
	ds_read_b32 v1, v2
	s_or_b64 exec, exec, s[4:5]
	s_and_saveexec_b64 s[0:1], vcc
	s_cbranch_execz .LBB26_10
.LBB26_13:
	s_waitcnt lgkmcnt(0)
	ds_bpermute_b32 v2, v4, v1
	s_waitcnt lgkmcnt(0)
	v_add_f32_e32 v1, v1, v2
	ds_bpermute_b32 v2, v5, v1
	s_waitcnt lgkmcnt(0)
	v_add_f32_e32 v1, v1, v2
	ds_bpermute_b32 v2, v6, v1
	s_waitcnt lgkmcnt(0)
	v_add_f32_e32 v1, v1, v2
	s_or_b64 exec, exec, s[0:1]
	v_cmp_eq_u32_e32 vcc, 0, v0
	s_and_saveexec_b64 s[0:1], vcc
	s_cbranch_execz .LBB26_11
.LBB26_14:
	s_cmp_lg_u32 s16, 1
	s_mov_b64 s[0:1], -1
	s_cbranch_scc0 .LBB26_16
; %bb.15:
	s_mul_hi_u32 s1, s16, s2
	s_mul_i32 s0, s16, s2
	s_lshl_b64 s[0:1], s[0:1], 2
	s_mov_b32 s7, 0
	s_add_u32 s4, s8, s0
	s_addc_u32 s5, s9, s1
	s_lshl_b64 s[0:1], s[6:7], 2
	s_add_u32 s0, s4, s0
	s_addc_u32 s1, s5, s1
	v_mov_b32_e32 v0, 0
	s_waitcnt lgkmcnt(0)
	global_store_dword v0, v1, s[0:1]
	s_mov_b64 s[0:1], 0
.LBB26_16:
	s_andn2_b64 vcc, exec, s[0:1]
	s_cbranch_vccnz .LBB26_11
; %bb.17:
	s_mov_b32 s0, 0x7f800000
	s_waitcnt lgkmcnt(0)
	v_and_b32_e32 v0, 0x7f800000, v1
	v_cmp_ne_u32_e32 vcc, s0, v0
                                        ; implicit-def: $vgpr0
	s_and_saveexec_b64 s[0:1], vcc
	s_xor_b64 s[0:1], exec, s[0:1]
; %bb.18:
	v_bfe_u32 v0, v1, 16, 1
	s_movk_i32 s4, 0x7fff
	v_add3_u32 v0, v1, v0, s4
                                        ; implicit-def: $vgpr1
; %bb.19:
	s_andn2_saveexec_b64 s[0:1], s[0:1]
; %bb.20:
	v_mov_b32_e32 v0, 0
	v_or_b32_e32 v2, 0x10000, v1
	v_cmp_eq_u32_sdwa vcc, v1, v0 src0_sel:WORD_0 src1_sel:DWORD
	v_cndmask_b32_e32 v0, v2, v1, vcc
; %bb.21:
	s_or_b64 exec, exec, s[0:1]
	s_lshl_b64 s[0:1], s[2:3], 1
	s_add_u32 s0, s10, s0
	s_addc_u32 s1, s11, s1
	v_mov_b32_e32 v1, 0
	global_store_short_d16_hi v1, v0, s[0:1]
	s_endpgm
	.section	.rodata,"a",@progbits
	.p2align	6, 0x0
	.amdhsa_kernel _ZL24rocblas_dot_kernel_magsqIiLb0ELi512ELi8ELb0E16rocblas_bfloat16PKS0_fEviT5_lT_liPT6_PT4_
		.amdhsa_group_segment_fixed_size 256
		.amdhsa_private_segment_fixed_size 0
		.amdhsa_kernarg_size 320
		.amdhsa_user_sgpr_count 6
		.amdhsa_user_sgpr_private_segment_buffer 1
		.amdhsa_user_sgpr_dispatch_ptr 0
		.amdhsa_user_sgpr_queue_ptr 0
		.amdhsa_user_sgpr_kernarg_segment_ptr 1
		.amdhsa_user_sgpr_dispatch_id 0
		.amdhsa_user_sgpr_flat_scratch_init 0
		.amdhsa_user_sgpr_kernarg_preload_length 0
		.amdhsa_user_sgpr_kernarg_preload_offset 0
		.amdhsa_user_sgpr_private_segment_size 0
		.amdhsa_uses_dynamic_stack 0
		.amdhsa_system_sgpr_private_segment_wavefront_offset 0
		.amdhsa_system_sgpr_workgroup_id_x 1
		.amdhsa_system_sgpr_workgroup_id_y 0
		.amdhsa_system_sgpr_workgroup_id_z 1
		.amdhsa_system_sgpr_workgroup_info 0
		.amdhsa_system_vgpr_workitem_id 0
		.amdhsa_next_free_vgpr 9
		.amdhsa_next_free_sgpr 24
		.amdhsa_accum_offset 12
		.amdhsa_reserve_vcc 1
		.amdhsa_reserve_flat_scratch 0
		.amdhsa_float_round_mode_32 0
		.amdhsa_float_round_mode_16_64 0
		.amdhsa_float_denorm_mode_32 3
		.amdhsa_float_denorm_mode_16_64 3
		.amdhsa_dx10_clamp 1
		.amdhsa_ieee_mode 1
		.amdhsa_fp16_overflow 0
		.amdhsa_tg_split 0
		.amdhsa_exception_fp_ieee_invalid_op 0
		.amdhsa_exception_fp_denorm_src 0
		.amdhsa_exception_fp_ieee_div_zero 0
		.amdhsa_exception_fp_ieee_overflow 0
		.amdhsa_exception_fp_ieee_underflow 0
		.amdhsa_exception_fp_ieee_inexact 0
		.amdhsa_exception_int_div_zero 0
	.end_amdhsa_kernel
	.section	.text._ZL24rocblas_dot_kernel_magsqIiLb0ELi512ELi8ELb0E16rocblas_bfloat16PKS0_fEviT5_lT_liPT6_PT4_,"axG",@progbits,_ZL24rocblas_dot_kernel_magsqIiLb0ELi512ELi8ELb0E16rocblas_bfloat16PKS0_fEviT5_lT_liPT6_PT4_,comdat
.Lfunc_end26:
	.size	_ZL24rocblas_dot_kernel_magsqIiLb0ELi512ELi8ELb0E16rocblas_bfloat16PKS0_fEviT5_lT_liPT6_PT4_, .Lfunc_end26-_ZL24rocblas_dot_kernel_magsqIiLb0ELi512ELi8ELb0E16rocblas_bfloat16PKS0_fEviT5_lT_liPT6_PT4_
                                        ; -- End function
	.section	.AMDGPU.csdata,"",@progbits
; Kernel info:
; codeLenInByte = 968
; NumSgprs: 28
; NumVgprs: 9
; NumAgprs: 0
; TotalNumVgprs: 9
; ScratchSize: 0
; MemoryBound: 0
; FloatMode: 240
; IeeeMode: 1
; LDSByteSize: 256 bytes/workgroup (compile time only)
; SGPRBlocks: 3
; VGPRBlocks: 1
; NumSGPRsForWavesPerEU: 28
; NumVGPRsForWavesPerEU: 9
; AccumOffset: 12
; Occupancy: 8
; WaveLimiterHint : 0
; COMPUTE_PGM_RSRC2:SCRATCH_EN: 0
; COMPUTE_PGM_RSRC2:USER_SGPR: 6
; COMPUTE_PGM_RSRC2:TRAP_HANDLER: 0
; COMPUTE_PGM_RSRC2:TGID_X_EN: 1
; COMPUTE_PGM_RSRC2:TGID_Y_EN: 0
; COMPUTE_PGM_RSRC2:TGID_Z_EN: 1
; COMPUTE_PGM_RSRC2:TIDIG_COMP_CNT: 0
; COMPUTE_PGM_RSRC3_GFX90A:ACCUM_OFFSET: 2
; COMPUTE_PGM_RSRC3_GFX90A:TG_SPLIT: 0
	.section	.text._ZL28rocblas_dot_batched_4_kernelIiLi32ELi4ELb0EffPK16rocblas_bfloat16EviT5_lT_lS3_lS4_liPT4_,"axG",@progbits,_ZL28rocblas_dot_batched_4_kernelIiLi32ELi4ELb0EffPK16rocblas_bfloat16EviT5_lT_lS3_lS4_liPT4_,comdat
	.globl	_ZL28rocblas_dot_batched_4_kernelIiLi32ELi4ELb0EffPK16rocblas_bfloat16EviT5_lT_lS3_lS4_liPT4_ ; -- Begin function _ZL28rocblas_dot_batched_4_kernelIiLi32ELi4ELb0EffPK16rocblas_bfloat16EviT5_lT_lS3_lS4_liPT4_
	.p2align	8
	.type	_ZL28rocblas_dot_batched_4_kernelIiLi32ELi4ELb0EffPK16rocblas_bfloat16EviT5_lT_lS3_lS4_liPT4_,@function
_ZL28rocblas_dot_batched_4_kernelIiLi32ELi4ELb0EffPK16rocblas_bfloat16EviT5_lT_lS3_lS4_liPT4_: ; @_ZL28rocblas_dot_batched_4_kernelIiLi32ELi4ELb0EffPK16rocblas_bfloat16EviT5_lT_lS3_lS4_liPT4_
; %bb.0:
	s_load_dword s0, s[4:5], 0x48
	v_bfe_u32 v1, v0, 10, 10
	v_lshl_add_u32 v2, s6, 2, v1
	s_waitcnt lgkmcnt(0)
	v_cmp_gt_u32_e32 vcc, s0, v2
	s_and_saveexec_b64 s[0:1], vcc
	s_cbranch_execz .LBB27_7
; %bb.1:
	s_load_dword s10, s[4:5], 0x0
	s_load_dwordx2 s[0:1], s[4:5], 0x50
	v_mov_b32_e32 v3, 0
	v_and_b32_e32 v6, 0x3ff, v0
	v_mov_b32_e32 v7, v3
	s_waitcnt lgkmcnt(0)
	v_cmp_gt_i32_e32 vcc, s10, v6
	s_and_saveexec_b64 s[2:3], vcc
	s_cbranch_execz .LBB27_5
; %bb.2:
	s_load_dwordx4 s[12:15], s[4:5], 0x8
	s_load_dword s6, s[4:5], 0x18
	s_load_dword s8, s[4:5], 0x38
	s_load_dwordx4 s[16:19], s[4:5], 0x20
	s_load_dwordx2 s[20:21], s[4:5], 0x30
	s_load_dwordx2 s[22:23], s[4:5], 0x40
	s_waitcnt lgkmcnt(0)
	v_mad_i64_i32 v[0:1], s[4:5], s6, v6, 0
	v_mad_u64_u32 v[4:5], s[4:5], s16, v2, 0
	v_mov_b32_e32 v8, v5
	v_mad_u64_u32 v[8:9], s[4:5], s17, v2, v[8:9]
	v_mov_b32_e32 v5, v8
	s_ashr_i32 s7, s6, 31
	s_ashr_i32 s9, s8, 31
	v_lshlrev_b64 v[0:1], 1, v[0:1]
	v_lshlrev_b64 v[4:5], 1, v[4:5]
	s_lshl_b64 s[4:5], s[14:15], 1
	v_add_co_u32_e32 v0, vcc, v0, v4
	s_add_u32 s4, s12, s4
	v_addc_co_u32_e32 v1, vcc, v1, v5, vcc
	s_addc_u32 s5, s13, s5
	v_mov_b32_e32 v4, s5
	v_add_co_u32_e32 v0, vcc, s4, v0
	s_lshl_b64 s[4:5], s[6:7], 6
	v_mad_u64_u32 v[8:9], s[6:7], s22, v2, 0
	v_mov_b32_e32 v10, v9
	v_mad_u64_u32 v[10:11], s[6:7], s23, v2, v[10:11]
	v_addc_co_u32_e32 v1, vcc, v4, v1, vcc
	v_mad_i64_i32 v[4:5], s[6:7], s8, v6, 0
	v_mov_b32_e32 v9, v10
	v_lshlrev_b64 v[4:5], 1, v[4:5]
	v_lshlrev_b64 v[8:9], 1, v[8:9]
	s_lshl_b64 s[6:7], s[20:21], 1
	v_add_co_u32_e32 v4, vcc, v4, v8
	s_add_u32 s6, s18, s6
	v_addc_co_u32_e32 v5, vcc, v5, v9, vcc
	s_addc_u32 s7, s19, s7
	v_mov_b32_e32 v7, s7
	v_add_co_u32_e32 v4, vcc, s6, v4
	s_lshl_b64 s[8:9], s[8:9], 6
	v_addc_co_u32_e32 v5, vcc, v7, v5, vcc
	s_mov_b64 s[6:7], 0
	v_mov_b32_e32 v7, 0
	v_mov_b32_e32 v8, s5
	;; [unrolled: 1-line block ×4, first 2 shown]
.LBB27_3:                               ; =>This Inner Loop Header: Depth=1
	global_load_ushort v11, v[0:1], off
	global_load_ushort v12, v[4:5], off
	v_add_co_u32_e32 v0, vcc, s4, v0
	v_addc_co_u32_e32 v1, vcc, v1, v8, vcc
	v_add_co_u32_e32 v4, vcc, s8, v4
	v_add_u32_e32 v10, 32, v10
	v_addc_co_u32_e32 v5, vcc, v5, v9, vcc
	v_cmp_le_i32_e32 vcc, s10, v10
	s_or_b64 s[6:7], vcc, s[6:7]
	s_waitcnt vmcnt(1)
	v_lshlrev_b32_e32 v11, 16, v11
	s_waitcnt vmcnt(0)
	v_lshlrev_b32_e32 v12, 16, v12
	v_fmac_f32_e32 v7, v12, v11
	s_andn2_b64 exec, exec, s[6:7]
	s_cbranch_execnz .LBB27_3
; %bb.4:
	s_or_b64 exec, exec, s[6:7]
.LBB27_5:
	s_or_b64 exec, exec, s[2:3]
	v_mbcnt_lo_u32_b32 v0, -1, 0
	v_mbcnt_hi_u32_b32 v0, -1, v0
	v_and_b32_e32 v1, 63, v0
	v_cmp_gt_u32_e32 vcc, 48, v1
	v_cndmask_b32_e64 v4, 0, 1, vcc
	v_lshlrev_b32_e32 v4, 4, v4
	v_add_lshl_u32 v4, v4, v0, 2
	ds_bpermute_b32 v4, v4, v7
	v_cmp_gt_u32_e32 vcc, 56, v1
	v_cndmask_b32_e64 v5, 0, 1, vcc
	v_lshlrev_b32_e32 v5, 3, v5
	v_add_lshl_u32 v5, v5, v0, 2
	s_waitcnt lgkmcnt(0)
	v_add_f32_e32 v4, v7, v4
	ds_bpermute_b32 v5, v5, v4
	v_cmp_gt_u32_e32 vcc, 60, v1
	v_cndmask_b32_e64 v7, 0, 1, vcc
	v_lshlrev_b32_e32 v7, 2, v7
	v_cmp_gt_u32_e32 vcc, 62, v1
	s_waitcnt lgkmcnt(0)
	v_add_f32_e32 v4, v4, v5
	v_add_lshl_u32 v5, v7, v0, 2
	ds_bpermute_b32 v5, v5, v4
	v_cndmask_b32_e64 v7, 0, 1, vcc
	v_lshlrev_b32_e32 v7, 1, v7
	v_cmp_ne_u32_e32 vcc, 63, v1
	v_addc_co_u32_e32 v1, vcc, 0, v0, vcc
	s_waitcnt lgkmcnt(0)
	v_add_f32_e32 v4, v4, v5
	v_add_lshl_u32 v5, v7, v0, 2
	ds_bpermute_b32 v5, v5, v4
	v_lshlrev_b32_e32 v1, 2, v1
	v_cmp_eq_u32_e32 vcc, 0, v6
	s_waitcnt lgkmcnt(0)
	s_barrier
	v_add_f32_e32 v0, v4, v5
	ds_bpermute_b32 v1, v1, v0
	s_waitcnt lgkmcnt(0)
	s_and_b64 exec, exec, vcc
	s_cbranch_execz .LBB27_7
; %bb.6:
	v_lshlrev_b64 v[2:3], 2, v[2:3]
	v_mov_b32_e32 v4, s1
	v_add_co_u32_e32 v2, vcc, s0, v2
	v_addc_co_u32_e32 v3, vcc, v4, v3, vcc
	v_add_f32_e32 v0, v0, v1
	global_store_dword v[2:3], v0, off
.LBB27_7:
	s_endpgm
	.section	.rodata,"a",@progbits
	.p2align	6, 0x0
	.amdhsa_kernel _ZL28rocblas_dot_batched_4_kernelIiLi32ELi4ELb0EffPK16rocblas_bfloat16EviT5_lT_lS3_lS4_liPT4_
		.amdhsa_group_segment_fixed_size 0
		.amdhsa_private_segment_fixed_size 0
		.amdhsa_kernarg_size 88
		.amdhsa_user_sgpr_count 6
		.amdhsa_user_sgpr_private_segment_buffer 1
		.amdhsa_user_sgpr_dispatch_ptr 0
		.amdhsa_user_sgpr_queue_ptr 0
		.amdhsa_user_sgpr_kernarg_segment_ptr 1
		.amdhsa_user_sgpr_dispatch_id 0
		.amdhsa_user_sgpr_flat_scratch_init 0
		.amdhsa_user_sgpr_kernarg_preload_length 0
		.amdhsa_user_sgpr_kernarg_preload_offset 0
		.amdhsa_user_sgpr_private_segment_size 0
		.amdhsa_uses_dynamic_stack 0
		.amdhsa_system_sgpr_private_segment_wavefront_offset 0
		.amdhsa_system_sgpr_workgroup_id_x 1
		.amdhsa_system_sgpr_workgroup_id_y 0
		.amdhsa_system_sgpr_workgroup_id_z 0
		.amdhsa_system_sgpr_workgroup_info 0
		.amdhsa_system_vgpr_workitem_id 1
		.amdhsa_next_free_vgpr 13
		.amdhsa_next_free_sgpr 24
		.amdhsa_accum_offset 16
		.amdhsa_reserve_vcc 1
		.amdhsa_reserve_flat_scratch 0
		.amdhsa_float_round_mode_32 0
		.amdhsa_float_round_mode_16_64 0
		.amdhsa_float_denorm_mode_32 3
		.amdhsa_float_denorm_mode_16_64 3
		.amdhsa_dx10_clamp 1
		.amdhsa_ieee_mode 1
		.amdhsa_fp16_overflow 0
		.amdhsa_tg_split 0
		.amdhsa_exception_fp_ieee_invalid_op 0
		.amdhsa_exception_fp_denorm_src 0
		.amdhsa_exception_fp_ieee_div_zero 0
		.amdhsa_exception_fp_ieee_overflow 0
		.amdhsa_exception_fp_ieee_underflow 0
		.amdhsa_exception_fp_ieee_inexact 0
		.amdhsa_exception_int_div_zero 0
	.end_amdhsa_kernel
	.section	.text._ZL28rocblas_dot_batched_4_kernelIiLi32ELi4ELb0EffPK16rocblas_bfloat16EviT5_lT_lS3_lS4_liPT4_,"axG",@progbits,_ZL28rocblas_dot_batched_4_kernelIiLi32ELi4ELb0EffPK16rocblas_bfloat16EviT5_lT_lS3_lS4_liPT4_,comdat
.Lfunc_end27:
	.size	_ZL28rocblas_dot_batched_4_kernelIiLi32ELi4ELb0EffPK16rocblas_bfloat16EviT5_lT_lS3_lS4_liPT4_, .Lfunc_end27-_ZL28rocblas_dot_batched_4_kernelIiLi32ELi4ELb0EffPK16rocblas_bfloat16EviT5_lT_lS3_lS4_liPT4_
                                        ; -- End function
	.section	.AMDGPU.csdata,"",@progbits
; Kernel info:
; codeLenInByte = 672
; NumSgprs: 28
; NumVgprs: 13
; NumAgprs: 0
; TotalNumVgprs: 13
; ScratchSize: 0
; MemoryBound: 0
; FloatMode: 240
; IeeeMode: 1
; LDSByteSize: 0 bytes/workgroup (compile time only)
; SGPRBlocks: 3
; VGPRBlocks: 1
; NumSGPRsForWavesPerEU: 28
; NumVGPRsForWavesPerEU: 13
; AccumOffset: 16
; Occupancy: 8
; WaveLimiterHint : 0
; COMPUTE_PGM_RSRC2:SCRATCH_EN: 0
; COMPUTE_PGM_RSRC2:USER_SGPR: 6
; COMPUTE_PGM_RSRC2:TRAP_HANDLER: 0
; COMPUTE_PGM_RSRC2:TGID_X_EN: 1
; COMPUTE_PGM_RSRC2:TGID_Y_EN: 0
; COMPUTE_PGM_RSRC2:TGID_Z_EN: 0
; COMPUTE_PGM_RSRC2:TIDIG_COMP_CNT: 1
; COMPUTE_PGM_RSRC3_GFX90A:ACCUM_OFFSET: 3
; COMPUTE_PGM_RSRC3_GFX90A:TG_SPLIT: 0
	.section	.text._ZL28rocblas_dot_batched_4_kernelIiLi64ELi4ELb0EffPK16rocblas_bfloat16EviT5_lT_lS3_lS4_liPT4_,"axG",@progbits,_ZL28rocblas_dot_batched_4_kernelIiLi64ELi4ELb0EffPK16rocblas_bfloat16EviT5_lT_lS3_lS4_liPT4_,comdat
	.globl	_ZL28rocblas_dot_batched_4_kernelIiLi64ELi4ELb0EffPK16rocblas_bfloat16EviT5_lT_lS3_lS4_liPT4_ ; -- Begin function _ZL28rocblas_dot_batched_4_kernelIiLi64ELi4ELb0EffPK16rocblas_bfloat16EviT5_lT_lS3_lS4_liPT4_
	.p2align	8
	.type	_ZL28rocblas_dot_batched_4_kernelIiLi64ELi4ELb0EffPK16rocblas_bfloat16EviT5_lT_lS3_lS4_liPT4_,@function
_ZL28rocblas_dot_batched_4_kernelIiLi64ELi4ELb0EffPK16rocblas_bfloat16EviT5_lT_lS3_lS4_liPT4_: ; @_ZL28rocblas_dot_batched_4_kernelIiLi64ELi4ELb0EffPK16rocblas_bfloat16EviT5_lT_lS3_lS4_liPT4_
; %bb.0:
	s_load_dword s0, s[4:5], 0x48
	v_bfe_u32 v1, v0, 10, 10
	v_lshl_add_u32 v2, s6, 2, v1
	s_waitcnt lgkmcnt(0)
	v_cmp_gt_u32_e32 vcc, s0, v2
	s_and_saveexec_b64 s[0:1], vcc
	s_cbranch_execz .LBB28_7
; %bb.1:
	s_load_dword s10, s[4:5], 0x0
	s_load_dwordx2 s[0:1], s[4:5], 0x50
	v_mov_b32_e32 v3, 0
	v_and_b32_e32 v6, 0x3ff, v0
	v_mov_b32_e32 v7, v3
	s_waitcnt lgkmcnt(0)
	v_cmp_gt_i32_e32 vcc, s10, v6
	s_and_saveexec_b64 s[2:3], vcc
	s_cbranch_execz .LBB28_5
; %bb.2:
	s_load_dwordx4 s[12:15], s[4:5], 0x8
	s_load_dword s6, s[4:5], 0x18
	s_load_dword s8, s[4:5], 0x38
	s_load_dwordx4 s[16:19], s[4:5], 0x20
	s_load_dwordx2 s[20:21], s[4:5], 0x30
	s_load_dwordx2 s[22:23], s[4:5], 0x40
	s_waitcnt lgkmcnt(0)
	v_mad_i64_i32 v[0:1], s[4:5], s6, v6, 0
	v_mad_u64_u32 v[4:5], s[4:5], s16, v2, 0
	v_mov_b32_e32 v8, v5
	v_mad_u64_u32 v[8:9], s[4:5], s17, v2, v[8:9]
	v_mov_b32_e32 v5, v8
	s_ashr_i32 s7, s6, 31
	s_ashr_i32 s9, s8, 31
	v_lshlrev_b64 v[0:1], 1, v[0:1]
	v_lshlrev_b64 v[4:5], 1, v[4:5]
	s_lshl_b64 s[4:5], s[14:15], 1
	v_add_co_u32_e32 v0, vcc, v0, v4
	s_add_u32 s4, s12, s4
	v_addc_co_u32_e32 v1, vcc, v1, v5, vcc
	s_addc_u32 s5, s13, s5
	v_mov_b32_e32 v4, s5
	v_add_co_u32_e32 v0, vcc, s4, v0
	s_lshl_b64 s[4:5], s[6:7], 7
	v_mad_u64_u32 v[8:9], s[6:7], s22, v2, 0
	v_mov_b32_e32 v10, v9
	v_mad_u64_u32 v[10:11], s[6:7], s23, v2, v[10:11]
	v_addc_co_u32_e32 v1, vcc, v4, v1, vcc
	v_mad_i64_i32 v[4:5], s[6:7], s8, v6, 0
	v_mov_b32_e32 v9, v10
	v_lshlrev_b64 v[4:5], 1, v[4:5]
	v_lshlrev_b64 v[8:9], 1, v[8:9]
	s_lshl_b64 s[6:7], s[20:21], 1
	v_add_co_u32_e32 v4, vcc, v4, v8
	s_add_u32 s6, s18, s6
	v_addc_co_u32_e32 v5, vcc, v5, v9, vcc
	s_addc_u32 s7, s19, s7
	v_mov_b32_e32 v7, s7
	v_add_co_u32_e32 v4, vcc, s6, v4
	s_lshl_b64 s[8:9], s[8:9], 7
	v_addc_co_u32_e32 v5, vcc, v7, v5, vcc
	s_mov_b64 s[6:7], 0
	v_mov_b32_e32 v7, 0
	v_mov_b32_e32 v8, s5
	v_mov_b32_e32 v9, s9
	v_mov_b32_e32 v10, v6
.LBB28_3:                               ; =>This Inner Loop Header: Depth=1
	global_load_ushort v11, v[0:1], off
	global_load_ushort v12, v[4:5], off
	v_add_co_u32_e32 v0, vcc, s4, v0
	v_addc_co_u32_e32 v1, vcc, v1, v8, vcc
	v_add_co_u32_e32 v4, vcc, s8, v4
	v_add_u32_e32 v10, 64, v10
	v_addc_co_u32_e32 v5, vcc, v5, v9, vcc
	v_cmp_le_i32_e32 vcc, s10, v10
	s_or_b64 s[6:7], vcc, s[6:7]
	s_waitcnt vmcnt(1)
	v_lshlrev_b32_e32 v11, 16, v11
	s_waitcnt vmcnt(0)
	v_lshlrev_b32_e32 v12, 16, v12
	v_fmac_f32_e32 v7, v12, v11
	s_andn2_b64 exec, exec, s[6:7]
	s_cbranch_execnz .LBB28_3
; %bb.4:
	s_or_b64 exec, exec, s[6:7]
.LBB28_5:
	s_or_b64 exec, exec, s[2:3]
	v_mbcnt_lo_u32_b32 v0, -1, 0
	v_mbcnt_hi_u32_b32 v0, -1, v0
	v_and_b32_e32 v1, 63, v0
	v_cmp_gt_u32_e32 vcc, 32, v1
	v_cndmask_b32_e64 v4, 0, 1, vcc
	v_lshlrev_b32_e32 v4, 5, v4
	v_add_lshl_u32 v4, v4, v0, 2
	ds_bpermute_b32 v4, v4, v7
	v_cmp_gt_u32_e32 vcc, 48, v1
	v_cndmask_b32_e64 v5, 0, 1, vcc
	v_lshlrev_b32_e32 v5, 4, v5
	v_add_lshl_u32 v5, v5, v0, 2
	s_waitcnt lgkmcnt(0)
	v_add_f32_e32 v4, v7, v4
	ds_bpermute_b32 v5, v5, v4
	v_cmp_gt_u32_e32 vcc, 56, v1
	v_cndmask_b32_e64 v7, 0, 1, vcc
	v_lshlrev_b32_e32 v7, 3, v7
	v_cmp_gt_u32_e32 vcc, 60, v1
	s_waitcnt lgkmcnt(0)
	v_add_f32_e32 v4, v4, v5
	v_add_lshl_u32 v5, v7, v0, 2
	ds_bpermute_b32 v5, v5, v4
	v_cndmask_b32_e64 v7, 0, 1, vcc
	v_lshlrev_b32_e32 v7, 2, v7
	v_cmp_gt_u32_e32 vcc, 62, v1
	s_waitcnt lgkmcnt(0)
	v_add_f32_e32 v4, v4, v5
	v_add_lshl_u32 v5, v7, v0, 2
	ds_bpermute_b32 v5, v5, v4
	v_cndmask_b32_e64 v7, 0, 1, vcc
	v_lshlrev_b32_e32 v7, 1, v7
	v_cmp_ne_u32_e32 vcc, 63, v1
	v_addc_co_u32_e32 v1, vcc, 0, v0, vcc
	s_waitcnt lgkmcnt(0)
	v_add_f32_e32 v4, v4, v5
	v_add_lshl_u32 v5, v7, v0, 2
	ds_bpermute_b32 v5, v5, v4
	v_lshlrev_b32_e32 v1, 2, v1
	v_cmp_eq_u32_e32 vcc, 0, v6
	s_barrier
	s_waitcnt lgkmcnt(0)
	v_add_f32_e32 v0, v4, v5
	ds_bpermute_b32 v1, v1, v0
	s_and_b64 exec, exec, vcc
	s_cbranch_execz .LBB28_7
; %bb.6:
	v_lshlrev_b64 v[2:3], 2, v[2:3]
	v_mov_b32_e32 v4, s1
	v_add_co_u32_e32 v2, vcc, s0, v2
	v_addc_co_u32_e32 v3, vcc, v4, v3, vcc
	s_waitcnt lgkmcnt(0)
	v_add_f32_e32 v0, v0, v1
	global_store_dword v[2:3], v0, off
.LBB28_7:
	s_endpgm
	.section	.rodata,"a",@progbits
	.p2align	6, 0x0
	.amdhsa_kernel _ZL28rocblas_dot_batched_4_kernelIiLi64ELi4ELb0EffPK16rocblas_bfloat16EviT5_lT_lS3_lS4_liPT4_
		.amdhsa_group_segment_fixed_size 0
		.amdhsa_private_segment_fixed_size 0
		.amdhsa_kernarg_size 88
		.amdhsa_user_sgpr_count 6
		.amdhsa_user_sgpr_private_segment_buffer 1
		.amdhsa_user_sgpr_dispatch_ptr 0
		.amdhsa_user_sgpr_queue_ptr 0
		.amdhsa_user_sgpr_kernarg_segment_ptr 1
		.amdhsa_user_sgpr_dispatch_id 0
		.amdhsa_user_sgpr_flat_scratch_init 0
		.amdhsa_user_sgpr_kernarg_preload_length 0
		.amdhsa_user_sgpr_kernarg_preload_offset 0
		.amdhsa_user_sgpr_private_segment_size 0
		.amdhsa_uses_dynamic_stack 0
		.amdhsa_system_sgpr_private_segment_wavefront_offset 0
		.amdhsa_system_sgpr_workgroup_id_x 1
		.amdhsa_system_sgpr_workgroup_id_y 0
		.amdhsa_system_sgpr_workgroup_id_z 0
		.amdhsa_system_sgpr_workgroup_info 0
		.amdhsa_system_vgpr_workitem_id 1
		.amdhsa_next_free_vgpr 13
		.amdhsa_next_free_sgpr 24
		.amdhsa_accum_offset 16
		.amdhsa_reserve_vcc 1
		.amdhsa_reserve_flat_scratch 0
		.amdhsa_float_round_mode_32 0
		.amdhsa_float_round_mode_16_64 0
		.amdhsa_float_denorm_mode_32 3
		.amdhsa_float_denorm_mode_16_64 3
		.amdhsa_dx10_clamp 1
		.amdhsa_ieee_mode 1
		.amdhsa_fp16_overflow 0
		.amdhsa_tg_split 0
		.amdhsa_exception_fp_ieee_invalid_op 0
		.amdhsa_exception_fp_denorm_src 0
		.amdhsa_exception_fp_ieee_div_zero 0
		.amdhsa_exception_fp_ieee_overflow 0
		.amdhsa_exception_fp_ieee_underflow 0
		.amdhsa_exception_fp_ieee_inexact 0
		.amdhsa_exception_int_div_zero 0
	.end_amdhsa_kernel
	.section	.text._ZL28rocblas_dot_batched_4_kernelIiLi64ELi4ELb0EffPK16rocblas_bfloat16EviT5_lT_lS3_lS4_liPT4_,"axG",@progbits,_ZL28rocblas_dot_batched_4_kernelIiLi64ELi4ELb0EffPK16rocblas_bfloat16EviT5_lT_lS3_lS4_liPT4_,comdat
.Lfunc_end28:
	.size	_ZL28rocblas_dot_batched_4_kernelIiLi64ELi4ELb0EffPK16rocblas_bfloat16EviT5_lT_lS3_lS4_liPT4_, .Lfunc_end28-_ZL28rocblas_dot_batched_4_kernelIiLi64ELi4ELb0EffPK16rocblas_bfloat16EviT5_lT_lS3_lS4_liPT4_
                                        ; -- End function
	.section	.AMDGPU.csdata,"",@progbits
; Kernel info:
; codeLenInByte = 712
; NumSgprs: 28
; NumVgprs: 13
; NumAgprs: 0
; TotalNumVgprs: 13
; ScratchSize: 0
; MemoryBound: 0
; FloatMode: 240
; IeeeMode: 1
; LDSByteSize: 0 bytes/workgroup (compile time only)
; SGPRBlocks: 3
; VGPRBlocks: 1
; NumSGPRsForWavesPerEU: 28
; NumVGPRsForWavesPerEU: 13
; AccumOffset: 16
; Occupancy: 8
; WaveLimiterHint : 0
; COMPUTE_PGM_RSRC2:SCRATCH_EN: 0
; COMPUTE_PGM_RSRC2:USER_SGPR: 6
; COMPUTE_PGM_RSRC2:TRAP_HANDLER: 0
; COMPUTE_PGM_RSRC2:TGID_X_EN: 1
; COMPUTE_PGM_RSRC2:TGID_Y_EN: 0
; COMPUTE_PGM_RSRC2:TGID_Z_EN: 0
; COMPUTE_PGM_RSRC2:TIDIG_COMP_CNT: 1
; COMPUTE_PGM_RSRC3_GFX90A:ACCUM_OFFSET: 3
; COMPUTE_PGM_RSRC3_GFX90A:TG_SPLIT: 0
	.section	.text._ZL18rocblas_dot_kernelIiLb1ELi1024ELi32ELb0EfPK16rocblas_bfloat16fEviT5_lT_lS3_lS4_liPT6_PT4_,"axG",@progbits,_ZL18rocblas_dot_kernelIiLb1ELi1024ELi32ELb0EfPK16rocblas_bfloat16fEviT5_lT_lS3_lS4_liPT6_PT4_,comdat
	.globl	_ZL18rocblas_dot_kernelIiLb1ELi1024ELi32ELb0EfPK16rocblas_bfloat16fEviT5_lT_lS3_lS4_liPT6_PT4_ ; -- Begin function _ZL18rocblas_dot_kernelIiLb1ELi1024ELi32ELb0EfPK16rocblas_bfloat16fEviT5_lT_lS3_lS4_liPT6_PT4_
	.p2align	8
	.type	_ZL18rocblas_dot_kernelIiLb1ELi1024ELi32ELb0EfPK16rocblas_bfloat16fEviT5_lT_lS3_lS4_liPT6_PT4_,@function
_ZL18rocblas_dot_kernelIiLb1ELi1024ELi32ELb0EfPK16rocblas_bfloat16fEviT5_lT_lS3_lS4_liPT6_PT4_: ; @_ZL18rocblas_dot_kernelIiLb1ELi1024ELi32ELb0EfPK16rocblas_bfloat16fEviT5_lT_lS3_lS4_liPT6_PT4_
; %bb.0:
	s_load_dword s14, s[4:5], 0x0
	s_load_dwordx2 s[8:9], s[4:5], 0x58
	s_mov_b32 s6, s7
	s_mov_b32 s7, 0
	v_mov_b32_e32 v6, 0
	s_waitcnt lgkmcnt(0)
	v_cmp_gt_i32_e32 vcc, s14, v0
	s_and_saveexec_b64 s[10:11], vcc
	s_cbranch_execz .LBB29_4
; %bb.1:
	s_load_dword s22, s[4:5], 0x38
	s_load_dwordx2 s[12:13], s[4:5], 0x40
	s_load_dword s15, s[4:5], 0x60
	s_load_dwordx4 s[0:3], s[4:5], 0x20
	s_load_dwordx4 s[16:19], s[4:5], 0x8
	s_load_dword s23, s[4:5], 0x18
	s_load_dwordx2 s[20:21], s[4:5], 0x30
	s_waitcnt lgkmcnt(0)
	s_lshl_b32 s15, s15, 10
	s_mul_i32 s1, s1, s6
	s_mul_hi_u32 s4, s0, s6
	s_add_i32 s1, s4, s1
	s_mul_i32 s0, s0, s6
	v_mad_i64_i32 v[2:3], s[4:5], s23, v0, 0
	s_lshl_b64 s[0:1], s[0:1], 1
	s_lshl_b64 s[4:5], s[18:19], 1
	s_add_u32 s4, s16, s4
	s_addc_u32 s5, s17, s5
	s_add_u32 s0, s4, s0
	v_lshlrev_b64 v[2:3], 1, v[2:3]
	s_addc_u32 s1, s5, s1
	v_mov_b32_e32 v4, s1
	v_add_co_u32_e32 v2, vcc, s0, v2
	s_mul_hi_i32 s1, s23, s15
	s_mul_i32 s0, s23, s15
	s_lshl_b64 s[4:5], s[0:1], 1
	s_mul_i32 s0, s13, s6
	s_mul_hi_u32 s1, s12, s6
	v_addc_co_u32_e32 v3, vcc, v4, v3, vcc
	s_add_i32 s1, s1, s0
	s_mul_i32 s0, s12, s6
	v_mad_i64_i32 v[4:5], s[12:13], s22, v0, 0
	s_lshl_b64 s[0:1], s[0:1], 1
	s_lshl_b64 s[12:13], s[20:21], 1
	s_add_u32 s2, s2, s12
	s_addc_u32 s3, s3, s13
	s_add_u32 s0, s2, s0
	v_lshlrev_b64 v[4:5], 1, v[4:5]
	s_addc_u32 s1, s3, s1
	v_mov_b32_e32 v6, s1
	v_add_co_u32_e32 v4, vcc, s0, v4
	s_mul_hi_i32 s1, s22, s15
	s_mul_i32 s0, s22, s15
	s_lshl_b64 s[12:13], s[0:1], 1
	v_or_b32_e32 v1, s15, v0
	v_addc_co_u32_e32 v5, vcc, v6, v5, vcc
	s_mov_b64 s[2:3], 0
	v_mov_b32_e32 v6, 0
	v_mov_b32_e32 v7, s5
	v_mov_b32_e32 v8, s13
	s_mov_b32 s5, s7
.LBB29_2:                               ; =>This Inner Loop Header: Depth=1
	global_load_ushort v9, v[4:5], off
	global_load_ushort v10, v[2:3], off
	v_add_co_u32_e64 v2, s[0:1], s4, v2
	v_addc_co_u32_e64 v3, s[0:1], v3, v7, s[0:1]
	s_add_i32 s13, s5, 1
	v_add_co_u32_e64 v4, s[0:1], s12, v4
	v_addc_co_u32_e64 v5, s[0:1], v5, v8, s[0:1]
	s_cmp_gt_u32 s5, 30
	v_cmp_le_i32_e32 vcc, s14, v1
	s_cselect_b64 s[0:1], -1, 0
	s_or_b64 s[0:1], s[0:1], vcc
	s_and_b64 s[0:1], exec, s[0:1]
	v_add_u32_e32 v1, s15, v1
	s_mov_b32 s5, s13
	s_or_b64 s[2:3], s[0:1], s[2:3]
	s_waitcnt vmcnt(1)
	v_lshlrev_b32_e32 v9, 16, v9
	s_waitcnt vmcnt(0)
	v_lshlrev_b32_e32 v10, 16, v10
	v_fmac_f32_e32 v6, v10, v9
	s_andn2_b64 exec, exec, s[2:3]
	s_cbranch_execnz .LBB29_2
; %bb.3:
	s_or_b64 exec, exec, s[2:3]
.LBB29_4:
	s_or_b64 exec, exec, s[10:11]
	v_and_b32_e32 v2, 63, v0
	v_cmp_gt_u32_e32 vcc, 64, v0
	v_lshlrev_b32_e32 v1, 2, v2
	s_and_saveexec_b64 s[0:1], vcc
	s_cbranch_execz .LBB29_6
; %bb.5:
	v_mov_b32_e32 v3, 0
	ds_write_b32 v1, v3
.LBB29_6:
	s_or_b64 exec, exec, s[0:1]
	v_mbcnt_lo_u32_b32 v3, -1, 0
	v_mbcnt_hi_u32_b32 v7, -1, v3
	v_and_b32_e32 v8, 63, v7
	v_cmp_gt_u32_e64 s[0:1], 32, v8
	v_cndmask_b32_e64 v3, 0, 1, s[0:1]
	v_lshlrev_b32_e32 v3, 5, v3
	v_add_lshl_u32 v3, v3, v7, 2
	ds_bpermute_b32 v3, v3, v6
	v_cmp_gt_u32_e64 s[0:1], 48, v8
	v_cndmask_b32_e64 v4, 0, 1, s[0:1]
	v_lshlrev_b32_e32 v4, 4, v4
	v_add_lshl_u32 v4, v4, v7, 2
	s_waitcnt lgkmcnt(0)
	v_add_f32_e32 v3, v6, v3
	ds_bpermute_b32 v4, v4, v3
	v_cmp_gt_u32_e64 s[0:1], 56, v8
	v_cndmask_b32_e64 v5, 0, 1, s[0:1]
	v_lshlrev_b32_e32 v5, 3, v5
	v_cmp_gt_u32_e64 s[0:1], 60, v8
	s_waitcnt lgkmcnt(0)
	v_add_f32_e32 v4, v3, v4
	v_add_lshl_u32 v3, v5, v7, 2
	ds_bpermute_b32 v5, v3, v4
	v_cndmask_b32_e64 v6, 0, 1, s[0:1]
	v_lshlrev_b32_e32 v6, 2, v6
	v_cmp_gt_u32_e64 s[0:1], 62, v8
	v_cndmask_b32_e64 v9, 0, 1, s[0:1]
	s_waitcnt lgkmcnt(0)
	v_add_f32_e32 v5, v4, v5
	v_add_lshl_u32 v4, v6, v7, 2
	ds_bpermute_b32 v6, v4, v5
	v_lshlrev_b32_e32 v9, 1, v9
	v_cmp_ne_u32_e64 s[0:1], 63, v8
	v_addc_co_u32_e64 v8, s[0:1], 0, v7, s[0:1]
	s_waitcnt lgkmcnt(0)
	v_add_f32_e32 v6, v5, v6
	v_add_lshl_u32 v5, v9, v7, 2
	ds_bpermute_b32 v9, v5, v6
	v_cmp_eq_u32_e64 s[0:1], 0, v2
	s_waitcnt lgkmcnt(0)
	s_barrier
	v_add_f32_e32 v7, v6, v9
	v_lshlrev_b32_e32 v6, 2, v8
	ds_bpermute_b32 v8, v6, v7
	s_and_saveexec_b64 s[2:3], s[0:1]
	s_cbranch_execz .LBB29_8
; %bb.7:
	s_waitcnt lgkmcnt(0)
	v_add_f32_e32 v2, v7, v8
	v_lshrrev_b32_e32 v7, 4, v0
	v_and_b32_e32 v7, 60, v7
	ds_write_b32 v7, v2
.LBB29_8:
	s_or_b64 exec, exec, s[2:3]
	v_cmp_gt_u32_e64 s[0:1], 16, v0
	v_mov_b32_e32 v2, 0
	s_waitcnt lgkmcnt(0)
	s_barrier
	s_and_saveexec_b64 s[2:3], s[0:1]
	s_cbranch_execnz .LBB29_12
; %bb.9:
	s_or_b64 exec, exec, s[2:3]
	s_and_saveexec_b64 s[0:1], vcc
	s_cbranch_execnz .LBB29_13
.LBB29_10:
	s_or_b64 exec, exec, s[0:1]
	v_cmp_eq_u32_e32 vcc, 0, v0
	s_and_saveexec_b64 s[0:1], vcc
	s_cbranch_execnz .LBB29_14
.LBB29_11:
	s_endpgm
.LBB29_12:
	ds_read_b32 v2, v1
	s_or_b64 exec, exec, s[2:3]
	s_and_saveexec_b64 s[0:1], vcc
	s_cbranch_execz .LBB29_10
.LBB29_13:
	s_waitcnt lgkmcnt(0)
	ds_bpermute_b32 v1, v3, v2
	s_waitcnt lgkmcnt(0)
	v_add_f32_e32 v1, v2, v1
	ds_bpermute_b32 v2, v4, v1
	s_waitcnt lgkmcnt(0)
	v_add_f32_e32 v1, v1, v2
	;; [unrolled: 3-line block ×4, first 2 shown]
	s_or_b64 exec, exec, s[0:1]
	v_cmp_eq_u32_e32 vcc, 0, v0
	s_and_saveexec_b64 s[0:1], vcc
	s_cbranch_execz .LBB29_11
.LBB29_14:
	s_lshl_b64 s[0:1], s[6:7], 2
	s_add_u32 s0, s8, s0
	s_addc_u32 s1, s9, s1
	v_mov_b32_e32 v0, 0
	s_waitcnt lgkmcnt(0)
	global_store_dword v0, v2, s[0:1]
	s_endpgm
	.section	.rodata,"a",@progbits
	.p2align	6, 0x0
	.amdhsa_kernel _ZL18rocblas_dot_kernelIiLb1ELi1024ELi32ELb0EfPK16rocblas_bfloat16fEviT5_lT_lS3_lS4_liPT6_PT4_
		.amdhsa_group_segment_fixed_size 256
		.amdhsa_private_segment_fixed_size 0
		.amdhsa_kernarg_size 352
		.amdhsa_user_sgpr_count 6
		.amdhsa_user_sgpr_private_segment_buffer 1
		.amdhsa_user_sgpr_dispatch_ptr 0
		.amdhsa_user_sgpr_queue_ptr 0
		.amdhsa_user_sgpr_kernarg_segment_ptr 1
		.amdhsa_user_sgpr_dispatch_id 0
		.amdhsa_user_sgpr_flat_scratch_init 0
		.amdhsa_user_sgpr_kernarg_preload_length 0
		.amdhsa_user_sgpr_kernarg_preload_offset 0
		.amdhsa_user_sgpr_private_segment_size 0
		.amdhsa_uses_dynamic_stack 0
		.amdhsa_system_sgpr_private_segment_wavefront_offset 0
		.amdhsa_system_sgpr_workgroup_id_x 1
		.amdhsa_system_sgpr_workgroup_id_y 0
		.amdhsa_system_sgpr_workgroup_id_z 1
		.amdhsa_system_sgpr_workgroup_info 0
		.amdhsa_system_vgpr_workitem_id 0
		.amdhsa_next_free_vgpr 11
		.amdhsa_next_free_sgpr 24
		.amdhsa_accum_offset 12
		.amdhsa_reserve_vcc 1
		.amdhsa_reserve_flat_scratch 0
		.amdhsa_float_round_mode_32 0
		.amdhsa_float_round_mode_16_64 0
		.amdhsa_float_denorm_mode_32 3
		.amdhsa_float_denorm_mode_16_64 3
		.amdhsa_dx10_clamp 1
		.amdhsa_ieee_mode 1
		.amdhsa_fp16_overflow 0
		.amdhsa_tg_split 0
		.amdhsa_exception_fp_ieee_invalid_op 0
		.amdhsa_exception_fp_denorm_src 0
		.amdhsa_exception_fp_ieee_div_zero 0
		.amdhsa_exception_fp_ieee_overflow 0
		.amdhsa_exception_fp_ieee_underflow 0
		.amdhsa_exception_fp_ieee_inexact 0
		.amdhsa_exception_int_div_zero 0
	.end_amdhsa_kernel
	.section	.text._ZL18rocblas_dot_kernelIiLb1ELi1024ELi32ELb0EfPK16rocblas_bfloat16fEviT5_lT_lS3_lS4_liPT6_PT4_,"axG",@progbits,_ZL18rocblas_dot_kernelIiLb1ELi1024ELi32ELb0EfPK16rocblas_bfloat16fEviT5_lT_lS3_lS4_liPT6_PT4_,comdat
.Lfunc_end29:
	.size	_ZL18rocblas_dot_kernelIiLb1ELi1024ELi32ELb0EfPK16rocblas_bfloat16fEviT5_lT_lS3_lS4_liPT6_PT4_, .Lfunc_end29-_ZL18rocblas_dot_kernelIiLb1ELi1024ELi32ELb0EfPK16rocblas_bfloat16fEviT5_lT_lS3_lS4_liPT6_PT4_
                                        ; -- End function
	.section	.AMDGPU.csdata,"",@progbits
; Kernel info:
; codeLenInByte = 960
; NumSgprs: 28
; NumVgprs: 11
; NumAgprs: 0
; TotalNumVgprs: 11
; ScratchSize: 0
; MemoryBound: 0
; FloatMode: 240
; IeeeMode: 1
; LDSByteSize: 256 bytes/workgroup (compile time only)
; SGPRBlocks: 3
; VGPRBlocks: 1
; NumSGPRsForWavesPerEU: 28
; NumVGPRsForWavesPerEU: 11
; AccumOffset: 12
; Occupancy: 8
; WaveLimiterHint : 0
; COMPUTE_PGM_RSRC2:SCRATCH_EN: 0
; COMPUTE_PGM_RSRC2:USER_SGPR: 6
; COMPUTE_PGM_RSRC2:TRAP_HANDLER: 0
; COMPUTE_PGM_RSRC2:TGID_X_EN: 1
; COMPUTE_PGM_RSRC2:TGID_Y_EN: 0
; COMPUTE_PGM_RSRC2:TGID_Z_EN: 1
; COMPUTE_PGM_RSRC2:TIDIG_COMP_CNT: 0
; COMPUTE_PGM_RSRC3_GFX90A:ACCUM_OFFSET: 2
; COMPUTE_PGM_RSRC3_GFX90A:TG_SPLIT: 0
	.section	.text._ZL24rocblas_dot_kernel_magsqIiLb1ELi1024ELi32ELb0EfPK16rocblas_bfloat16fEviT5_lT_liPT6_PT4_,"axG",@progbits,_ZL24rocblas_dot_kernel_magsqIiLb1ELi1024ELi32ELb0EfPK16rocblas_bfloat16fEviT5_lT_liPT6_PT4_,comdat
	.globl	_ZL24rocblas_dot_kernel_magsqIiLb1ELi1024ELi32ELb0EfPK16rocblas_bfloat16fEviT5_lT_liPT6_PT4_ ; -- Begin function _ZL24rocblas_dot_kernel_magsqIiLb1ELi1024ELi32ELb0EfPK16rocblas_bfloat16fEviT5_lT_liPT6_PT4_
	.p2align	8
	.type	_ZL24rocblas_dot_kernel_magsqIiLb1ELi1024ELi32ELb0EfPK16rocblas_bfloat16fEviT5_lT_liPT6_PT4_,@function
_ZL24rocblas_dot_kernel_magsqIiLb1ELi1024ELi32ELb0EfPK16rocblas_bfloat16fEviT5_lT_liPT6_PT4_: ; @_ZL24rocblas_dot_kernel_magsqIiLb1ELi1024ELi32ELb0EfPK16rocblas_bfloat16fEviT5_lT_liPT6_PT4_
; %bb.0:
	s_mov_b32 s2, s7
	s_load_dword s12, s[4:5], 0x0
	s_load_dwordx2 s[6:7], s[4:5], 0x38
	s_mov_b32 s3, 0
	v_mov_b32_e32 v1, 0
	s_waitcnt lgkmcnt(0)
	v_cmp_gt_i32_e32 vcc, s12, v0
	s_and_saveexec_b64 s[8:9], vcc
	s_cbranch_execz .LBB30_4
; %bb.1:
	s_load_dword s10, s[4:5], 0x40
	s_load_dwordx2 s[0:1], s[4:5], 0x20
	s_load_dwordx4 s[16:19], s[4:5], 0x8
	s_load_dword s11, s[4:5], 0x18
	s_waitcnt lgkmcnt(0)
	s_lshl_b32 s13, s10, 10
	s_mul_i32 s1, s1, s2
	s_mul_hi_u32 s4, s0, s2
	s_add_i32 s1, s4, s1
	s_mul_i32 s0, s0, s2
	v_mad_i64_i32 v[2:3], s[4:5], s11, v0, 0
	s_lshl_b64 s[0:1], s[0:1], 1
	s_lshl_b64 s[4:5], s[18:19], 1
	s_add_u32 s4, s16, s4
	s_addc_u32 s5, s17, s5
	s_add_u32 s0, s4, s0
	v_lshlrev_b64 v[2:3], 1, v[2:3]
	s_addc_u32 s1, s5, s1
	v_mov_b32_e32 v1, s1
	v_add_co_u32_e32 v2, vcc, s0, v2
	s_mul_hi_i32 s1, s11, s13
	s_mul_i32 s0, s11, s13
	s_lshl_b64 s[10:11], s[0:1], 1
	v_or_b32_e32 v4, s13, v0
	v_addc_co_u32_e32 v3, vcc, v1, v3, vcc
	s_mov_b64 s[4:5], 0
	v_mov_b32_e32 v1, 0
	v_mov_b32_e32 v5, s11
	s_mov_b32 s11, s3
.LBB30_2:                               ; =>This Inner Loop Header: Depth=1
	global_load_ushort v6, v[2:3], off
	s_add_i32 s14, s11, 1
	v_add_co_u32_e64 v2, s[0:1], s10, v2
	v_addc_co_u32_e64 v3, s[0:1], v3, v5, s[0:1]
	s_cmp_gt_u32 s11, 30
	v_cmp_le_i32_e32 vcc, s12, v4
	s_cselect_b64 s[0:1], -1, 0
	s_or_b64 s[0:1], s[0:1], vcc
	s_and_b64 s[0:1], exec, s[0:1]
	v_add_u32_e32 v4, s13, v4
	s_mov_b32 s11, s14
	s_or_b64 s[4:5], s[0:1], s[4:5]
	s_waitcnt vmcnt(0)
	v_lshlrev_b32_e32 v6, 16, v6
	v_fmac_f32_e32 v1, v6, v6
	s_andn2_b64 exec, exec, s[4:5]
	s_cbranch_execnz .LBB30_2
; %bb.3:
	s_or_b64 exec, exec, s[4:5]
.LBB30_4:
	s_or_b64 exec, exec, s[8:9]
	v_and_b32_e32 v3, 63, v0
	v_cmp_gt_u32_e32 vcc, 64, v0
	v_lshlrev_b32_e32 v2, 2, v3
	s_and_saveexec_b64 s[0:1], vcc
	s_cbranch_execz .LBB30_6
; %bb.5:
	v_mov_b32_e32 v4, 0
	ds_write_b32 v2, v4
.LBB30_6:
	s_or_b64 exec, exec, s[0:1]
	v_mbcnt_lo_u32_b32 v4, -1, 0
	v_mbcnt_hi_u32_b32 v6, -1, v4
	v_and_b32_e32 v7, 63, v6
	v_cmp_gt_u32_e64 s[0:1], 32, v7
	v_cndmask_b32_e64 v4, 0, 1, s[0:1]
	v_lshlrev_b32_e32 v4, 5, v4
	v_add_lshl_u32 v4, v4, v6, 2
	ds_bpermute_b32 v4, v4, v1
	v_cmp_gt_u32_e64 s[0:1], 48, v7
	v_cndmask_b32_e64 v5, 0, 1, s[0:1]
	v_lshlrev_b32_e32 v5, 4, v5
	v_cmp_gt_u32_e64 s[0:1], 56, v7
	s_waitcnt lgkmcnt(0)
	v_add_f32_e32 v1, v1, v4
	v_add_lshl_u32 v4, v5, v6, 2
	ds_bpermute_b32 v4, v4, v1
	v_cndmask_b32_e64 v5, 0, 1, s[0:1]
	v_lshlrev_b32_e32 v5, 3, v5
	v_cmp_gt_u32_e64 s[0:1], 60, v7
	v_cndmask_b32_e64 v8, 0, 1, s[0:1]
	s_waitcnt lgkmcnt(0)
	v_add_f32_e32 v4, v1, v4
	v_add_lshl_u32 v1, v5, v6, 2
	ds_bpermute_b32 v5, v1, v4
	v_lshlrev_b32_e32 v8, 2, v8
	v_cmp_gt_u32_e64 s[0:1], 62, v7
	v_cndmask_b32_e64 v9, 0, 1, s[0:1]
	v_lshlrev_b32_e32 v9, 1, v9
	s_waitcnt lgkmcnt(0)
	v_add_f32_e32 v5, v4, v5
	v_add_lshl_u32 v4, v8, v6, 2
	ds_bpermute_b32 v8, v4, v5
	v_cmp_ne_u32_e64 s[0:1], 63, v7
	s_waitcnt lgkmcnt(0)
	s_barrier
	v_add_f32_e32 v8, v5, v8
	v_add_lshl_u32 v5, v9, v6, 2
	ds_bpermute_b32 v9, v5, v8
	v_addc_co_u32_e64 v6, s[0:1], 0, v6, s[0:1]
	v_lshlrev_b32_e32 v6, 2, v6
	v_cmp_eq_u32_e64 s[0:1], 0, v3
	s_waitcnt lgkmcnt(0)
	v_add_f32_e32 v7, v8, v9
	ds_bpermute_b32 v8, v6, v7
	s_and_saveexec_b64 s[4:5], s[0:1]
	s_cbranch_execz .LBB30_8
; %bb.7:
	s_waitcnt lgkmcnt(0)
	v_add_f32_e32 v3, v7, v8
	v_lshrrev_b32_e32 v7, 4, v0
	v_and_b32_e32 v7, 60, v7
	ds_write_b32 v7, v3
.LBB30_8:
	s_or_b64 exec, exec, s[4:5]
	v_cmp_gt_u32_e64 s[0:1], 16, v0
	v_mov_b32_e32 v3, 0
	s_waitcnt lgkmcnt(0)
	s_barrier
	s_and_saveexec_b64 s[4:5], s[0:1]
	s_cbranch_execnz .LBB30_12
; %bb.9:
	s_or_b64 exec, exec, s[4:5]
	s_and_saveexec_b64 s[0:1], vcc
	s_cbranch_execnz .LBB30_13
.LBB30_10:
	s_or_b64 exec, exec, s[0:1]
	v_cmp_eq_u32_e32 vcc, 0, v0
	s_and_saveexec_b64 s[0:1], vcc
	s_cbranch_execnz .LBB30_14
.LBB30_11:
	s_endpgm
.LBB30_12:
	ds_read_b32 v3, v2
	s_or_b64 exec, exec, s[4:5]
	s_and_saveexec_b64 s[0:1], vcc
	s_cbranch_execz .LBB30_10
.LBB30_13:
	s_waitcnt lgkmcnt(0)
	ds_bpermute_b32 v1, v1, v3
	s_waitcnt lgkmcnt(0)
	v_add_f32_e32 v1, v3, v1
	ds_bpermute_b32 v2, v4, v1
	s_waitcnt lgkmcnt(0)
	v_add_f32_e32 v1, v1, v2
	;; [unrolled: 3-line block ×4, first 2 shown]
	s_or_b64 exec, exec, s[0:1]
	v_cmp_eq_u32_e32 vcc, 0, v0
	s_and_saveexec_b64 s[0:1], vcc
	s_cbranch_execz .LBB30_11
.LBB30_14:
	s_lshl_b64 s[0:1], s[2:3], 2
	s_add_u32 s0, s6, s0
	s_addc_u32 s1, s7, s1
	v_mov_b32_e32 v0, 0
	s_waitcnt lgkmcnt(0)
	global_store_dword v0, v3, s[0:1]
	s_endpgm
	.section	.rodata,"a",@progbits
	.p2align	6, 0x0
	.amdhsa_kernel _ZL24rocblas_dot_kernel_magsqIiLb1ELi1024ELi32ELb0EfPK16rocblas_bfloat16fEviT5_lT_liPT6_PT4_
		.amdhsa_group_segment_fixed_size 256
		.amdhsa_private_segment_fixed_size 0
		.amdhsa_kernarg_size 320
		.amdhsa_user_sgpr_count 6
		.amdhsa_user_sgpr_private_segment_buffer 1
		.amdhsa_user_sgpr_dispatch_ptr 0
		.amdhsa_user_sgpr_queue_ptr 0
		.amdhsa_user_sgpr_kernarg_segment_ptr 1
		.amdhsa_user_sgpr_dispatch_id 0
		.amdhsa_user_sgpr_flat_scratch_init 0
		.amdhsa_user_sgpr_kernarg_preload_length 0
		.amdhsa_user_sgpr_kernarg_preload_offset 0
		.amdhsa_user_sgpr_private_segment_size 0
		.amdhsa_uses_dynamic_stack 0
		.amdhsa_system_sgpr_private_segment_wavefront_offset 0
		.amdhsa_system_sgpr_workgroup_id_x 1
		.amdhsa_system_sgpr_workgroup_id_y 0
		.amdhsa_system_sgpr_workgroup_id_z 1
		.amdhsa_system_sgpr_workgroup_info 0
		.amdhsa_system_vgpr_workitem_id 0
		.amdhsa_next_free_vgpr 10
		.amdhsa_next_free_sgpr 20
		.amdhsa_accum_offset 12
		.amdhsa_reserve_vcc 1
		.amdhsa_reserve_flat_scratch 0
		.amdhsa_float_round_mode_32 0
		.amdhsa_float_round_mode_16_64 0
		.amdhsa_float_denorm_mode_32 3
		.amdhsa_float_denorm_mode_16_64 3
		.amdhsa_dx10_clamp 1
		.amdhsa_ieee_mode 1
		.amdhsa_fp16_overflow 0
		.amdhsa_tg_split 0
		.amdhsa_exception_fp_ieee_invalid_op 0
		.amdhsa_exception_fp_denorm_src 0
		.amdhsa_exception_fp_ieee_div_zero 0
		.amdhsa_exception_fp_ieee_overflow 0
		.amdhsa_exception_fp_ieee_underflow 0
		.amdhsa_exception_fp_ieee_inexact 0
		.amdhsa_exception_int_div_zero 0
	.end_amdhsa_kernel
	.section	.text._ZL24rocblas_dot_kernel_magsqIiLb1ELi1024ELi32ELb0EfPK16rocblas_bfloat16fEviT5_lT_liPT6_PT4_,"axG",@progbits,_ZL24rocblas_dot_kernel_magsqIiLb1ELi1024ELi32ELb0EfPK16rocblas_bfloat16fEviT5_lT_liPT6_PT4_,comdat
.Lfunc_end30:
	.size	_ZL24rocblas_dot_kernel_magsqIiLb1ELi1024ELi32ELb0EfPK16rocblas_bfloat16fEviT5_lT_liPT6_PT4_, .Lfunc_end30-_ZL24rocblas_dot_kernel_magsqIiLb1ELi1024ELi32ELb0EfPK16rocblas_bfloat16fEviT5_lT_liPT6_PT4_
                                        ; -- End function
	.section	.AMDGPU.csdata,"",@progbits
; Kernel info:
; codeLenInByte = 820
; NumSgprs: 24
; NumVgprs: 10
; NumAgprs: 0
; TotalNumVgprs: 10
; ScratchSize: 0
; MemoryBound: 0
; FloatMode: 240
; IeeeMode: 1
; LDSByteSize: 256 bytes/workgroup (compile time only)
; SGPRBlocks: 2
; VGPRBlocks: 1
; NumSGPRsForWavesPerEU: 24
; NumVGPRsForWavesPerEU: 10
; AccumOffset: 12
; Occupancy: 8
; WaveLimiterHint : 0
; COMPUTE_PGM_RSRC2:SCRATCH_EN: 0
; COMPUTE_PGM_RSRC2:USER_SGPR: 6
; COMPUTE_PGM_RSRC2:TRAP_HANDLER: 0
; COMPUTE_PGM_RSRC2:TGID_X_EN: 1
; COMPUTE_PGM_RSRC2:TGID_Y_EN: 0
; COMPUTE_PGM_RSRC2:TGID_Z_EN: 1
; COMPUTE_PGM_RSRC2:TIDIG_COMP_CNT: 0
; COMPUTE_PGM_RSRC3_GFX90A:ACCUM_OFFSET: 2
; COMPUTE_PGM_RSRC3_GFX90A:TG_SPLIT: 0
	.section	.text._ZL38rocblas_dot_kernel_gfx942_float_doubleIiLi1024EfPK16rocblas_bfloat16fEviT2_lT_lS3_lS4_lPT3_PT1_,"axG",@progbits,_ZL38rocblas_dot_kernel_gfx942_float_doubleIiLi1024EfPK16rocblas_bfloat16fEviT2_lT_lS3_lS4_lPT3_PT1_,comdat
	.globl	_ZL38rocblas_dot_kernel_gfx942_float_doubleIiLi1024EfPK16rocblas_bfloat16fEviT2_lT_lS3_lS4_lPT3_PT1_ ; -- Begin function _ZL38rocblas_dot_kernel_gfx942_float_doubleIiLi1024EfPK16rocblas_bfloat16fEviT2_lT_lS3_lS4_lPT3_PT1_
	.p2align	8
	.type	_ZL38rocblas_dot_kernel_gfx942_float_doubleIiLi1024EfPK16rocblas_bfloat16fEviT2_lT_lS3_lS4_lPT3_PT1_,@function
_ZL38rocblas_dot_kernel_gfx942_float_doubleIiLi1024EfPK16rocblas_bfloat16fEviT2_lT_lS3_lS4_lPT3_PT1_: ; @_ZL38rocblas_dot_kernel_gfx942_float_doubleIiLi1024EfPK16rocblas_bfloat16fEviT2_lT_lS3_lS4_lPT3_PT1_
; %bb.0:
	s_endpgm
	.section	.rodata,"a",@progbits
	.p2align	6, 0x0
	.amdhsa_kernel _ZL38rocblas_dot_kernel_gfx942_float_doubleIiLi1024EfPK16rocblas_bfloat16fEviT2_lT_lS3_lS4_lPT3_PT1_
		.amdhsa_group_segment_fixed_size 0
		.amdhsa_private_segment_fixed_size 0
		.amdhsa_kernarg_size 88
		.amdhsa_user_sgpr_count 6
		.amdhsa_user_sgpr_private_segment_buffer 1
		.amdhsa_user_sgpr_dispatch_ptr 0
		.amdhsa_user_sgpr_queue_ptr 0
		.amdhsa_user_sgpr_kernarg_segment_ptr 1
		.amdhsa_user_sgpr_dispatch_id 0
		.amdhsa_user_sgpr_flat_scratch_init 0
		.amdhsa_user_sgpr_kernarg_preload_length 0
		.amdhsa_user_sgpr_kernarg_preload_offset 0
		.amdhsa_user_sgpr_private_segment_size 0
		.amdhsa_uses_dynamic_stack 0
		.amdhsa_system_sgpr_private_segment_wavefront_offset 0
		.amdhsa_system_sgpr_workgroup_id_x 1
		.amdhsa_system_sgpr_workgroup_id_y 0
		.amdhsa_system_sgpr_workgroup_id_z 0
		.amdhsa_system_sgpr_workgroup_info 0
		.amdhsa_system_vgpr_workitem_id 0
		.amdhsa_next_free_vgpr 1
		.amdhsa_next_free_sgpr 0
		.amdhsa_accum_offset 4
		.amdhsa_reserve_vcc 0
		.amdhsa_reserve_flat_scratch 0
		.amdhsa_float_round_mode_32 0
		.amdhsa_float_round_mode_16_64 0
		.amdhsa_float_denorm_mode_32 3
		.amdhsa_float_denorm_mode_16_64 3
		.amdhsa_dx10_clamp 1
		.amdhsa_ieee_mode 1
		.amdhsa_fp16_overflow 0
		.amdhsa_tg_split 0
		.amdhsa_exception_fp_ieee_invalid_op 0
		.amdhsa_exception_fp_denorm_src 0
		.amdhsa_exception_fp_ieee_div_zero 0
		.amdhsa_exception_fp_ieee_overflow 0
		.amdhsa_exception_fp_ieee_underflow 0
		.amdhsa_exception_fp_ieee_inexact 0
		.amdhsa_exception_int_div_zero 0
	.end_amdhsa_kernel
	.section	.text._ZL38rocblas_dot_kernel_gfx942_float_doubleIiLi1024EfPK16rocblas_bfloat16fEviT2_lT_lS3_lS4_lPT3_PT1_,"axG",@progbits,_ZL38rocblas_dot_kernel_gfx942_float_doubleIiLi1024EfPK16rocblas_bfloat16fEviT2_lT_lS3_lS4_lPT3_PT1_,comdat
.Lfunc_end31:
	.size	_ZL38rocblas_dot_kernel_gfx942_float_doubleIiLi1024EfPK16rocblas_bfloat16fEviT2_lT_lS3_lS4_lPT3_PT1_, .Lfunc_end31-_ZL38rocblas_dot_kernel_gfx942_float_doubleIiLi1024EfPK16rocblas_bfloat16fEviT2_lT_lS3_lS4_lPT3_PT1_
                                        ; -- End function
	.section	.AMDGPU.csdata,"",@progbits
; Kernel info:
; codeLenInByte = 4
; NumSgprs: 4
; NumVgprs: 0
; NumAgprs: 0
; TotalNumVgprs: 0
; ScratchSize: 0
; MemoryBound: 0
; FloatMode: 240
; IeeeMode: 1
; LDSByteSize: 0 bytes/workgroup (compile time only)
; SGPRBlocks: 0
; VGPRBlocks: 0
; NumSGPRsForWavesPerEU: 4
; NumVGPRsForWavesPerEU: 1
; AccumOffset: 4
; Occupancy: 8
; WaveLimiterHint : 0
; COMPUTE_PGM_RSRC2:SCRATCH_EN: 0
; COMPUTE_PGM_RSRC2:USER_SGPR: 6
; COMPUTE_PGM_RSRC2:TRAP_HANDLER: 0
; COMPUTE_PGM_RSRC2:TGID_X_EN: 1
; COMPUTE_PGM_RSRC2:TGID_Y_EN: 0
; COMPUTE_PGM_RSRC2:TGID_Z_EN: 0
; COMPUTE_PGM_RSRC2:TIDIG_COMP_CNT: 0
; COMPUTE_PGM_RSRC3_GFX90A:ACCUM_OFFSET: 0
; COMPUTE_PGM_RSRC3_GFX90A:TG_SPLIT: 0
	.section	.text._ZL18rocblas_dot_kernelIiLb0ELi512ELi4ELb0EfPK16rocblas_bfloat16fEviT5_lT_lS3_lS4_liPT6_PT4_,"axG",@progbits,_ZL18rocblas_dot_kernelIiLb0ELi512ELi4ELb0EfPK16rocblas_bfloat16fEviT5_lT_lS3_lS4_liPT6_PT4_,comdat
	.globl	_ZL18rocblas_dot_kernelIiLb0ELi512ELi4ELb0EfPK16rocblas_bfloat16fEviT5_lT_lS3_lS4_liPT6_PT4_ ; -- Begin function _ZL18rocblas_dot_kernelIiLb0ELi512ELi4ELb0EfPK16rocblas_bfloat16fEviT5_lT_lS3_lS4_liPT6_PT4_
	.p2align	8
	.type	_ZL18rocblas_dot_kernelIiLb0ELi512ELi4ELb0EfPK16rocblas_bfloat16fEviT5_lT_lS3_lS4_liPT6_PT4_,@function
_ZL18rocblas_dot_kernelIiLb0ELi512ELi4ELb0EfPK16rocblas_bfloat16fEviT5_lT_lS3_lS4_liPT6_PT4_: ; @_ZL18rocblas_dot_kernelIiLb0ELi512ELi4ELb0EfPK16rocblas_bfloat16fEviT5_lT_lS3_lS4_liPT6_PT4_
; %bb.0:
	s_mov_b32 s12, s7
	s_load_dword s18, s[4:5], 0x60
	s_load_dword s7, s[4:5], 0x0
	s_load_dwordx4 s[8:11], s[4:5], 0x50
	v_lshl_or_b32 v4, s6, 9, v0
	s_mov_b32 s13, 0
	v_mov_b32_e32 v6, 0
	s_waitcnt lgkmcnt(0)
	v_cmp_gt_i32_e32 vcc, s7, v4
	s_and_saveexec_b64 s[14:15], vcc
	s_cbranch_execz .LBB32_4
; %bb.1:
	s_load_dwordx4 s[20:23], s[4:5], 0x8
	s_load_dword s26, s[4:5], 0x18
	s_load_dwordx4 s[0:3], s[4:5], 0x20
	s_load_dwordx2 s[16:17], s[4:5], 0x30
	s_load_dword s27, s[4:5], 0x38
	s_load_dwordx2 s[24:25], s[4:5], 0x40
	s_waitcnt lgkmcnt(0)
	v_mad_i64_i32 v[2:3], s[4:5], s26, v4, 0
	s_mul_i32 s1, s1, s12
	s_mul_hi_u32 s4, s0, s12
	s_add_i32 s1, s4, s1
	s_mul_i32 s0, s0, s12
	s_lshl_b32 s19, s18, 9
	s_lshl_b64 s[0:1], s[0:1], 1
	s_lshl_b64 s[4:5], s[22:23], 1
	s_add_u32 s4, s20, s4
	s_addc_u32 s5, s21, s5
	s_add_u32 s0, s4, s0
	v_lshlrev_b64 v[2:3], 1, v[2:3]
	s_addc_u32 s1, s5, s1
	v_mov_b32_e32 v5, s1
	v_add_co_u32_e32 v2, vcc, s0, v2
	s_mul_hi_i32 s1, s26, s19
	s_mul_i32 s0, s26, s19
	v_add_u32_e32 v1, s19, v4
	v_addc_co_u32_e32 v3, vcc, v5, v3, vcc
	s_lshl_b64 s[4:5], s[0:1], 1
	v_mad_i64_i32 v[4:5], s[0:1], s27, v4, 0
	s_mul_i32 s0, s25, s12
	s_mul_hi_u32 s1, s24, s12
	s_add_i32 s1, s1, s0
	s_mul_i32 s0, s24, s12
	s_lshl_b64 s[0:1], s[0:1], 1
	s_lshl_b64 s[16:17], s[16:17], 1
	s_add_u32 s2, s2, s16
	s_addc_u32 s3, s3, s17
	s_add_u32 s0, s2, s0
	v_lshlrev_b64 v[4:5], 1, v[4:5]
	s_addc_u32 s1, s3, s1
	v_mov_b32_e32 v6, s1
	v_add_co_u32_e32 v4, vcc, s0, v4
	s_mul_hi_i32 s1, s27, s19
	s_mul_i32 s0, s27, s19
	s_lshl_b64 s[16:17], s[0:1], 1
	v_addc_co_u32_e32 v5, vcc, v6, v5, vcc
	s_mov_b64 s[2:3], 0
	v_mov_b32_e32 v6, 0
	v_mov_b32_e32 v7, s5
	;; [unrolled: 1-line block ×3, first 2 shown]
	s_mov_b32 s5, s13
.LBB32_2:                               ; =>This Inner Loop Header: Depth=1
	global_load_ushort v9, v[4:5], off
	global_load_ushort v10, v[2:3], off
	v_add_co_u32_e64 v2, s[0:1], s4, v2
	v_addc_co_u32_e64 v3, s[0:1], v3, v7, s[0:1]
	s_add_i32 s17, s5, 1
	v_add_co_u32_e64 v4, s[0:1], s16, v4
	v_addc_co_u32_e64 v5, s[0:1], v5, v8, s[0:1]
	s_cmp_gt_u32 s5, 2
	v_cmp_le_i32_e32 vcc, s7, v1
	s_cselect_b64 s[0:1], -1, 0
	s_or_b64 s[0:1], s[0:1], vcc
	s_and_b64 s[0:1], exec, s[0:1]
	v_add_u32_e32 v1, s19, v1
	s_mov_b32 s5, s17
	s_or_b64 s[2:3], s[0:1], s[2:3]
	s_waitcnt vmcnt(1)
	v_lshlrev_b32_e32 v9, 16, v9
	s_waitcnt vmcnt(0)
	v_lshlrev_b32_e32 v10, 16, v10
	v_fmac_f32_e32 v6, v10, v9
	s_andn2_b64 exec, exec, s[2:3]
	s_cbranch_execnz .LBB32_2
; %bb.3:
	s_or_b64 exec, exec, s[2:3]
.LBB32_4:
	s_or_b64 exec, exec, s[14:15]
	v_and_b32_e32 v2, 63, v0
	v_cmp_gt_u32_e32 vcc, 64, v0
	v_lshlrev_b32_e32 v1, 2, v2
	s_and_saveexec_b64 s[0:1], vcc
	s_cbranch_execz .LBB32_6
; %bb.5:
	v_mov_b32_e32 v3, 0
	ds_write_b32 v1, v3
.LBB32_6:
	s_or_b64 exec, exec, s[0:1]
	v_mbcnt_lo_u32_b32 v3, -1, 0
	v_mbcnt_hi_u32_b32 v5, -1, v3
	v_and_b32_e32 v7, 63, v5
	v_cmp_gt_u32_e64 s[0:1], 32, v7
	v_cndmask_b32_e64 v3, 0, 1, s[0:1]
	v_lshlrev_b32_e32 v3, 5, v3
	v_add_lshl_u32 v3, v3, v5, 2
	ds_bpermute_b32 v3, v3, v6
	v_cmp_gt_u32_e64 s[0:1], 48, v7
	v_cndmask_b32_e64 v4, 0, 1, s[0:1]
	v_lshlrev_b32_e32 v4, 4, v4
	v_add_lshl_u32 v4, v4, v5, 2
	s_waitcnt lgkmcnt(0)
	v_add_f32_e32 v3, v6, v3
	ds_bpermute_b32 v4, v4, v3
	v_cmp_gt_u32_e64 s[0:1], 56, v7
	v_cndmask_b32_e64 v6, 0, 1, s[0:1]
	v_lshlrev_b32_e32 v6, 3, v6
	v_cmp_gt_u32_e64 s[0:1], 60, v7
	s_waitcnt lgkmcnt(0)
	v_add_f32_e32 v3, v3, v4
	v_add_lshl_u32 v4, v6, v5, 2
	ds_bpermute_b32 v4, v4, v3
	v_cndmask_b32_e64 v6, 0, 1, s[0:1]
	v_lshlrev_b32_e32 v6, 2, v6
	v_cmp_gt_u32_e64 s[0:1], 62, v7
	v_cndmask_b32_e64 v8, 0, 1, s[0:1]
	s_waitcnt lgkmcnt(0)
	v_add_f32_e32 v4, v3, v4
	v_add_lshl_u32 v3, v6, v5, 2
	ds_bpermute_b32 v6, v3, v4
	v_lshlrev_b32_e32 v8, 1, v8
	v_cmp_ne_u32_e64 s[0:1], 63, v7
	s_waitcnt lgkmcnt(0)
	s_barrier
	v_add_f32_e32 v6, v4, v6
	v_add_lshl_u32 v4, v8, v5, 2
	ds_bpermute_b32 v8, v4, v6
	v_addc_co_u32_e64 v5, s[0:1], 0, v5, s[0:1]
	v_lshlrev_b32_e32 v5, 2, v5
	v_cmp_eq_u32_e64 s[0:1], 0, v2
	s_waitcnt lgkmcnt(0)
	v_add_f32_e32 v6, v6, v8
	ds_bpermute_b32 v7, v5, v6
	s_waitcnt lgkmcnt(0)
	s_and_saveexec_b64 s[2:3], s[0:1]
	s_cbranch_execz .LBB32_8
; %bb.7:
	v_add_f32_e32 v2, v6, v7
	v_lshrrev_b32_e32 v6, 4, v0
	v_and_b32_e32 v6, 28, v6
	ds_write_b32 v6, v2
.LBB32_8:
	s_or_b64 exec, exec, s[2:3]
	v_cmp_gt_u32_e64 s[0:1], 8, v0
	v_mov_b32_e32 v2, 0
	s_waitcnt lgkmcnt(0)
	s_barrier
	s_and_saveexec_b64 s[2:3], s[0:1]
	s_cbranch_execnz .LBB32_12
; %bb.9:
	s_or_b64 exec, exec, s[2:3]
	s_and_saveexec_b64 s[0:1], vcc
	s_cbranch_execnz .LBB32_13
.LBB32_10:
	s_or_b64 exec, exec, s[0:1]
	v_cmp_eq_u32_e32 vcc, 0, v0
	s_and_saveexec_b64 s[0:1], vcc
	s_cbranch_execnz .LBB32_14
.LBB32_11:
	s_endpgm
.LBB32_12:
	ds_read_b32 v2, v1
	s_or_b64 exec, exec, s[2:3]
	s_and_saveexec_b64 s[0:1], vcc
	s_cbranch_execz .LBB32_10
.LBB32_13:
	s_waitcnt lgkmcnt(0)
	ds_bpermute_b32 v1, v3, v2
	s_waitcnt lgkmcnt(0)
	v_add_f32_e32 v1, v2, v1
	ds_bpermute_b32 v2, v4, v1
	s_waitcnt lgkmcnt(0)
	v_add_f32_e32 v1, v1, v2
	;; [unrolled: 3-line block ×3, first 2 shown]
	s_or_b64 exec, exec, s[0:1]
	v_cmp_eq_u32_e32 vcc, 0, v0
	s_and_saveexec_b64 s[0:1], vcc
	s_cbranch_execz .LBB32_11
.LBB32_14:
	s_cmp_lg_u32 s18, 1
	s_cbranch_scc0 .LBB32_16
; %bb.15:
	s_mul_hi_u32 s1, s18, s12
	s_mul_i32 s0, s18, s12
	s_lshl_b64 s[0:1], s[0:1], 2
	s_mov_b32 s7, 0
	s_add_u32 s2, s8, s0
	s_addc_u32 s3, s9, s1
	s_lshl_b64 s[0:1], s[6:7], 2
	s_add_u32 s0, s2, s0
	s_addc_u32 s1, s3, s1
	s_cbranch_execz .LBB32_17
	s_branch .LBB32_18
.LBB32_16:
                                        ; implicit-def: $sgpr0_sgpr1
.LBB32_17:
	s_lshl_b64 s[0:1], s[12:13], 2
	s_add_u32 s0, s10, s0
	s_addc_u32 s1, s11, s1
.LBB32_18:
	v_mov_b32_e32 v0, 0
	s_waitcnt lgkmcnt(0)
	global_store_dword v0, v2, s[0:1]
	s_endpgm
	.section	.rodata,"a",@progbits
	.p2align	6, 0x0
	.amdhsa_kernel _ZL18rocblas_dot_kernelIiLb0ELi512ELi4ELb0EfPK16rocblas_bfloat16fEviT5_lT_lS3_lS4_liPT6_PT4_
		.amdhsa_group_segment_fixed_size 256
		.amdhsa_private_segment_fixed_size 0
		.amdhsa_kernarg_size 352
		.amdhsa_user_sgpr_count 6
		.amdhsa_user_sgpr_private_segment_buffer 1
		.amdhsa_user_sgpr_dispatch_ptr 0
		.amdhsa_user_sgpr_queue_ptr 0
		.amdhsa_user_sgpr_kernarg_segment_ptr 1
		.amdhsa_user_sgpr_dispatch_id 0
		.amdhsa_user_sgpr_flat_scratch_init 0
		.amdhsa_user_sgpr_kernarg_preload_length 0
		.amdhsa_user_sgpr_kernarg_preload_offset 0
		.amdhsa_user_sgpr_private_segment_size 0
		.amdhsa_uses_dynamic_stack 0
		.amdhsa_system_sgpr_private_segment_wavefront_offset 0
		.amdhsa_system_sgpr_workgroup_id_x 1
		.amdhsa_system_sgpr_workgroup_id_y 0
		.amdhsa_system_sgpr_workgroup_id_z 1
		.amdhsa_system_sgpr_workgroup_info 0
		.amdhsa_system_vgpr_workitem_id 0
		.amdhsa_next_free_vgpr 11
		.amdhsa_next_free_sgpr 28
		.amdhsa_accum_offset 12
		.amdhsa_reserve_vcc 1
		.amdhsa_reserve_flat_scratch 0
		.amdhsa_float_round_mode_32 0
		.amdhsa_float_round_mode_16_64 0
		.amdhsa_float_denorm_mode_32 3
		.amdhsa_float_denorm_mode_16_64 3
		.amdhsa_dx10_clamp 1
		.amdhsa_ieee_mode 1
		.amdhsa_fp16_overflow 0
		.amdhsa_tg_split 0
		.amdhsa_exception_fp_ieee_invalid_op 0
		.amdhsa_exception_fp_denorm_src 0
		.amdhsa_exception_fp_ieee_div_zero 0
		.amdhsa_exception_fp_ieee_overflow 0
		.amdhsa_exception_fp_ieee_underflow 0
		.amdhsa_exception_fp_ieee_inexact 0
		.amdhsa_exception_int_div_zero 0
	.end_amdhsa_kernel
	.section	.text._ZL18rocblas_dot_kernelIiLb0ELi512ELi4ELb0EfPK16rocblas_bfloat16fEviT5_lT_lS3_lS4_liPT6_PT4_,"axG",@progbits,_ZL18rocblas_dot_kernelIiLb0ELi512ELi4ELb0EfPK16rocblas_bfloat16fEviT5_lT_lS3_lS4_liPT6_PT4_,comdat
.Lfunc_end32:
	.size	_ZL18rocblas_dot_kernelIiLb0ELi512ELi4ELb0EfPK16rocblas_bfloat16fEviT5_lT_lS3_lS4_liPT6_PT4_, .Lfunc_end32-_ZL18rocblas_dot_kernelIiLb0ELi512ELi4ELb0EfPK16rocblas_bfloat16fEviT5_lT_lS3_lS4_liPT6_PT4_
                                        ; -- End function
	.section	.AMDGPU.csdata,"",@progbits
; Kernel info:
; codeLenInByte = 1004
; NumSgprs: 32
; NumVgprs: 11
; NumAgprs: 0
; TotalNumVgprs: 11
; ScratchSize: 0
; MemoryBound: 0
; FloatMode: 240
; IeeeMode: 1
; LDSByteSize: 256 bytes/workgroup (compile time only)
; SGPRBlocks: 3
; VGPRBlocks: 1
; NumSGPRsForWavesPerEU: 32
; NumVGPRsForWavesPerEU: 11
; AccumOffset: 12
; Occupancy: 8
; WaveLimiterHint : 0
; COMPUTE_PGM_RSRC2:SCRATCH_EN: 0
; COMPUTE_PGM_RSRC2:USER_SGPR: 6
; COMPUTE_PGM_RSRC2:TRAP_HANDLER: 0
; COMPUTE_PGM_RSRC2:TGID_X_EN: 1
; COMPUTE_PGM_RSRC2:TGID_Y_EN: 0
; COMPUTE_PGM_RSRC2:TGID_Z_EN: 1
; COMPUTE_PGM_RSRC2:TIDIG_COMP_CNT: 0
; COMPUTE_PGM_RSRC3_GFX90A:ACCUM_OFFSET: 2
; COMPUTE_PGM_RSRC3_GFX90A:TG_SPLIT: 0
	.section	.text._ZL24rocblas_dot_kernel_magsqIiLb0ELi512ELi4ELb0EfPK16rocblas_bfloat16fEviT5_lT_liPT6_PT4_,"axG",@progbits,_ZL24rocblas_dot_kernel_magsqIiLb0ELi512ELi4ELb0EfPK16rocblas_bfloat16fEviT5_lT_liPT6_PT4_,comdat
	.globl	_ZL24rocblas_dot_kernel_magsqIiLb0ELi512ELi4ELb0EfPK16rocblas_bfloat16fEviT5_lT_liPT6_PT4_ ; -- Begin function _ZL24rocblas_dot_kernel_magsqIiLb0ELi512ELi4ELb0EfPK16rocblas_bfloat16fEviT5_lT_liPT6_PT4_
	.p2align	8
	.type	_ZL24rocblas_dot_kernel_magsqIiLb0ELi512ELi4ELb0EfPK16rocblas_bfloat16fEviT5_lT_liPT6_PT4_,@function
_ZL24rocblas_dot_kernel_magsqIiLb0ELi512ELi4ELb0EfPK16rocblas_bfloat16fEviT5_lT_liPT6_PT4_: ; @_ZL24rocblas_dot_kernel_magsqIiLb0ELi512ELi4ELb0EfPK16rocblas_bfloat16fEviT5_lT_liPT6_PT4_
; %bb.0:
	s_mov_b32 s2, s7
	s_load_dword s7, s[4:5], 0x0
	s_load_dwordx4 s[8:11], s[4:5], 0x30
	s_load_dword s16, s[4:5], 0x40
	v_lshl_or_b32 v2, s6, 9, v0
	s_mov_b32 s3, 0
	s_waitcnt lgkmcnt(0)
	v_cmp_gt_i32_e32 vcc, s7, v2
	v_mov_b32_e32 v1, 0
	s_and_saveexec_b64 s[12:13], vcc
	s_cbranch_execz .LBB33_4
; %bb.1:
	s_load_dwordx4 s[20:23], s[4:5], 0x8
	s_load_dword s14, s[4:5], 0x18
	s_load_dwordx2 s[0:1], s[4:5], 0x20
	s_lshl_b32 s17, s16, 9
	v_add_u32_e32 v4, s17, v2
	s_waitcnt lgkmcnt(0)
	v_mad_i64_i32 v[2:3], s[4:5], s14, v2, 0
	s_mul_i32 s1, s1, s2
	s_mul_hi_u32 s4, s0, s2
	s_add_i32 s1, s4, s1
	s_mul_i32 s0, s0, s2
	s_lshl_b64 s[0:1], s[0:1], 1
	s_lshl_b64 s[4:5], s[22:23], 1
	s_add_u32 s4, s20, s4
	s_addc_u32 s5, s21, s5
	s_add_u32 s0, s4, s0
	v_lshlrev_b64 v[2:3], 1, v[2:3]
	s_addc_u32 s1, s5, s1
	v_mov_b32_e32 v1, s1
	v_add_co_u32_e32 v2, vcc, s0, v2
	s_mul_hi_i32 s1, s14, s17
	s_mul_i32 s0, s14, s17
	s_lshl_b64 s[14:15], s[0:1], 1
	v_addc_co_u32_e32 v3, vcc, v1, v3, vcc
	s_mov_b64 s[4:5], 0
	v_mov_b32_e32 v1, 0
	v_mov_b32_e32 v5, s15
	s_mov_b32 s15, s3
.LBB33_2:                               ; =>This Inner Loop Header: Depth=1
	global_load_ushort v6, v[2:3], off
	s_add_i32 s18, s15, 1
	v_add_co_u32_e64 v2, s[0:1], s14, v2
	v_addc_co_u32_e64 v3, s[0:1], v3, v5, s[0:1]
	s_cmp_gt_u32 s15, 2
	v_cmp_le_i32_e32 vcc, s7, v4
	s_cselect_b64 s[0:1], -1, 0
	s_or_b64 s[0:1], s[0:1], vcc
	s_and_b64 s[0:1], exec, s[0:1]
	v_add_u32_e32 v4, s17, v4
	s_mov_b32 s15, s18
	s_or_b64 s[4:5], s[0:1], s[4:5]
	s_waitcnt vmcnt(0)
	v_lshlrev_b32_e32 v6, 16, v6
	v_fmac_f32_e32 v1, v6, v6
	s_andn2_b64 exec, exec, s[4:5]
	s_cbranch_execnz .LBB33_2
; %bb.3:
	s_or_b64 exec, exec, s[4:5]
.LBB33_4:
	s_or_b64 exec, exec, s[12:13]
	v_and_b32_e32 v3, 63, v0
	v_cmp_gt_u32_e32 vcc, 64, v0
	v_lshlrev_b32_e32 v2, 2, v3
	s_and_saveexec_b64 s[0:1], vcc
	s_cbranch_execz .LBB33_6
; %bb.5:
	v_mov_b32_e32 v4, 0
	ds_write_b32 v2, v4
.LBB33_6:
	s_or_b64 exec, exec, s[0:1]
	v_mbcnt_lo_u32_b32 v4, -1, 0
	v_mbcnt_hi_u32_b32 v6, -1, v4
	v_and_b32_e32 v7, 63, v6
	v_cmp_gt_u32_e64 s[0:1], 32, v7
	v_cndmask_b32_e64 v4, 0, 1, s[0:1]
	v_lshlrev_b32_e32 v4, 5, v4
	v_add_lshl_u32 v4, v4, v6, 2
	ds_bpermute_b32 v4, v4, v1
	v_cmp_gt_u32_e64 s[0:1], 48, v7
	v_cndmask_b32_e64 v5, 0, 1, s[0:1]
	v_lshlrev_b32_e32 v5, 4, v5
	v_cmp_gt_u32_e64 s[0:1], 56, v7
	s_waitcnt lgkmcnt(0)
	v_add_f32_e32 v1, v1, v4
	v_add_lshl_u32 v4, v5, v6, 2
	ds_bpermute_b32 v4, v4, v1
	v_cndmask_b32_e64 v5, 0, 1, s[0:1]
	v_lshlrev_b32_e32 v5, 3, v5
	v_cmp_gt_u32_e64 s[0:1], 60, v7
	s_waitcnt lgkmcnt(0)
	v_add_f32_e32 v1, v1, v4
	v_add_lshl_u32 v4, v5, v6, 2
	ds_bpermute_b32 v4, v4, v1
	v_cndmask_b32_e64 v5, 0, 1, s[0:1]
	v_lshlrev_b32_e32 v5, 2, v5
	v_cmp_gt_u32_e64 s[0:1], 62, v7
	v_cndmask_b32_e64 v8, 0, 1, s[0:1]
	s_waitcnt lgkmcnt(0)
	v_add_f32_e32 v1, v1, v4
	v_add_lshl_u32 v4, v5, v6, 2
	ds_bpermute_b32 v5, v4, v1
	v_lshlrev_b32_e32 v8, 1, v8
	v_cmp_ne_u32_e64 s[0:1], 63, v7
	s_barrier
	s_waitcnt lgkmcnt(0)
	v_add_f32_e32 v1, v1, v5
	v_add_lshl_u32 v5, v8, v6, 2
	ds_bpermute_b32 v8, v5, v1
	v_addc_co_u32_e64 v6, s[0:1], 0, v6, s[0:1]
	v_lshlrev_b32_e32 v6, 2, v6
	v_cmp_eq_u32_e64 s[0:1], 0, v3
	s_waitcnt lgkmcnt(0)
	v_add_f32_e32 v1, v1, v8
	ds_bpermute_b32 v7, v6, v1
	s_and_saveexec_b64 s[4:5], s[0:1]
	s_cbranch_execz .LBB33_8
; %bb.7:
	v_lshrrev_b32_e32 v3, 4, v0
	s_waitcnt lgkmcnt(0)
	v_add_f32_e32 v1, v1, v7
	v_and_b32_e32 v3, 28, v3
	ds_write_b32 v3, v1
.LBB33_8:
	s_or_b64 exec, exec, s[4:5]
	v_cmp_gt_u32_e64 s[0:1], 8, v0
	v_mov_b32_e32 v1, 0
	s_waitcnt lgkmcnt(0)
	s_barrier
	s_and_saveexec_b64 s[4:5], s[0:1]
	s_cbranch_execnz .LBB33_12
; %bb.9:
	s_or_b64 exec, exec, s[4:5]
	s_and_saveexec_b64 s[0:1], vcc
	s_cbranch_execnz .LBB33_13
.LBB33_10:
	s_or_b64 exec, exec, s[0:1]
	v_cmp_eq_u32_e32 vcc, 0, v0
	s_and_saveexec_b64 s[0:1], vcc
	s_cbranch_execnz .LBB33_14
.LBB33_11:
	s_endpgm
.LBB33_12:
	ds_read_b32 v1, v2
	s_or_b64 exec, exec, s[4:5]
	s_and_saveexec_b64 s[0:1], vcc
	s_cbranch_execz .LBB33_10
.LBB33_13:
	s_waitcnt lgkmcnt(0)
	ds_bpermute_b32 v2, v4, v1
	s_waitcnt lgkmcnt(0)
	v_add_f32_e32 v1, v1, v2
	ds_bpermute_b32 v2, v5, v1
	s_waitcnt lgkmcnt(0)
	v_add_f32_e32 v1, v1, v2
	;; [unrolled: 3-line block ×3, first 2 shown]
	s_or_b64 exec, exec, s[0:1]
	v_cmp_eq_u32_e32 vcc, 0, v0
	s_and_saveexec_b64 s[0:1], vcc
	s_cbranch_execz .LBB33_11
.LBB33_14:
	s_cmp_lg_u32 s16, 1
	s_cbranch_scc0 .LBB33_16
; %bb.15:
	s_mul_hi_u32 s1, s16, s2
	s_mul_i32 s0, s16, s2
	s_lshl_b64 s[0:1], s[0:1], 2
	s_mov_b32 s7, 0
	s_add_u32 s4, s8, s0
	s_addc_u32 s5, s9, s1
	s_lshl_b64 s[0:1], s[6:7], 2
	s_add_u32 s0, s4, s0
	s_addc_u32 s1, s5, s1
	s_cbranch_execz .LBB33_17
	s_branch .LBB33_18
.LBB33_16:
                                        ; implicit-def: $sgpr0_sgpr1
.LBB33_17:
	s_lshl_b64 s[0:1], s[2:3], 2
	s_add_u32 s0, s10, s0
	s_addc_u32 s1, s11, s1
.LBB33_18:
	v_mov_b32_e32 v0, 0
	s_waitcnt lgkmcnt(0)
	global_store_dword v0, v1, s[0:1]
	s_endpgm
	.section	.rodata,"a",@progbits
	.p2align	6, 0x0
	.amdhsa_kernel _ZL24rocblas_dot_kernel_magsqIiLb0ELi512ELi4ELb0EfPK16rocblas_bfloat16fEviT5_lT_liPT6_PT4_
		.amdhsa_group_segment_fixed_size 256
		.amdhsa_private_segment_fixed_size 0
		.amdhsa_kernarg_size 320
		.amdhsa_user_sgpr_count 6
		.amdhsa_user_sgpr_private_segment_buffer 1
		.amdhsa_user_sgpr_dispatch_ptr 0
		.amdhsa_user_sgpr_queue_ptr 0
		.amdhsa_user_sgpr_kernarg_segment_ptr 1
		.amdhsa_user_sgpr_dispatch_id 0
		.amdhsa_user_sgpr_flat_scratch_init 0
		.amdhsa_user_sgpr_kernarg_preload_length 0
		.amdhsa_user_sgpr_kernarg_preload_offset 0
		.amdhsa_user_sgpr_private_segment_size 0
		.amdhsa_uses_dynamic_stack 0
		.amdhsa_system_sgpr_private_segment_wavefront_offset 0
		.amdhsa_system_sgpr_workgroup_id_x 1
		.amdhsa_system_sgpr_workgroup_id_y 0
		.amdhsa_system_sgpr_workgroup_id_z 1
		.amdhsa_system_sgpr_workgroup_info 0
		.amdhsa_system_vgpr_workitem_id 0
		.amdhsa_next_free_vgpr 9
		.amdhsa_next_free_sgpr 24
		.amdhsa_accum_offset 12
		.amdhsa_reserve_vcc 1
		.amdhsa_reserve_flat_scratch 0
		.amdhsa_float_round_mode_32 0
		.amdhsa_float_round_mode_16_64 0
		.amdhsa_float_denorm_mode_32 3
		.amdhsa_float_denorm_mode_16_64 3
		.amdhsa_dx10_clamp 1
		.amdhsa_ieee_mode 1
		.amdhsa_fp16_overflow 0
		.amdhsa_tg_split 0
		.amdhsa_exception_fp_ieee_invalid_op 0
		.amdhsa_exception_fp_denorm_src 0
		.amdhsa_exception_fp_ieee_div_zero 0
		.amdhsa_exception_fp_ieee_overflow 0
		.amdhsa_exception_fp_ieee_underflow 0
		.amdhsa_exception_fp_ieee_inexact 0
		.amdhsa_exception_int_div_zero 0
	.end_amdhsa_kernel
	.section	.text._ZL24rocblas_dot_kernel_magsqIiLb0ELi512ELi4ELb0EfPK16rocblas_bfloat16fEviT5_lT_liPT6_PT4_,"axG",@progbits,_ZL24rocblas_dot_kernel_magsqIiLb0ELi512ELi4ELb0EfPK16rocblas_bfloat16fEviT5_lT_liPT6_PT4_,comdat
.Lfunc_end33:
	.size	_ZL24rocblas_dot_kernel_magsqIiLb0ELi512ELi4ELb0EfPK16rocblas_bfloat16fEviT5_lT_liPT6_PT4_, .Lfunc_end33-_ZL24rocblas_dot_kernel_magsqIiLb0ELi512ELi4ELb0EfPK16rocblas_bfloat16fEviT5_lT_liPT6_PT4_
                                        ; -- End function
	.section	.AMDGPU.csdata,"",@progbits
; Kernel info:
; codeLenInByte = 864
; NumSgprs: 28
; NumVgprs: 9
; NumAgprs: 0
; TotalNumVgprs: 9
; ScratchSize: 0
; MemoryBound: 0
; FloatMode: 240
; IeeeMode: 1
; LDSByteSize: 256 bytes/workgroup (compile time only)
; SGPRBlocks: 3
; VGPRBlocks: 1
; NumSGPRsForWavesPerEU: 28
; NumVGPRsForWavesPerEU: 9
; AccumOffset: 12
; Occupancy: 8
; WaveLimiterHint : 0
; COMPUTE_PGM_RSRC2:SCRATCH_EN: 0
; COMPUTE_PGM_RSRC2:USER_SGPR: 6
; COMPUTE_PGM_RSRC2:TRAP_HANDLER: 0
; COMPUTE_PGM_RSRC2:TGID_X_EN: 1
; COMPUTE_PGM_RSRC2:TGID_Y_EN: 0
; COMPUTE_PGM_RSRC2:TGID_Z_EN: 1
; COMPUTE_PGM_RSRC2:TIDIG_COMP_CNT: 0
; COMPUTE_PGM_RSRC3_GFX90A:ACCUM_OFFSET: 2
; COMPUTE_PGM_RSRC3_GFX90A:TG_SPLIT: 0
	.section	.text._ZL28rocblas_dot_batched_4_kernelIlLi32ELi4ELb0Ef16rocblas_bfloat16PKS0_EviT5_lT_lS3_lS4_liPT4_,"axG",@progbits,_ZL28rocblas_dot_batched_4_kernelIlLi32ELi4ELb0Ef16rocblas_bfloat16PKS0_EviT5_lT_lS3_lS4_liPT4_,comdat
	.globl	_ZL28rocblas_dot_batched_4_kernelIlLi32ELi4ELb0Ef16rocblas_bfloat16PKS0_EviT5_lT_lS3_lS4_liPT4_ ; -- Begin function _ZL28rocblas_dot_batched_4_kernelIlLi32ELi4ELb0Ef16rocblas_bfloat16PKS0_EviT5_lT_lS3_lS4_liPT4_
	.p2align	8
	.type	_ZL28rocblas_dot_batched_4_kernelIlLi32ELi4ELb0Ef16rocblas_bfloat16PKS0_EviT5_lT_lS3_lS4_liPT4_,@function
_ZL28rocblas_dot_batched_4_kernelIlLi32ELi4ELb0Ef16rocblas_bfloat16PKS0_EviT5_lT_lS3_lS4_liPT4_: ; @_ZL28rocblas_dot_batched_4_kernelIlLi32ELi4ELb0Ef16rocblas_bfloat16PKS0_EviT5_lT_lS3_lS4_liPT4_
; %bb.0:
	s_load_dword s0, s[4:5], 0x48
	v_bfe_u32 v1, v0, 10, 10
	v_lshl_add_u32 v2, s6, 2, v1
	s_waitcnt lgkmcnt(0)
	v_cmp_gt_u32_e32 vcc, s0, v2
	s_and_saveexec_b64 s[0:1], vcc
	s_cbranch_execz .LBB34_11
; %bb.1:
	s_load_dword s16, s[4:5], 0x0
	s_load_dwordx2 s[0:1], s[4:5], 0x50
	v_mov_b32_e32 v3, 0
	v_and_b32_e32 v6, 0x3ff, v0
	v_mov_b32_e32 v7, v3
	s_waitcnt lgkmcnt(0)
	v_cmp_gt_i32_e32 vcc, s16, v6
	s_and_saveexec_b64 s[2:3], vcc
	s_cbranch_execz .LBB34_5
; %bb.2:
	s_load_dwordx4 s[20:23], s[4:5], 0x10
	s_load_dwordx2 s[6:7], s[4:5], 0x8
	s_load_dwordx8 s[8:15], s[4:5], 0x20
	s_load_dwordx2 s[18:19], s[4:5], 0x40
	s_waitcnt lgkmcnt(0)
	v_mad_u64_u32 v[0:1], s[4:5], s22, v6, 0
	v_mov_b32_e32 v4, v1
	v_mad_u64_u32 v[4:5], s[4:5], s23, v6, v[4:5]
	v_mov_b32_e32 v1, v4
	;; [unrolled: 2-line block ×4, first 2 shown]
	v_lshlrev_b64 v[0:1], 1, v[0:1]
	v_lshlrev_b64 v[4:5], 1, v[4:5]
	s_lshl_b64 s[4:5], s[20:21], 1
	v_add_co_u32_e32 v0, vcc, v0, v4
	s_add_u32 s4, s6, s4
	v_addc_co_u32_e32 v1, vcc, v1, v5, vcc
	s_addc_u32 s5, s7, s5
	v_mov_b32_e32 v4, s5
	v_add_co_u32_e32 v0, vcc, s4, v0
	v_addc_co_u32_e32 v1, vcc, v4, v1, vcc
	v_mad_u64_u32 v[4:5], s[6:7], s14, v6, 0
	v_mov_b32_e32 v8, v5
	v_mad_u64_u32 v[8:9], s[6:7], s15, v6, v[8:9]
	v_mov_b32_e32 v5, v8
	;; [unrolled: 2-line block ×4, first 2 shown]
	s_lshl_b64 s[4:5], s[22:23], 6
	v_lshlrev_b64 v[4:5], 1, v[4:5]
	v_lshlrev_b64 v[8:9], 1, v[8:9]
	s_lshl_b64 s[6:7], s[12:13], 1
	v_add_co_u32_e32 v4, vcc, v4, v8
	s_add_u32 s6, s10, s6
	v_addc_co_u32_e32 v5, vcc, v5, v9, vcc
	s_addc_u32 s7, s11, s7
	v_mov_b32_e32 v7, s7
	v_add_co_u32_e32 v4, vcc, s6, v4
	s_lshl_b64 s[8:9], s[14:15], 6
	v_addc_co_u32_e32 v5, vcc, v7, v5, vcc
	s_mov_b64 s[6:7], 0
	v_mov_b32_e32 v7, 0
	v_mov_b32_e32 v8, s5
	;; [unrolled: 1-line block ×4, first 2 shown]
.LBB34_3:                               ; =>This Inner Loop Header: Depth=1
	global_load_ushort v11, v[0:1], off
	global_load_ushort v12, v[4:5], off
	v_add_co_u32_e32 v0, vcc, s4, v0
	v_addc_co_u32_e32 v1, vcc, v1, v8, vcc
	v_add_co_u32_e32 v4, vcc, s8, v4
	v_add_u32_e32 v10, 32, v10
	v_addc_co_u32_e32 v5, vcc, v5, v9, vcc
	v_cmp_le_i32_e32 vcc, s16, v10
	s_or_b64 s[6:7], vcc, s[6:7]
	s_waitcnt vmcnt(1)
	v_lshlrev_b32_e32 v11, 16, v11
	s_waitcnt vmcnt(0)
	v_lshlrev_b32_e32 v12, 16, v12
	v_fmac_f32_e32 v7, v12, v11
	s_andn2_b64 exec, exec, s[6:7]
	s_cbranch_execnz .LBB34_3
; %bb.4:
	s_or_b64 exec, exec, s[6:7]
.LBB34_5:
	s_or_b64 exec, exec, s[2:3]
	v_mbcnt_lo_u32_b32 v0, -1, 0
	v_mbcnt_hi_u32_b32 v0, -1, v0
	v_and_b32_e32 v1, 63, v0
	v_cmp_gt_u32_e32 vcc, 48, v1
	v_cndmask_b32_e64 v4, 0, 1, vcc
	v_lshlrev_b32_e32 v4, 4, v4
	v_add_lshl_u32 v4, v4, v0, 2
	ds_bpermute_b32 v4, v4, v7
	v_cmp_gt_u32_e32 vcc, 56, v1
	v_cndmask_b32_e64 v5, 0, 1, vcc
	v_lshlrev_b32_e32 v5, 3, v5
	v_add_lshl_u32 v5, v5, v0, 2
	s_waitcnt lgkmcnt(0)
	v_add_f32_e32 v4, v7, v4
	ds_bpermute_b32 v5, v5, v4
	v_cmp_gt_u32_e32 vcc, 60, v1
	v_cndmask_b32_e64 v7, 0, 1, vcc
	v_lshlrev_b32_e32 v7, 2, v7
	v_cmp_gt_u32_e32 vcc, 62, v1
	s_waitcnt lgkmcnt(0)
	v_add_f32_e32 v4, v4, v5
	v_add_lshl_u32 v5, v7, v0, 2
	ds_bpermute_b32 v5, v5, v4
	v_cndmask_b32_e64 v7, 0, 1, vcc
	v_lshlrev_b32_e32 v7, 1, v7
	v_cmp_ne_u32_e32 vcc, 63, v1
	v_addc_co_u32_e32 v1, vcc, 0, v0, vcc
	s_waitcnt lgkmcnt(0)
	v_add_f32_e32 v4, v4, v5
	v_add_lshl_u32 v5, v7, v0, 2
	ds_bpermute_b32 v5, v5, v4
	v_lshlrev_b32_e32 v1, 2, v1
	v_cmp_eq_u32_e32 vcc, 0, v6
	s_waitcnt lgkmcnt(0)
	s_barrier
	v_add_f32_e32 v0, v4, v5
	ds_bpermute_b32 v1, v1, v0
	s_waitcnt lgkmcnt(0)
	s_and_b64 exec, exec, vcc
	s_cbranch_execz .LBB34_11
; %bb.6:
	v_add_f32_e32 v1, v0, v1
	s_mov_b32 s2, 0x7f800000
	v_and_b32_e32 v0, 0x7f800000, v1
	v_cmp_ne_u32_e32 vcc, s2, v0
                                        ; implicit-def: $vgpr0
	s_and_saveexec_b64 s[2:3], vcc
	s_xor_b64 s[2:3], exec, s[2:3]
; %bb.7:
	v_bfe_u32 v0, v1, 16, 1
	s_movk_i32 s4, 0x7fff
	v_add3_u32 v0, v1, v0, s4
                                        ; implicit-def: $vgpr1
; %bb.8:
	s_andn2_saveexec_b64 s[2:3], s[2:3]
; %bb.9:
	v_mov_b32_e32 v0, 0
	v_or_b32_e32 v4, 0x10000, v1
	v_cmp_eq_u32_sdwa vcc, v1, v0 src0_sel:WORD_0 src1_sel:DWORD
	v_cndmask_b32_e32 v0, v4, v1, vcc
; %bb.10:
	s_or_b64 exec, exec, s[2:3]
	v_lshlrev_b64 v[2:3], 1, v[2:3]
	v_mov_b32_e32 v1, s1
	v_add_co_u32_e32 v2, vcc, s0, v2
	v_addc_co_u32_e32 v3, vcc, v1, v3, vcc
	global_store_short_d16_hi v[2:3], v0, off
.LBB34_11:
	s_endpgm
	.section	.rodata,"a",@progbits
	.p2align	6, 0x0
	.amdhsa_kernel _ZL28rocblas_dot_batched_4_kernelIlLi32ELi4ELb0Ef16rocblas_bfloat16PKS0_EviT5_lT_lS3_lS4_liPT4_
		.amdhsa_group_segment_fixed_size 0
		.amdhsa_private_segment_fixed_size 0
		.amdhsa_kernarg_size 88
		.amdhsa_user_sgpr_count 6
		.amdhsa_user_sgpr_private_segment_buffer 1
		.amdhsa_user_sgpr_dispatch_ptr 0
		.amdhsa_user_sgpr_queue_ptr 0
		.amdhsa_user_sgpr_kernarg_segment_ptr 1
		.amdhsa_user_sgpr_dispatch_id 0
		.amdhsa_user_sgpr_flat_scratch_init 0
		.amdhsa_user_sgpr_kernarg_preload_length 0
		.amdhsa_user_sgpr_kernarg_preload_offset 0
		.amdhsa_user_sgpr_private_segment_size 0
		.amdhsa_uses_dynamic_stack 0
		.amdhsa_system_sgpr_private_segment_wavefront_offset 0
		.amdhsa_system_sgpr_workgroup_id_x 1
		.amdhsa_system_sgpr_workgroup_id_y 0
		.amdhsa_system_sgpr_workgroup_id_z 0
		.amdhsa_system_sgpr_workgroup_info 0
		.amdhsa_system_vgpr_workitem_id 1
		.amdhsa_next_free_vgpr 13
		.amdhsa_next_free_sgpr 24
		.amdhsa_accum_offset 16
		.amdhsa_reserve_vcc 1
		.amdhsa_reserve_flat_scratch 0
		.amdhsa_float_round_mode_32 0
		.amdhsa_float_round_mode_16_64 0
		.amdhsa_float_denorm_mode_32 3
		.amdhsa_float_denorm_mode_16_64 3
		.amdhsa_dx10_clamp 1
		.amdhsa_ieee_mode 1
		.amdhsa_fp16_overflow 0
		.amdhsa_tg_split 0
		.amdhsa_exception_fp_ieee_invalid_op 0
		.amdhsa_exception_fp_denorm_src 0
		.amdhsa_exception_fp_ieee_div_zero 0
		.amdhsa_exception_fp_ieee_overflow 0
		.amdhsa_exception_fp_ieee_underflow 0
		.amdhsa_exception_fp_ieee_inexact 0
		.amdhsa_exception_int_div_zero 0
	.end_amdhsa_kernel
	.section	.text._ZL28rocblas_dot_batched_4_kernelIlLi32ELi4ELb0Ef16rocblas_bfloat16PKS0_EviT5_lT_lS3_lS4_liPT4_,"axG",@progbits,_ZL28rocblas_dot_batched_4_kernelIlLi32ELi4ELb0Ef16rocblas_bfloat16PKS0_EviT5_lT_lS3_lS4_liPT4_,comdat
.Lfunc_end34:
	.size	_ZL28rocblas_dot_batched_4_kernelIlLi32ELi4ELb0Ef16rocblas_bfloat16PKS0_EviT5_lT_lS3_lS4_liPT4_, .Lfunc_end34-_ZL28rocblas_dot_batched_4_kernelIlLi32ELi4ELb0Ef16rocblas_bfloat16PKS0_EviT5_lT_lS3_lS4_liPT4_
                                        ; -- End function
	.section	.AMDGPU.csdata,"",@progbits
; Kernel info:
; codeLenInByte = 760
; NumSgprs: 28
; NumVgprs: 13
; NumAgprs: 0
; TotalNumVgprs: 13
; ScratchSize: 0
; MemoryBound: 0
; FloatMode: 240
; IeeeMode: 1
; LDSByteSize: 0 bytes/workgroup (compile time only)
; SGPRBlocks: 3
; VGPRBlocks: 1
; NumSGPRsForWavesPerEU: 28
; NumVGPRsForWavesPerEU: 13
; AccumOffset: 16
; Occupancy: 8
; WaveLimiterHint : 0
; COMPUTE_PGM_RSRC2:SCRATCH_EN: 0
; COMPUTE_PGM_RSRC2:USER_SGPR: 6
; COMPUTE_PGM_RSRC2:TRAP_HANDLER: 0
; COMPUTE_PGM_RSRC2:TGID_X_EN: 1
; COMPUTE_PGM_RSRC2:TGID_Y_EN: 0
; COMPUTE_PGM_RSRC2:TGID_Z_EN: 0
; COMPUTE_PGM_RSRC2:TIDIG_COMP_CNT: 1
; COMPUTE_PGM_RSRC3_GFX90A:ACCUM_OFFSET: 3
; COMPUTE_PGM_RSRC3_GFX90A:TG_SPLIT: 0
	.section	.text._ZL28rocblas_dot_batched_4_kernelIlLi64ELi4ELb0Ef16rocblas_bfloat16PKS0_EviT5_lT_lS3_lS4_liPT4_,"axG",@progbits,_ZL28rocblas_dot_batched_4_kernelIlLi64ELi4ELb0Ef16rocblas_bfloat16PKS0_EviT5_lT_lS3_lS4_liPT4_,comdat
	.globl	_ZL28rocblas_dot_batched_4_kernelIlLi64ELi4ELb0Ef16rocblas_bfloat16PKS0_EviT5_lT_lS3_lS4_liPT4_ ; -- Begin function _ZL28rocblas_dot_batched_4_kernelIlLi64ELi4ELb0Ef16rocblas_bfloat16PKS0_EviT5_lT_lS3_lS4_liPT4_
	.p2align	8
	.type	_ZL28rocblas_dot_batched_4_kernelIlLi64ELi4ELb0Ef16rocblas_bfloat16PKS0_EviT5_lT_lS3_lS4_liPT4_,@function
_ZL28rocblas_dot_batched_4_kernelIlLi64ELi4ELb0Ef16rocblas_bfloat16PKS0_EviT5_lT_lS3_lS4_liPT4_: ; @_ZL28rocblas_dot_batched_4_kernelIlLi64ELi4ELb0Ef16rocblas_bfloat16PKS0_EviT5_lT_lS3_lS4_liPT4_
; %bb.0:
	s_load_dword s0, s[4:5], 0x48
	v_bfe_u32 v1, v0, 10, 10
	v_lshl_add_u32 v2, s6, 2, v1
	s_waitcnt lgkmcnt(0)
	v_cmp_gt_u32_e32 vcc, s0, v2
	s_and_saveexec_b64 s[0:1], vcc
	s_cbranch_execz .LBB35_11
; %bb.1:
	s_load_dword s16, s[4:5], 0x0
	s_load_dwordx2 s[0:1], s[4:5], 0x50
	v_mov_b32_e32 v3, 0
	v_and_b32_e32 v6, 0x3ff, v0
	v_mov_b32_e32 v7, v3
	s_waitcnt lgkmcnt(0)
	v_cmp_gt_i32_e32 vcc, s16, v6
	s_and_saveexec_b64 s[2:3], vcc
	s_cbranch_execz .LBB35_5
; %bb.2:
	s_load_dwordx4 s[20:23], s[4:5], 0x10
	s_load_dwordx2 s[6:7], s[4:5], 0x8
	s_load_dwordx8 s[8:15], s[4:5], 0x20
	s_load_dwordx2 s[18:19], s[4:5], 0x40
	s_waitcnt lgkmcnt(0)
	v_mad_u64_u32 v[0:1], s[4:5], s22, v6, 0
	v_mov_b32_e32 v4, v1
	v_mad_u64_u32 v[4:5], s[4:5], s23, v6, v[4:5]
	v_mov_b32_e32 v1, v4
	;; [unrolled: 2-line block ×4, first 2 shown]
	v_lshlrev_b64 v[0:1], 1, v[0:1]
	v_lshlrev_b64 v[4:5], 1, v[4:5]
	s_lshl_b64 s[4:5], s[20:21], 1
	v_add_co_u32_e32 v0, vcc, v0, v4
	s_add_u32 s4, s6, s4
	v_addc_co_u32_e32 v1, vcc, v1, v5, vcc
	s_addc_u32 s5, s7, s5
	v_mov_b32_e32 v4, s5
	v_add_co_u32_e32 v0, vcc, s4, v0
	v_addc_co_u32_e32 v1, vcc, v4, v1, vcc
	v_mad_u64_u32 v[4:5], s[6:7], s14, v6, 0
	v_mov_b32_e32 v8, v5
	v_mad_u64_u32 v[8:9], s[6:7], s15, v6, v[8:9]
	v_mov_b32_e32 v5, v8
	;; [unrolled: 2-line block ×4, first 2 shown]
	s_lshl_b64 s[4:5], s[22:23], 7
	v_lshlrev_b64 v[4:5], 1, v[4:5]
	v_lshlrev_b64 v[8:9], 1, v[8:9]
	s_lshl_b64 s[6:7], s[12:13], 1
	v_add_co_u32_e32 v4, vcc, v4, v8
	s_add_u32 s6, s10, s6
	v_addc_co_u32_e32 v5, vcc, v5, v9, vcc
	s_addc_u32 s7, s11, s7
	v_mov_b32_e32 v7, s7
	v_add_co_u32_e32 v4, vcc, s6, v4
	s_lshl_b64 s[8:9], s[14:15], 7
	v_addc_co_u32_e32 v5, vcc, v7, v5, vcc
	s_mov_b64 s[6:7], 0
	v_mov_b32_e32 v7, 0
	v_mov_b32_e32 v8, s5
	;; [unrolled: 1-line block ×4, first 2 shown]
.LBB35_3:                               ; =>This Inner Loop Header: Depth=1
	global_load_ushort v11, v[0:1], off
	global_load_ushort v12, v[4:5], off
	v_add_co_u32_e32 v0, vcc, s4, v0
	v_addc_co_u32_e32 v1, vcc, v1, v8, vcc
	v_add_co_u32_e32 v4, vcc, s8, v4
	v_add_u32_e32 v10, 64, v10
	v_addc_co_u32_e32 v5, vcc, v5, v9, vcc
	v_cmp_le_i32_e32 vcc, s16, v10
	s_or_b64 s[6:7], vcc, s[6:7]
	s_waitcnt vmcnt(1)
	v_lshlrev_b32_e32 v11, 16, v11
	s_waitcnt vmcnt(0)
	v_lshlrev_b32_e32 v12, 16, v12
	v_fmac_f32_e32 v7, v12, v11
	s_andn2_b64 exec, exec, s[6:7]
	s_cbranch_execnz .LBB35_3
; %bb.4:
	s_or_b64 exec, exec, s[6:7]
.LBB35_5:
	s_or_b64 exec, exec, s[2:3]
	v_mbcnt_lo_u32_b32 v0, -1, 0
	v_mbcnt_hi_u32_b32 v0, -1, v0
	v_and_b32_e32 v1, 63, v0
	v_cmp_gt_u32_e32 vcc, 32, v1
	v_cndmask_b32_e64 v4, 0, 1, vcc
	v_lshlrev_b32_e32 v4, 5, v4
	v_add_lshl_u32 v4, v4, v0, 2
	ds_bpermute_b32 v4, v4, v7
	v_cmp_gt_u32_e32 vcc, 48, v1
	v_cndmask_b32_e64 v5, 0, 1, vcc
	v_lshlrev_b32_e32 v5, 4, v5
	v_add_lshl_u32 v5, v5, v0, 2
	s_waitcnt lgkmcnt(0)
	v_add_f32_e32 v4, v7, v4
	ds_bpermute_b32 v5, v5, v4
	v_cmp_gt_u32_e32 vcc, 56, v1
	v_cndmask_b32_e64 v7, 0, 1, vcc
	v_lshlrev_b32_e32 v7, 3, v7
	v_cmp_gt_u32_e32 vcc, 60, v1
	s_waitcnt lgkmcnt(0)
	v_add_f32_e32 v4, v4, v5
	v_add_lshl_u32 v5, v7, v0, 2
	ds_bpermute_b32 v5, v5, v4
	v_cndmask_b32_e64 v7, 0, 1, vcc
	v_lshlrev_b32_e32 v7, 2, v7
	v_cmp_gt_u32_e32 vcc, 62, v1
	s_waitcnt lgkmcnt(0)
	v_add_f32_e32 v4, v4, v5
	v_add_lshl_u32 v5, v7, v0, 2
	ds_bpermute_b32 v5, v5, v4
	v_cndmask_b32_e64 v7, 0, 1, vcc
	v_lshlrev_b32_e32 v7, 1, v7
	v_cmp_ne_u32_e32 vcc, 63, v1
	v_addc_co_u32_e32 v1, vcc, 0, v0, vcc
	s_waitcnt lgkmcnt(0)
	v_add_f32_e32 v4, v4, v5
	v_add_lshl_u32 v5, v7, v0, 2
	ds_bpermute_b32 v5, v5, v4
	v_lshlrev_b32_e32 v1, 2, v1
	v_cmp_eq_u32_e32 vcc, 0, v6
	s_barrier
	s_waitcnt lgkmcnt(0)
	v_add_f32_e32 v0, v4, v5
	ds_bpermute_b32 v1, v1, v0
	s_and_b64 exec, exec, vcc
	s_cbranch_execz .LBB35_11
; %bb.6:
	s_waitcnt lgkmcnt(0)
	v_add_f32_e32 v1, v0, v1
	s_mov_b32 s2, 0x7f800000
	v_and_b32_e32 v0, 0x7f800000, v1
	v_cmp_ne_u32_e32 vcc, s2, v0
                                        ; implicit-def: $vgpr0
	s_and_saveexec_b64 s[2:3], vcc
	s_xor_b64 s[2:3], exec, s[2:3]
; %bb.7:
	v_bfe_u32 v0, v1, 16, 1
	s_movk_i32 s4, 0x7fff
	v_add3_u32 v0, v1, v0, s4
                                        ; implicit-def: $vgpr1
; %bb.8:
	s_andn2_saveexec_b64 s[2:3], s[2:3]
; %bb.9:
	v_mov_b32_e32 v0, 0
	v_or_b32_e32 v4, 0x10000, v1
	v_cmp_eq_u32_sdwa vcc, v1, v0 src0_sel:WORD_0 src1_sel:DWORD
	v_cndmask_b32_e32 v0, v4, v1, vcc
; %bb.10:
	s_or_b64 exec, exec, s[2:3]
	v_lshlrev_b64 v[2:3], 1, v[2:3]
	v_mov_b32_e32 v1, s1
	v_add_co_u32_e32 v2, vcc, s0, v2
	v_addc_co_u32_e32 v3, vcc, v1, v3, vcc
	global_store_short_d16_hi v[2:3], v0, off
.LBB35_11:
	s_endpgm
	.section	.rodata,"a",@progbits
	.p2align	6, 0x0
	.amdhsa_kernel _ZL28rocblas_dot_batched_4_kernelIlLi64ELi4ELb0Ef16rocblas_bfloat16PKS0_EviT5_lT_lS3_lS4_liPT4_
		.amdhsa_group_segment_fixed_size 0
		.amdhsa_private_segment_fixed_size 0
		.amdhsa_kernarg_size 88
		.amdhsa_user_sgpr_count 6
		.amdhsa_user_sgpr_private_segment_buffer 1
		.amdhsa_user_sgpr_dispatch_ptr 0
		.amdhsa_user_sgpr_queue_ptr 0
		.amdhsa_user_sgpr_kernarg_segment_ptr 1
		.amdhsa_user_sgpr_dispatch_id 0
		.amdhsa_user_sgpr_flat_scratch_init 0
		.amdhsa_user_sgpr_kernarg_preload_length 0
		.amdhsa_user_sgpr_kernarg_preload_offset 0
		.amdhsa_user_sgpr_private_segment_size 0
		.amdhsa_uses_dynamic_stack 0
		.amdhsa_system_sgpr_private_segment_wavefront_offset 0
		.amdhsa_system_sgpr_workgroup_id_x 1
		.amdhsa_system_sgpr_workgroup_id_y 0
		.amdhsa_system_sgpr_workgroup_id_z 0
		.amdhsa_system_sgpr_workgroup_info 0
		.amdhsa_system_vgpr_workitem_id 1
		.amdhsa_next_free_vgpr 13
		.amdhsa_next_free_sgpr 24
		.amdhsa_accum_offset 16
		.amdhsa_reserve_vcc 1
		.amdhsa_reserve_flat_scratch 0
		.amdhsa_float_round_mode_32 0
		.amdhsa_float_round_mode_16_64 0
		.amdhsa_float_denorm_mode_32 3
		.amdhsa_float_denorm_mode_16_64 3
		.amdhsa_dx10_clamp 1
		.amdhsa_ieee_mode 1
		.amdhsa_fp16_overflow 0
		.amdhsa_tg_split 0
		.amdhsa_exception_fp_ieee_invalid_op 0
		.amdhsa_exception_fp_denorm_src 0
		.amdhsa_exception_fp_ieee_div_zero 0
		.amdhsa_exception_fp_ieee_overflow 0
		.amdhsa_exception_fp_ieee_underflow 0
		.amdhsa_exception_fp_ieee_inexact 0
		.amdhsa_exception_int_div_zero 0
	.end_amdhsa_kernel
	.section	.text._ZL28rocblas_dot_batched_4_kernelIlLi64ELi4ELb0Ef16rocblas_bfloat16PKS0_EviT5_lT_lS3_lS4_liPT4_,"axG",@progbits,_ZL28rocblas_dot_batched_4_kernelIlLi64ELi4ELb0Ef16rocblas_bfloat16PKS0_EviT5_lT_lS3_lS4_liPT4_,comdat
.Lfunc_end35:
	.size	_ZL28rocblas_dot_batched_4_kernelIlLi64ELi4ELb0Ef16rocblas_bfloat16PKS0_EviT5_lT_lS3_lS4_liPT4_, .Lfunc_end35-_ZL28rocblas_dot_batched_4_kernelIlLi64ELi4ELb0Ef16rocblas_bfloat16PKS0_EviT5_lT_lS3_lS4_liPT4_
                                        ; -- End function
	.section	.AMDGPU.csdata,"",@progbits
; Kernel info:
; codeLenInByte = 800
; NumSgprs: 28
; NumVgprs: 13
; NumAgprs: 0
; TotalNumVgprs: 13
; ScratchSize: 0
; MemoryBound: 0
; FloatMode: 240
; IeeeMode: 1
; LDSByteSize: 0 bytes/workgroup (compile time only)
; SGPRBlocks: 3
; VGPRBlocks: 1
; NumSGPRsForWavesPerEU: 28
; NumVGPRsForWavesPerEU: 13
; AccumOffset: 16
; Occupancy: 8
; WaveLimiterHint : 0
; COMPUTE_PGM_RSRC2:SCRATCH_EN: 0
; COMPUTE_PGM_RSRC2:USER_SGPR: 6
; COMPUTE_PGM_RSRC2:TRAP_HANDLER: 0
; COMPUTE_PGM_RSRC2:TGID_X_EN: 1
; COMPUTE_PGM_RSRC2:TGID_Y_EN: 0
; COMPUTE_PGM_RSRC2:TGID_Z_EN: 0
; COMPUTE_PGM_RSRC2:TIDIG_COMP_CNT: 1
; COMPUTE_PGM_RSRC3_GFX90A:ACCUM_OFFSET: 3
; COMPUTE_PGM_RSRC3_GFX90A:TG_SPLIT: 0
	.section	.text._ZL18rocblas_dot_kernelIlLb1ELi1024ELi32ELb0E16rocblas_bfloat16PKS0_fEviT5_lT_lS3_lS4_liPT6_PT4_,"axG",@progbits,_ZL18rocblas_dot_kernelIlLb1ELi1024ELi32ELb0E16rocblas_bfloat16PKS0_fEviT5_lT_lS3_lS4_liPT6_PT4_,comdat
	.globl	_ZL18rocblas_dot_kernelIlLb1ELi1024ELi32ELb0E16rocblas_bfloat16PKS0_fEviT5_lT_lS3_lS4_liPT6_PT4_ ; -- Begin function _ZL18rocblas_dot_kernelIlLb1ELi1024ELi32ELb0E16rocblas_bfloat16PKS0_fEviT5_lT_lS3_lS4_liPT6_PT4_
	.p2align	8
	.type	_ZL18rocblas_dot_kernelIlLb1ELi1024ELi32ELb0E16rocblas_bfloat16PKS0_fEviT5_lT_lS3_lS4_liPT6_PT4_,@function
_ZL18rocblas_dot_kernelIlLb1ELi1024ELi32ELb0E16rocblas_bfloat16PKS0_fEviT5_lT_lS3_lS4_liPT6_PT4_: ; @_ZL18rocblas_dot_kernelIlLb1ELi1024ELi32ELb0E16rocblas_bfloat16PKS0_fEviT5_lT_lS3_lS4_liPT6_PT4_
; %bb.0:
	s_mov_b32 s2, s7
	s_load_dword s18, s[4:5], 0x0
	s_load_dwordx2 s[6:7], s[4:5], 0x58
	s_mov_b32 s3, 0
	v_mov_b32_e32 v6, 0
	s_waitcnt lgkmcnt(0)
	v_cmp_gt_i32_e32 vcc, s18, v0
	s_and_saveexec_b64 s[16:17], vcc
	s_cbranch_execz .LBB36_4
; %bb.1:
	s_load_dword s19, s[4:5], 0x60
	s_load_dwordx2 s[0:1], s[4:5], 0x40
	s_load_dwordx8 s[8:15], s[4:5], 0x20
	s_load_dwordx2 s[24:25], s[4:5], 0x8
	s_load_dwordx4 s[20:23], s[4:5], 0x10
	s_waitcnt lgkmcnt(0)
	s_lshl_b32 s19, s19, 10
	s_mul_i32 s1, s1, s2
	s_mul_i32 s4, s9, s2
	s_mul_hi_u32 s5, s8, s2
	s_add_i32 s5, s5, s4
	s_mul_i32 s4, s8, s2
	v_mad_u64_u32 v[2:3], s[8:9], s22, v0, 0
	v_mov_b32_e32 v4, v3
	v_mad_u64_u32 v[4:5], s[8:9], s23, v0, v[4:5]
	s_lshl_b64 s[4:5], s[4:5], 1
	s_lshl_b64 s[8:9], s[20:21], 1
	s_add_u32 s8, s24, s8
	s_addc_u32 s9, s25, s9
	v_mov_b32_e32 v3, v4
	s_add_u32 s4, s8, s4
	v_lshlrev_b64 v[2:3], 1, v[2:3]
	s_addc_u32 s5, s9, s5
	v_mov_b32_e32 v4, s5
	v_add_co_u32_e32 v2, vcc, s4, v2
	s_ashr_i32 s20, s19, 31
	s_mul_hi_u32 s8, s0, s2
	v_addc_co_u32_e32 v3, vcc, v4, v3, vcc
	s_mul_i32 s4, s22, s20
	s_mul_hi_u32 s5, s22, s19
	s_add_i32 s1, s8, s1
	v_mad_u64_u32 v[4:5], s[8:9], s14, v0, 0
	s_add_i32 s4, s5, s4
	s_mul_i32 s5, s23, s19
	v_mov_b32_e32 v6, v5
	s_add_i32 s5, s4, s5
	s_mul_i32 s4, s22, s19
	s_mul_i32 s0, s0, s2
	v_mad_u64_u32 v[6:7], s[8:9], s15, v0, v[6:7]
	s_lshl_b64 s[4:5], s[4:5], 1
	s_lshl_b64 s[0:1], s[0:1], 1
	;; [unrolled: 1-line block ×3, first 2 shown]
	s_add_u32 s8, s10, s8
	s_addc_u32 s9, s11, s9
	v_mov_b32_e32 v5, v6
	s_add_u32 s0, s8, s0
	v_lshlrev_b64 v[4:5], 1, v[4:5]
	s_addc_u32 s1, s9, s1
	v_mov_b32_e32 v6, s1
	v_add_co_u32_e32 v4, vcc, s0, v4
	s_mul_i32 s0, s14, s20
	s_mul_hi_u32 s1, s14, s19
	s_add_i32 s0, s1, s0
	s_mul_i32 s1, s15, s19
	s_add_i32 s1, s0, s1
	s_mul_i32 s0, s14, s19
	s_lshl_b64 s[10:11], s[0:1], 1
	v_or_b32_e32 v1, s19, v0
	v_addc_co_u32_e32 v5, vcc, v6, v5, vcc
	s_mov_b64 s[8:9], 0
	v_mov_b32_e32 v6, 0
	v_mov_b32_e32 v7, s5
	;; [unrolled: 1-line block ×3, first 2 shown]
	s_mov_b32 s5, s3
.LBB36_2:                               ; =>This Inner Loop Header: Depth=1
	global_load_ushort v9, v[4:5], off
	global_load_ushort v10, v[2:3], off
	v_add_co_u32_e64 v2, s[0:1], s4, v2
	v_addc_co_u32_e64 v3, s[0:1], v3, v7, s[0:1]
	s_add_i32 s11, s5, 1
	v_add_co_u32_e64 v4, s[0:1], s10, v4
	v_addc_co_u32_e64 v5, s[0:1], v5, v8, s[0:1]
	s_cmp_gt_u32 s5, 30
	v_cmp_le_i32_e32 vcc, s18, v1
	s_cselect_b64 s[0:1], -1, 0
	s_or_b64 s[0:1], s[0:1], vcc
	s_and_b64 s[0:1], exec, s[0:1]
	v_add_u32_e32 v1, s19, v1
	s_mov_b32 s5, s11
	s_or_b64 s[8:9], s[0:1], s[8:9]
	s_waitcnt vmcnt(1)
	v_lshlrev_b32_e32 v9, 16, v9
	s_waitcnt vmcnt(0)
	v_lshlrev_b32_e32 v10, 16, v10
	v_fmac_f32_e32 v6, v10, v9
	s_andn2_b64 exec, exec, s[8:9]
	s_cbranch_execnz .LBB36_2
; %bb.3:
	s_or_b64 exec, exec, s[8:9]
.LBB36_4:
	s_or_b64 exec, exec, s[16:17]
	v_and_b32_e32 v2, 63, v0
	v_cmp_gt_u32_e32 vcc, 64, v0
	v_lshlrev_b32_e32 v1, 2, v2
	s_and_saveexec_b64 s[0:1], vcc
	s_cbranch_execz .LBB36_6
; %bb.5:
	v_mov_b32_e32 v3, 0
	ds_write_b32 v1, v3
.LBB36_6:
	s_or_b64 exec, exec, s[0:1]
	v_mbcnt_lo_u32_b32 v3, -1, 0
	v_mbcnt_hi_u32_b32 v7, -1, v3
	v_and_b32_e32 v8, 63, v7
	v_cmp_gt_u32_e64 s[0:1], 32, v8
	v_cndmask_b32_e64 v3, 0, 1, s[0:1]
	v_lshlrev_b32_e32 v3, 5, v3
	v_add_lshl_u32 v3, v3, v7, 2
	ds_bpermute_b32 v3, v3, v6
	v_cmp_gt_u32_e64 s[0:1], 48, v8
	v_cndmask_b32_e64 v4, 0, 1, s[0:1]
	v_lshlrev_b32_e32 v4, 4, v4
	v_add_lshl_u32 v4, v4, v7, 2
	s_waitcnt lgkmcnt(0)
	v_add_f32_e32 v3, v6, v3
	ds_bpermute_b32 v4, v4, v3
	v_cmp_gt_u32_e64 s[0:1], 56, v8
	v_cndmask_b32_e64 v5, 0, 1, s[0:1]
	v_lshlrev_b32_e32 v5, 3, v5
	v_cmp_gt_u32_e64 s[0:1], 60, v8
	s_waitcnt lgkmcnt(0)
	v_add_f32_e32 v4, v3, v4
	v_add_lshl_u32 v3, v5, v7, 2
	ds_bpermute_b32 v5, v3, v4
	v_cndmask_b32_e64 v6, 0, 1, s[0:1]
	v_lshlrev_b32_e32 v6, 2, v6
	v_cmp_gt_u32_e64 s[0:1], 62, v8
	v_cndmask_b32_e64 v9, 0, 1, s[0:1]
	s_waitcnt lgkmcnt(0)
	v_add_f32_e32 v5, v4, v5
	v_add_lshl_u32 v4, v6, v7, 2
	ds_bpermute_b32 v6, v4, v5
	v_lshlrev_b32_e32 v9, 1, v9
	v_cmp_ne_u32_e64 s[0:1], 63, v8
	v_addc_co_u32_e64 v8, s[0:1], 0, v7, s[0:1]
	s_waitcnt lgkmcnt(0)
	v_add_f32_e32 v6, v5, v6
	v_add_lshl_u32 v5, v9, v7, 2
	ds_bpermute_b32 v9, v5, v6
	v_cmp_eq_u32_e64 s[0:1], 0, v2
	s_waitcnt lgkmcnt(0)
	s_barrier
	v_add_f32_e32 v7, v6, v9
	v_lshlrev_b32_e32 v6, 2, v8
	ds_bpermute_b32 v8, v6, v7
	s_and_saveexec_b64 s[4:5], s[0:1]
	s_cbranch_execz .LBB36_8
; %bb.7:
	s_waitcnt lgkmcnt(0)
	v_add_f32_e32 v2, v7, v8
	v_lshrrev_b32_e32 v7, 4, v0
	v_and_b32_e32 v7, 60, v7
	ds_write_b32 v7, v2
.LBB36_8:
	s_or_b64 exec, exec, s[4:5]
	v_cmp_gt_u32_e64 s[0:1], 16, v0
	v_mov_b32_e32 v2, 0
	s_waitcnt lgkmcnt(0)
	s_barrier
	s_and_saveexec_b64 s[4:5], s[0:1]
	s_cbranch_execnz .LBB36_12
; %bb.9:
	s_or_b64 exec, exec, s[4:5]
	s_and_saveexec_b64 s[0:1], vcc
	s_cbranch_execnz .LBB36_13
.LBB36_10:
	s_or_b64 exec, exec, s[0:1]
	v_cmp_eq_u32_e32 vcc, 0, v0
	s_and_saveexec_b64 s[0:1], vcc
	s_cbranch_execnz .LBB36_14
.LBB36_11:
	s_endpgm
.LBB36_12:
	ds_read_b32 v2, v1
	s_or_b64 exec, exec, s[4:5]
	s_and_saveexec_b64 s[0:1], vcc
	s_cbranch_execz .LBB36_10
.LBB36_13:
	s_waitcnt lgkmcnt(0)
	ds_bpermute_b32 v1, v3, v2
	s_waitcnt lgkmcnt(0)
	v_add_f32_e32 v1, v2, v1
	ds_bpermute_b32 v2, v4, v1
	s_waitcnt lgkmcnt(0)
	v_add_f32_e32 v1, v1, v2
	;; [unrolled: 3-line block ×4, first 2 shown]
	s_or_b64 exec, exec, s[0:1]
	v_cmp_eq_u32_e32 vcc, 0, v0
	s_and_saveexec_b64 s[0:1], vcc
	s_cbranch_execz .LBB36_11
.LBB36_14:
	s_mov_b32 s0, 0x7f800000
	s_waitcnt lgkmcnt(0)
	v_and_b32_e32 v0, 0x7f800000, v2
	v_cmp_ne_u32_e32 vcc, s0, v0
                                        ; implicit-def: $vgpr0
	s_and_saveexec_b64 s[0:1], vcc
	s_xor_b64 s[0:1], exec, s[0:1]
; %bb.15:
	v_bfe_u32 v0, v2, 16, 1
	s_movk_i32 s4, 0x7fff
	v_add3_u32 v0, v2, v0, s4
                                        ; implicit-def: $vgpr2
; %bb.16:
	s_andn2_saveexec_b64 s[0:1], s[0:1]
; %bb.17:
	v_mov_b32_e32 v0, 0
	v_or_b32_e32 v1, 0x10000, v2
	v_cmp_eq_u32_sdwa vcc, v2, v0 src0_sel:WORD_0 src1_sel:DWORD
	v_cndmask_b32_e32 v0, v1, v2, vcc
; %bb.18:
	s_or_b64 exec, exec, s[0:1]
	s_lshl_b64 s[0:1], s[2:3], 1
	s_add_u32 s0, s6, s0
	s_addc_u32 s1, s7, s1
	v_mov_b32_e32 v1, 0
	global_store_short_d16_hi v1, v0, s[0:1]
	s_endpgm
	.section	.rodata,"a",@progbits
	.p2align	6, 0x0
	.amdhsa_kernel _ZL18rocblas_dot_kernelIlLb1ELi1024ELi32ELb0E16rocblas_bfloat16PKS0_fEviT5_lT_lS3_lS4_liPT6_PT4_
		.amdhsa_group_segment_fixed_size 256
		.amdhsa_private_segment_fixed_size 0
		.amdhsa_kernarg_size 352
		.amdhsa_user_sgpr_count 6
		.amdhsa_user_sgpr_private_segment_buffer 1
		.amdhsa_user_sgpr_dispatch_ptr 0
		.amdhsa_user_sgpr_queue_ptr 0
		.amdhsa_user_sgpr_kernarg_segment_ptr 1
		.amdhsa_user_sgpr_dispatch_id 0
		.amdhsa_user_sgpr_flat_scratch_init 0
		.amdhsa_user_sgpr_kernarg_preload_length 0
		.amdhsa_user_sgpr_kernarg_preload_offset 0
		.amdhsa_user_sgpr_private_segment_size 0
		.amdhsa_uses_dynamic_stack 0
		.amdhsa_system_sgpr_private_segment_wavefront_offset 0
		.amdhsa_system_sgpr_workgroup_id_x 1
		.amdhsa_system_sgpr_workgroup_id_y 0
		.amdhsa_system_sgpr_workgroup_id_z 1
		.amdhsa_system_sgpr_workgroup_info 0
		.amdhsa_system_vgpr_workitem_id 0
		.amdhsa_next_free_vgpr 11
		.amdhsa_next_free_sgpr 26
		.amdhsa_accum_offset 12
		.amdhsa_reserve_vcc 1
		.amdhsa_reserve_flat_scratch 0
		.amdhsa_float_round_mode_32 0
		.amdhsa_float_round_mode_16_64 0
		.amdhsa_float_denorm_mode_32 3
		.amdhsa_float_denorm_mode_16_64 3
		.amdhsa_dx10_clamp 1
		.amdhsa_ieee_mode 1
		.amdhsa_fp16_overflow 0
		.amdhsa_tg_split 0
		.amdhsa_exception_fp_ieee_invalid_op 0
		.amdhsa_exception_fp_denorm_src 0
		.amdhsa_exception_fp_ieee_div_zero 0
		.amdhsa_exception_fp_ieee_overflow 0
		.amdhsa_exception_fp_ieee_underflow 0
		.amdhsa_exception_fp_ieee_inexact 0
		.amdhsa_exception_int_div_zero 0
	.end_amdhsa_kernel
	.section	.text._ZL18rocblas_dot_kernelIlLb1ELi1024ELi32ELb0E16rocblas_bfloat16PKS0_fEviT5_lT_lS3_lS4_liPT6_PT4_,"axG",@progbits,_ZL18rocblas_dot_kernelIlLb1ELi1024ELi32ELb0E16rocblas_bfloat16PKS0_fEviT5_lT_lS3_lS4_liPT6_PT4_,comdat
.Lfunc_end36:
	.size	_ZL18rocblas_dot_kernelIlLb1ELi1024ELi32ELb0E16rocblas_bfloat16PKS0_fEviT5_lT_lS3_lS4_liPT6_PT4_, .Lfunc_end36-_ZL18rocblas_dot_kernelIlLb1ELi1024ELi32ELb0E16rocblas_bfloat16PKS0_fEviT5_lT_lS3_lS4_liPT6_PT4_
                                        ; -- End function
	.section	.AMDGPU.csdata,"",@progbits
; Kernel info:
; codeLenInByte = 1092
; NumSgprs: 30
; NumVgprs: 11
; NumAgprs: 0
; TotalNumVgprs: 11
; ScratchSize: 0
; MemoryBound: 0
; FloatMode: 240
; IeeeMode: 1
; LDSByteSize: 256 bytes/workgroup (compile time only)
; SGPRBlocks: 3
; VGPRBlocks: 1
; NumSGPRsForWavesPerEU: 30
; NumVGPRsForWavesPerEU: 11
; AccumOffset: 12
; Occupancy: 8
; WaveLimiterHint : 0
; COMPUTE_PGM_RSRC2:SCRATCH_EN: 0
; COMPUTE_PGM_RSRC2:USER_SGPR: 6
; COMPUTE_PGM_RSRC2:TRAP_HANDLER: 0
; COMPUTE_PGM_RSRC2:TGID_X_EN: 1
; COMPUTE_PGM_RSRC2:TGID_Y_EN: 0
; COMPUTE_PGM_RSRC2:TGID_Z_EN: 1
; COMPUTE_PGM_RSRC2:TIDIG_COMP_CNT: 0
; COMPUTE_PGM_RSRC3_GFX90A:ACCUM_OFFSET: 2
; COMPUTE_PGM_RSRC3_GFX90A:TG_SPLIT: 0
	.section	.text._ZL24rocblas_dot_kernel_magsqIlLb1ELi1024ELi32ELb0E16rocblas_bfloat16PKS0_fEviT5_lT_liPT6_PT4_,"axG",@progbits,_ZL24rocblas_dot_kernel_magsqIlLb1ELi1024ELi32ELb0E16rocblas_bfloat16PKS0_fEviT5_lT_liPT6_PT4_,comdat
	.globl	_ZL24rocblas_dot_kernel_magsqIlLb1ELi1024ELi32ELb0E16rocblas_bfloat16PKS0_fEviT5_lT_liPT6_PT4_ ; -- Begin function _ZL24rocblas_dot_kernel_magsqIlLb1ELi1024ELi32ELb0E16rocblas_bfloat16PKS0_fEviT5_lT_liPT6_PT4_
	.p2align	8
	.type	_ZL24rocblas_dot_kernel_magsqIlLb1ELi1024ELi32ELb0E16rocblas_bfloat16PKS0_fEviT5_lT_liPT6_PT4_,@function
_ZL24rocblas_dot_kernel_magsqIlLb1ELi1024ELi32ELb0E16rocblas_bfloat16PKS0_fEviT5_lT_liPT6_PT4_: ; @_ZL24rocblas_dot_kernel_magsqIlLb1ELi1024ELi32ELb0E16rocblas_bfloat16PKS0_fEviT5_lT_liPT6_PT4_
; %bb.0:
	s_mov_b32 s2, s7
	s_load_dword s12, s[4:5], 0x0
	s_load_dwordx2 s[6:7], s[4:5], 0x38
	s_mov_b32 s3, 0
	v_mov_b32_e32 v1, 0
	s_waitcnt lgkmcnt(0)
	v_cmp_gt_i32_e32 vcc, s12, v0
	s_and_saveexec_b64 s[8:9], vcc
	s_cbranch_execz .LBB37_4
; %bb.1:
	s_load_dword s13, s[4:5], 0x40
	s_load_dwordx2 s[0:1], s[4:5], 0x20
	s_load_dwordx2 s[10:11], s[4:5], 0x8
	s_load_dwordx4 s[16:19], s[4:5], 0x10
	s_waitcnt lgkmcnt(0)
	s_lshl_b32 s13, s13, 10
	s_mul_i32 s1, s1, s2
	s_mul_hi_u32 s4, s0, s2
	s_add_i32 s1, s4, s1
	v_mad_u64_u32 v[2:3], s[4:5], s18, v0, 0
	v_mov_b32_e32 v6, v3
	s_mul_i32 s0, s0, s2
	v_mad_u64_u32 v[6:7], s[4:5], s19, v0, v[6:7]
	s_lshl_b64 s[0:1], s[0:1], 1
	s_lshl_b64 s[4:5], s[16:17], 1
	s_add_u32 s4, s10, s4
	v_mov_b32_e32 v3, v6
	s_addc_u32 s5, s11, s5
	v_lshlrev_b64 v[2:3], 1, v[2:3]
	s_add_u32 s0, s4, s0
	s_addc_u32 s1, s5, s1
	v_add_co_u32_e32 v2, vcc, s0, v2
	s_ashr_i32 s0, s13, 31
	v_mov_b32_e32 v1, s1
	s_mul_i32 s0, s18, s0
	s_mul_hi_u32 s1, s18, s13
	s_add_i32 s0, s1, s0
	s_mul_i32 s1, s19, s13
	s_add_i32 s1, s0, s1
	s_mul_i32 s0, s18, s13
	s_lshl_b64 s[10:11], s[0:1], 1
	v_or_b32_e32 v4, s13, v0
	v_addc_co_u32_e32 v3, vcc, v1, v3, vcc
	s_mov_b64 s[4:5], 0
	v_mov_b32_e32 v1, 0
	v_mov_b32_e32 v5, s11
	s_mov_b32 s11, s3
.LBB37_2:                               ; =>This Inner Loop Header: Depth=1
	global_load_ushort v6, v[2:3], off
	s_add_i32 s14, s11, 1
	v_add_co_u32_e64 v2, s[0:1], s10, v2
	v_addc_co_u32_e64 v3, s[0:1], v3, v5, s[0:1]
	s_cmp_gt_u32 s11, 30
	v_cmp_le_i32_e32 vcc, s12, v4
	s_cselect_b64 s[0:1], -1, 0
	s_or_b64 s[0:1], s[0:1], vcc
	s_and_b64 s[0:1], exec, s[0:1]
	v_add_u32_e32 v4, s13, v4
	s_mov_b32 s11, s14
	s_or_b64 s[4:5], s[0:1], s[4:5]
	s_waitcnt vmcnt(0)
	v_lshlrev_b32_e32 v6, 16, v6
	v_fmac_f32_e32 v1, v6, v6
	s_andn2_b64 exec, exec, s[4:5]
	s_cbranch_execnz .LBB37_2
; %bb.3:
	s_or_b64 exec, exec, s[4:5]
.LBB37_4:
	s_or_b64 exec, exec, s[8:9]
	v_and_b32_e32 v3, 63, v0
	v_cmp_gt_u32_e32 vcc, 64, v0
	v_lshlrev_b32_e32 v2, 2, v3
	s_and_saveexec_b64 s[0:1], vcc
	s_cbranch_execz .LBB37_6
; %bb.5:
	v_mov_b32_e32 v4, 0
	ds_write_b32 v2, v4
.LBB37_6:
	s_or_b64 exec, exec, s[0:1]
	v_mbcnt_lo_u32_b32 v4, -1, 0
	v_mbcnt_hi_u32_b32 v6, -1, v4
	v_and_b32_e32 v7, 63, v6
	v_cmp_gt_u32_e64 s[0:1], 32, v7
	v_cndmask_b32_e64 v4, 0, 1, s[0:1]
	v_lshlrev_b32_e32 v4, 5, v4
	v_add_lshl_u32 v4, v4, v6, 2
	ds_bpermute_b32 v4, v4, v1
	v_cmp_gt_u32_e64 s[0:1], 48, v7
	v_cndmask_b32_e64 v5, 0, 1, s[0:1]
	v_lshlrev_b32_e32 v5, 4, v5
	v_cmp_gt_u32_e64 s[0:1], 56, v7
	s_waitcnt lgkmcnt(0)
	v_add_f32_e32 v1, v1, v4
	v_add_lshl_u32 v4, v5, v6, 2
	ds_bpermute_b32 v4, v4, v1
	v_cndmask_b32_e64 v5, 0, 1, s[0:1]
	v_lshlrev_b32_e32 v5, 3, v5
	v_cmp_gt_u32_e64 s[0:1], 60, v7
	v_cndmask_b32_e64 v8, 0, 1, s[0:1]
	s_waitcnt lgkmcnt(0)
	v_add_f32_e32 v4, v1, v4
	v_add_lshl_u32 v1, v5, v6, 2
	ds_bpermute_b32 v5, v1, v4
	v_lshlrev_b32_e32 v8, 2, v8
	v_cmp_gt_u32_e64 s[0:1], 62, v7
	v_cndmask_b32_e64 v9, 0, 1, s[0:1]
	v_lshlrev_b32_e32 v9, 1, v9
	s_waitcnt lgkmcnt(0)
	v_add_f32_e32 v5, v4, v5
	v_add_lshl_u32 v4, v8, v6, 2
	ds_bpermute_b32 v8, v4, v5
	v_cmp_ne_u32_e64 s[0:1], 63, v7
	s_waitcnt lgkmcnt(0)
	s_barrier
	v_add_f32_e32 v8, v5, v8
	v_add_lshl_u32 v5, v9, v6, 2
	ds_bpermute_b32 v9, v5, v8
	v_addc_co_u32_e64 v6, s[0:1], 0, v6, s[0:1]
	v_lshlrev_b32_e32 v6, 2, v6
	v_cmp_eq_u32_e64 s[0:1], 0, v3
	s_waitcnt lgkmcnt(0)
	v_add_f32_e32 v7, v8, v9
	ds_bpermute_b32 v8, v6, v7
	s_and_saveexec_b64 s[4:5], s[0:1]
	s_cbranch_execz .LBB37_8
; %bb.7:
	s_waitcnt lgkmcnt(0)
	v_add_f32_e32 v3, v7, v8
	v_lshrrev_b32_e32 v7, 4, v0
	v_and_b32_e32 v7, 60, v7
	ds_write_b32 v7, v3
.LBB37_8:
	s_or_b64 exec, exec, s[4:5]
	v_cmp_gt_u32_e64 s[0:1], 16, v0
	v_mov_b32_e32 v3, 0
	s_waitcnt lgkmcnt(0)
	s_barrier
	s_and_saveexec_b64 s[4:5], s[0:1]
	s_cbranch_execnz .LBB37_12
; %bb.9:
	s_or_b64 exec, exec, s[4:5]
	s_and_saveexec_b64 s[0:1], vcc
	s_cbranch_execnz .LBB37_13
.LBB37_10:
	s_or_b64 exec, exec, s[0:1]
	v_cmp_eq_u32_e32 vcc, 0, v0
	s_and_saveexec_b64 s[0:1], vcc
	s_cbranch_execnz .LBB37_14
.LBB37_11:
	s_endpgm
.LBB37_12:
	ds_read_b32 v3, v2
	s_or_b64 exec, exec, s[4:5]
	s_and_saveexec_b64 s[0:1], vcc
	s_cbranch_execz .LBB37_10
.LBB37_13:
	s_waitcnt lgkmcnt(0)
	ds_bpermute_b32 v1, v1, v3
	s_waitcnt lgkmcnt(0)
	v_add_f32_e32 v1, v3, v1
	ds_bpermute_b32 v2, v4, v1
	s_waitcnt lgkmcnt(0)
	v_add_f32_e32 v1, v1, v2
	ds_bpermute_b32 v2, v5, v1
	s_waitcnt lgkmcnt(0)
	v_add_f32_e32 v1, v1, v2
	ds_bpermute_b32 v2, v6, v1
	s_waitcnt lgkmcnt(0)
	v_add_f32_e32 v3, v1, v2
	s_or_b64 exec, exec, s[0:1]
	v_cmp_eq_u32_e32 vcc, 0, v0
	s_and_saveexec_b64 s[0:1], vcc
	s_cbranch_execz .LBB37_11
.LBB37_14:
	s_mov_b32 s0, 0x7f800000
	s_waitcnt lgkmcnt(0)
	v_and_b32_e32 v0, 0x7f800000, v3
	v_cmp_ne_u32_e32 vcc, s0, v0
                                        ; implicit-def: $vgpr0
	s_and_saveexec_b64 s[0:1], vcc
	s_xor_b64 s[0:1], exec, s[0:1]
; %bb.15:
	v_bfe_u32 v0, v3, 16, 1
	s_movk_i32 s4, 0x7fff
	v_add3_u32 v0, v3, v0, s4
                                        ; implicit-def: $vgpr3
; %bb.16:
	s_andn2_saveexec_b64 s[0:1], s[0:1]
; %bb.17:
	v_mov_b32_e32 v0, 0
	v_or_b32_e32 v1, 0x10000, v3
	v_cmp_eq_u32_sdwa vcc, v3, v0 src0_sel:WORD_0 src1_sel:DWORD
	v_cndmask_b32_e32 v0, v1, v3, vcc
; %bb.18:
	s_or_b64 exec, exec, s[0:1]
	s_lshl_b64 s[0:1], s[2:3], 1
	s_add_u32 s0, s6, s0
	s_addc_u32 s1, s7, s1
	v_mov_b32_e32 v1, 0
	global_store_short_d16_hi v1, v0, s[0:1]
	s_endpgm
	.section	.rodata,"a",@progbits
	.p2align	6, 0x0
	.amdhsa_kernel _ZL24rocblas_dot_kernel_magsqIlLb1ELi1024ELi32ELb0E16rocblas_bfloat16PKS0_fEviT5_lT_liPT6_PT4_
		.amdhsa_group_segment_fixed_size 256
		.amdhsa_private_segment_fixed_size 0
		.amdhsa_kernarg_size 320
		.amdhsa_user_sgpr_count 6
		.amdhsa_user_sgpr_private_segment_buffer 1
		.amdhsa_user_sgpr_dispatch_ptr 0
		.amdhsa_user_sgpr_queue_ptr 0
		.amdhsa_user_sgpr_kernarg_segment_ptr 1
		.amdhsa_user_sgpr_dispatch_id 0
		.amdhsa_user_sgpr_flat_scratch_init 0
		.amdhsa_user_sgpr_kernarg_preload_length 0
		.amdhsa_user_sgpr_kernarg_preload_offset 0
		.amdhsa_user_sgpr_private_segment_size 0
		.amdhsa_uses_dynamic_stack 0
		.amdhsa_system_sgpr_private_segment_wavefront_offset 0
		.amdhsa_system_sgpr_workgroup_id_x 1
		.amdhsa_system_sgpr_workgroup_id_y 0
		.amdhsa_system_sgpr_workgroup_id_z 1
		.amdhsa_system_sgpr_workgroup_info 0
		.amdhsa_system_vgpr_workitem_id 0
		.amdhsa_next_free_vgpr 10
		.amdhsa_next_free_sgpr 20
		.amdhsa_accum_offset 12
		.amdhsa_reserve_vcc 1
		.amdhsa_reserve_flat_scratch 0
		.amdhsa_float_round_mode_32 0
		.amdhsa_float_round_mode_16_64 0
		.amdhsa_float_denorm_mode_32 3
		.amdhsa_float_denorm_mode_16_64 3
		.amdhsa_dx10_clamp 1
		.amdhsa_ieee_mode 1
		.amdhsa_fp16_overflow 0
		.amdhsa_tg_split 0
		.amdhsa_exception_fp_ieee_invalid_op 0
		.amdhsa_exception_fp_denorm_src 0
		.amdhsa_exception_fp_ieee_div_zero 0
		.amdhsa_exception_fp_ieee_overflow 0
		.amdhsa_exception_fp_ieee_underflow 0
		.amdhsa_exception_fp_ieee_inexact 0
		.amdhsa_exception_int_div_zero 0
	.end_amdhsa_kernel
	.section	.text._ZL24rocblas_dot_kernel_magsqIlLb1ELi1024ELi32ELb0E16rocblas_bfloat16PKS0_fEviT5_lT_liPT6_PT4_,"axG",@progbits,_ZL24rocblas_dot_kernel_magsqIlLb1ELi1024ELi32ELb0E16rocblas_bfloat16PKS0_fEviT5_lT_liPT6_PT4_,comdat
.Lfunc_end37:
	.size	_ZL24rocblas_dot_kernel_magsqIlLb1ELi1024ELi32ELb0E16rocblas_bfloat16PKS0_fEviT5_lT_liPT6_PT4_, .Lfunc_end37-_ZL24rocblas_dot_kernel_magsqIlLb1ELi1024ELi32ELb0E16rocblas_bfloat16PKS0_fEviT5_lT_liPT6_PT4_
                                        ; -- End function
	.section	.AMDGPU.csdata,"",@progbits
; Kernel info:
; codeLenInByte = 936
; NumSgprs: 24
; NumVgprs: 10
; NumAgprs: 0
; TotalNumVgprs: 10
; ScratchSize: 0
; MemoryBound: 0
; FloatMode: 240
; IeeeMode: 1
; LDSByteSize: 256 bytes/workgroup (compile time only)
; SGPRBlocks: 2
; VGPRBlocks: 1
; NumSGPRsForWavesPerEU: 24
; NumVGPRsForWavesPerEU: 10
; AccumOffset: 12
; Occupancy: 8
; WaveLimiterHint : 0
; COMPUTE_PGM_RSRC2:SCRATCH_EN: 0
; COMPUTE_PGM_RSRC2:USER_SGPR: 6
; COMPUTE_PGM_RSRC2:TRAP_HANDLER: 0
; COMPUTE_PGM_RSRC2:TGID_X_EN: 1
; COMPUTE_PGM_RSRC2:TGID_Y_EN: 0
; COMPUTE_PGM_RSRC2:TGID_Z_EN: 1
; COMPUTE_PGM_RSRC2:TIDIG_COMP_CNT: 0
; COMPUTE_PGM_RSRC3_GFX90A:ACCUM_OFFSET: 2
; COMPUTE_PGM_RSRC3_GFX90A:TG_SPLIT: 0
	.section	.text._ZL38rocblas_dot_kernel_gfx942_float_doubleIlLi1024E16rocblas_bfloat16PKS0_fEviT2_lT_lS3_lS4_lPT3_PT1_,"axG",@progbits,_ZL38rocblas_dot_kernel_gfx942_float_doubleIlLi1024E16rocblas_bfloat16PKS0_fEviT2_lT_lS3_lS4_lPT3_PT1_,comdat
	.globl	_ZL38rocblas_dot_kernel_gfx942_float_doubleIlLi1024E16rocblas_bfloat16PKS0_fEviT2_lT_lS3_lS4_lPT3_PT1_ ; -- Begin function _ZL38rocblas_dot_kernel_gfx942_float_doubleIlLi1024E16rocblas_bfloat16PKS0_fEviT2_lT_lS3_lS4_lPT3_PT1_
	.p2align	8
	.type	_ZL38rocblas_dot_kernel_gfx942_float_doubleIlLi1024E16rocblas_bfloat16PKS0_fEviT2_lT_lS3_lS4_lPT3_PT1_,@function
_ZL38rocblas_dot_kernel_gfx942_float_doubleIlLi1024E16rocblas_bfloat16PKS0_fEviT2_lT_lS3_lS4_lPT3_PT1_: ; @_ZL38rocblas_dot_kernel_gfx942_float_doubleIlLi1024E16rocblas_bfloat16PKS0_fEviT2_lT_lS3_lS4_lPT3_PT1_
; %bb.0:
	s_endpgm
	.section	.rodata,"a",@progbits
	.p2align	6, 0x0
	.amdhsa_kernel _ZL38rocblas_dot_kernel_gfx942_float_doubleIlLi1024E16rocblas_bfloat16PKS0_fEviT2_lT_lS3_lS4_lPT3_PT1_
		.amdhsa_group_segment_fixed_size 0
		.amdhsa_private_segment_fixed_size 0
		.amdhsa_kernarg_size 88
		.amdhsa_user_sgpr_count 6
		.amdhsa_user_sgpr_private_segment_buffer 1
		.amdhsa_user_sgpr_dispatch_ptr 0
		.amdhsa_user_sgpr_queue_ptr 0
		.amdhsa_user_sgpr_kernarg_segment_ptr 1
		.amdhsa_user_sgpr_dispatch_id 0
		.amdhsa_user_sgpr_flat_scratch_init 0
		.amdhsa_user_sgpr_kernarg_preload_length 0
		.amdhsa_user_sgpr_kernarg_preload_offset 0
		.amdhsa_user_sgpr_private_segment_size 0
		.amdhsa_uses_dynamic_stack 0
		.amdhsa_system_sgpr_private_segment_wavefront_offset 0
		.amdhsa_system_sgpr_workgroup_id_x 1
		.amdhsa_system_sgpr_workgroup_id_y 0
		.amdhsa_system_sgpr_workgroup_id_z 0
		.amdhsa_system_sgpr_workgroup_info 0
		.amdhsa_system_vgpr_workitem_id 0
		.amdhsa_next_free_vgpr 1
		.amdhsa_next_free_sgpr 0
		.amdhsa_accum_offset 4
		.amdhsa_reserve_vcc 0
		.amdhsa_reserve_flat_scratch 0
		.amdhsa_float_round_mode_32 0
		.amdhsa_float_round_mode_16_64 0
		.amdhsa_float_denorm_mode_32 3
		.amdhsa_float_denorm_mode_16_64 3
		.amdhsa_dx10_clamp 1
		.amdhsa_ieee_mode 1
		.amdhsa_fp16_overflow 0
		.amdhsa_tg_split 0
		.amdhsa_exception_fp_ieee_invalid_op 0
		.amdhsa_exception_fp_denorm_src 0
		.amdhsa_exception_fp_ieee_div_zero 0
		.amdhsa_exception_fp_ieee_overflow 0
		.amdhsa_exception_fp_ieee_underflow 0
		.amdhsa_exception_fp_ieee_inexact 0
		.amdhsa_exception_int_div_zero 0
	.end_amdhsa_kernel
	.section	.text._ZL38rocblas_dot_kernel_gfx942_float_doubleIlLi1024E16rocblas_bfloat16PKS0_fEviT2_lT_lS3_lS4_lPT3_PT1_,"axG",@progbits,_ZL38rocblas_dot_kernel_gfx942_float_doubleIlLi1024E16rocblas_bfloat16PKS0_fEviT2_lT_lS3_lS4_lPT3_PT1_,comdat
.Lfunc_end38:
	.size	_ZL38rocblas_dot_kernel_gfx942_float_doubleIlLi1024E16rocblas_bfloat16PKS0_fEviT2_lT_lS3_lS4_lPT3_PT1_, .Lfunc_end38-_ZL38rocblas_dot_kernel_gfx942_float_doubleIlLi1024E16rocblas_bfloat16PKS0_fEviT2_lT_lS3_lS4_lPT3_PT1_
                                        ; -- End function
	.section	.AMDGPU.csdata,"",@progbits
; Kernel info:
; codeLenInByte = 4
; NumSgprs: 4
; NumVgprs: 0
; NumAgprs: 0
; TotalNumVgprs: 0
; ScratchSize: 0
; MemoryBound: 0
; FloatMode: 240
; IeeeMode: 1
; LDSByteSize: 0 bytes/workgroup (compile time only)
; SGPRBlocks: 0
; VGPRBlocks: 0
; NumSGPRsForWavesPerEU: 4
; NumVGPRsForWavesPerEU: 1
; AccumOffset: 4
; Occupancy: 8
; WaveLimiterHint : 0
; COMPUTE_PGM_RSRC2:SCRATCH_EN: 0
; COMPUTE_PGM_RSRC2:USER_SGPR: 6
; COMPUTE_PGM_RSRC2:TRAP_HANDLER: 0
; COMPUTE_PGM_RSRC2:TGID_X_EN: 1
; COMPUTE_PGM_RSRC2:TGID_Y_EN: 0
; COMPUTE_PGM_RSRC2:TGID_Z_EN: 0
; COMPUTE_PGM_RSRC2:TIDIG_COMP_CNT: 0
; COMPUTE_PGM_RSRC3_GFX90A:ACCUM_OFFSET: 0
; COMPUTE_PGM_RSRC3_GFX90A:TG_SPLIT: 0
	.section	.text._ZL18rocblas_dot_kernelIlLb0ELi512ELi8ELb0E16rocblas_bfloat16PKS0_fEviT5_lT_lS3_lS4_liPT6_PT4_,"axG",@progbits,_ZL18rocblas_dot_kernelIlLb0ELi512ELi8ELb0E16rocblas_bfloat16PKS0_fEviT5_lT_lS3_lS4_liPT6_PT4_,comdat
	.globl	_ZL18rocblas_dot_kernelIlLb0ELi512ELi8ELb0E16rocblas_bfloat16PKS0_fEviT5_lT_lS3_lS4_liPT6_PT4_ ; -- Begin function _ZL18rocblas_dot_kernelIlLb0ELi512ELi8ELb0E16rocblas_bfloat16PKS0_fEviT5_lT_lS3_lS4_liPT6_PT4_
	.p2align	8
	.type	_ZL18rocblas_dot_kernelIlLb0ELi512ELi8ELb0E16rocblas_bfloat16PKS0_fEviT5_lT_lS3_lS4_liPT6_PT4_,@function
_ZL18rocblas_dot_kernelIlLb0ELi512ELi8ELb0E16rocblas_bfloat16PKS0_fEviT5_lT_lS3_lS4_liPT6_PT4_: ; @_ZL18rocblas_dot_kernelIlLb0ELi512ELi8ELb0E16rocblas_bfloat16PKS0_fEviT5_lT_lS3_lS4_liPT6_PT4_
; %bb.0:
	s_mov_b32 s2, s7
	s_load_dword s22, s[4:5], 0x60
	s_load_dword s7, s[4:5], 0x0
	s_load_dwordx4 s[16:19], s[4:5], 0x50
	v_lshl_or_b32 v4, s6, 9, v0
	s_mov_b32 s3, 0
	v_mov_b32_e32 v6, 0
	s_waitcnt lgkmcnt(0)
	v_cmp_gt_i32_e32 vcc, s7, v4
	s_and_saveexec_b64 s[20:21], vcc
	s_cbranch_execz .LBB39_4
; %bb.1:
	s_load_dwordx8 s[8:15], s[4:5], 0x20
	s_load_dwordx2 s[0:1], s[4:5], 0x8
	s_load_dwordx4 s[24:27], s[4:5], 0x10
	s_load_dwordx2 s[28:29], s[4:5], 0x40
	s_lshl_b32 s23, s22, 9
	v_ashrrev_i32_e32 v5, 31, v4
	v_add_u32_e32 v1, s23, v4
	s_waitcnt lgkmcnt(0)
	v_mad_u64_u32 v[2:3], s[4:5], s26, v4, 0
	s_mul_i32 s4, s9, s2
	s_mul_hi_u32 s5, s8, s2
	s_add_i32 s5, s5, s4
	s_mul_i32 s4, s8, s2
	s_lshl_b64 s[4:5], s[4:5], 1
	s_lshl_b64 s[8:9], s[24:25], 1
	s_add_u32 s0, s0, s8
	v_mul_lo_u32 v6, s27, v4
	v_mul_lo_u32 v7, s26, v5
	s_addc_u32 s1, s1, s9
	v_add3_u32 v3, v3, v7, v6
	s_add_u32 s0, s0, s4
	v_lshlrev_b64 v[2:3], 1, v[2:3]
	s_addc_u32 s1, s1, s5
	s_ashr_i32 s24, s23, 31
	v_mov_b32_e32 v6, s1
	v_add_co_u32_e32 v2, vcc, s0, v2
	s_mul_i32 s0, s26, s24
	s_mul_hi_u32 s1, s26, s23
	s_add_i32 s0, s1, s0
	s_mul_i32 s1, s27, s23
	s_add_i32 s1, s0, s1
	s_mul_i32 s0, s26, s23
	v_addc_co_u32_e32 v3, vcc, v6, v3, vcc
	s_lshl_b64 s[4:5], s[0:1], 1
	v_mul_lo_u32 v6, s15, v4
	v_mul_lo_u32 v7, s14, v5
	v_mad_u64_u32 v[4:5], s[0:1], s14, v4, 0
	s_mul_i32 s0, s29, s2
	s_mul_hi_u32 s1, s28, s2
	s_add_i32 s1, s1, s0
	s_mul_i32 s0, s28, s2
	s_lshl_b64 s[0:1], s[0:1], 1
	s_lshl_b64 s[8:9], s[12:13], 1
	s_add_u32 s8, s10, s8
	s_addc_u32 s9, s11, s9
	v_add3_u32 v5, v5, v7, v6
	s_add_u32 s0, s8, s0
	v_lshlrev_b64 v[4:5], 1, v[4:5]
	s_addc_u32 s1, s9, s1
	v_mov_b32_e32 v6, s1
	v_add_co_u32_e32 v4, vcc, s0, v4
	s_mul_i32 s0, s14, s24
	s_mul_hi_u32 s1, s14, s23
	s_add_i32 s0, s1, s0
	s_mul_i32 s1, s15, s23
	s_add_i32 s1, s0, s1
	s_mul_i32 s0, s14, s23
	s_lshl_b64 s[10:11], s[0:1], 1
	v_addc_co_u32_e32 v5, vcc, v6, v5, vcc
	s_mov_b64 s[8:9], 0
	v_mov_b32_e32 v6, 0
	v_mov_b32_e32 v7, s5
	;; [unrolled: 1-line block ×3, first 2 shown]
	s_mov_b32 s5, s3
.LBB39_2:                               ; =>This Inner Loop Header: Depth=1
	global_load_ushort v9, v[4:5], off
	global_load_ushort v10, v[2:3], off
	v_add_co_u32_e64 v2, s[0:1], s4, v2
	v_addc_co_u32_e64 v3, s[0:1], v3, v7, s[0:1]
	s_add_i32 s11, s5, 1
	v_add_co_u32_e64 v4, s[0:1], s10, v4
	v_addc_co_u32_e64 v5, s[0:1], v5, v8, s[0:1]
	s_cmp_gt_u32 s5, 6
	v_cmp_le_i32_e32 vcc, s7, v1
	s_cselect_b64 s[0:1], -1, 0
	s_or_b64 s[0:1], s[0:1], vcc
	s_and_b64 s[0:1], exec, s[0:1]
	v_add_u32_e32 v1, s23, v1
	s_mov_b32 s5, s11
	s_or_b64 s[8:9], s[0:1], s[8:9]
	s_waitcnt vmcnt(1)
	v_lshlrev_b32_e32 v9, 16, v9
	s_waitcnt vmcnt(0)
	v_lshlrev_b32_e32 v10, 16, v10
	v_fmac_f32_e32 v6, v10, v9
	s_andn2_b64 exec, exec, s[8:9]
	s_cbranch_execnz .LBB39_2
; %bb.3:
	s_or_b64 exec, exec, s[8:9]
.LBB39_4:
	s_or_b64 exec, exec, s[20:21]
	v_and_b32_e32 v1, 63, v0
	v_cmp_gt_u32_e32 vcc, 64, v0
	v_lshlrev_b32_e32 v2, 2, v1
	s_and_saveexec_b64 s[0:1], vcc
	s_cbranch_execz .LBB39_6
; %bb.5:
	v_mov_b32_e32 v3, 0
	ds_write_b32 v2, v3
.LBB39_6:
	s_or_b64 exec, exec, s[0:1]
	v_mbcnt_lo_u32_b32 v3, -1, 0
	v_mbcnt_hi_u32_b32 v5, -1, v3
	v_and_b32_e32 v7, 63, v5
	v_cmp_gt_u32_e64 s[0:1], 32, v7
	v_cndmask_b32_e64 v3, 0, 1, s[0:1]
	v_lshlrev_b32_e32 v3, 5, v3
	v_add_lshl_u32 v3, v3, v5, 2
	ds_bpermute_b32 v3, v3, v6
	v_cmp_gt_u32_e64 s[0:1], 48, v7
	v_cndmask_b32_e64 v4, 0, 1, s[0:1]
	v_lshlrev_b32_e32 v4, 4, v4
	v_add_lshl_u32 v4, v4, v5, 2
	s_waitcnt lgkmcnt(0)
	v_add_f32_e32 v3, v6, v3
	ds_bpermute_b32 v4, v4, v3
	v_cmp_gt_u32_e64 s[0:1], 56, v7
	v_cndmask_b32_e64 v6, 0, 1, s[0:1]
	v_lshlrev_b32_e32 v6, 3, v6
	v_cmp_gt_u32_e64 s[0:1], 60, v7
	s_waitcnt lgkmcnt(0)
	v_add_f32_e32 v3, v3, v4
	v_add_lshl_u32 v4, v6, v5, 2
	ds_bpermute_b32 v4, v4, v3
	v_cndmask_b32_e64 v6, 0, 1, s[0:1]
	v_lshlrev_b32_e32 v6, 2, v6
	v_cmp_gt_u32_e64 s[0:1], 62, v7
	v_cndmask_b32_e64 v8, 0, 1, s[0:1]
	s_waitcnt lgkmcnt(0)
	v_add_f32_e32 v4, v3, v4
	v_add_lshl_u32 v3, v6, v5, 2
	ds_bpermute_b32 v6, v3, v4
	v_lshlrev_b32_e32 v8, 1, v8
	v_cmp_ne_u32_e64 s[0:1], 63, v7
	s_waitcnt lgkmcnt(0)
	s_barrier
	v_add_f32_e32 v6, v4, v6
	v_add_lshl_u32 v4, v8, v5, 2
	ds_bpermute_b32 v8, v4, v6
	v_addc_co_u32_e64 v5, s[0:1], 0, v5, s[0:1]
	v_lshlrev_b32_e32 v5, 2, v5
	v_cmp_eq_u32_e64 s[0:1], 0, v1
	s_waitcnt lgkmcnt(0)
	v_add_f32_e32 v6, v6, v8
	ds_bpermute_b32 v7, v5, v6
	s_waitcnt lgkmcnt(0)
	s_and_saveexec_b64 s[4:5], s[0:1]
	s_cbranch_execz .LBB39_8
; %bb.7:
	v_add_f32_e32 v1, v6, v7
	v_lshrrev_b32_e32 v6, 4, v0
	v_and_b32_e32 v6, 28, v6
	ds_write_b32 v6, v1
.LBB39_8:
	s_or_b64 exec, exec, s[4:5]
	v_cmp_gt_u32_e64 s[0:1], 8, v0
	v_mov_b32_e32 v1, 0
	s_waitcnt lgkmcnt(0)
	s_barrier
	s_and_saveexec_b64 s[4:5], s[0:1]
	s_cbranch_execnz .LBB39_12
; %bb.9:
	s_or_b64 exec, exec, s[4:5]
	s_and_saveexec_b64 s[0:1], vcc
	s_cbranch_execnz .LBB39_13
.LBB39_10:
	s_or_b64 exec, exec, s[0:1]
	v_cmp_eq_u32_e32 vcc, 0, v0
	s_and_saveexec_b64 s[0:1], vcc
	s_cbranch_execnz .LBB39_14
.LBB39_11:
	s_endpgm
.LBB39_12:
	ds_read_b32 v1, v2
	s_or_b64 exec, exec, s[4:5]
	s_and_saveexec_b64 s[0:1], vcc
	s_cbranch_execz .LBB39_10
.LBB39_13:
	s_waitcnt lgkmcnt(0)
	ds_bpermute_b32 v2, v3, v1
	s_waitcnt lgkmcnt(0)
	v_add_f32_e32 v1, v1, v2
	ds_bpermute_b32 v2, v4, v1
	s_waitcnt lgkmcnt(0)
	v_add_f32_e32 v1, v1, v2
	;; [unrolled: 3-line block ×3, first 2 shown]
	s_or_b64 exec, exec, s[0:1]
	v_cmp_eq_u32_e32 vcc, 0, v0
	s_and_saveexec_b64 s[0:1], vcc
	s_cbranch_execz .LBB39_11
.LBB39_14:
	s_cmp_lg_u32 s22, 1
	s_mov_b64 s[0:1], -1
	s_cbranch_scc0 .LBB39_16
; %bb.15:
	s_mul_hi_u32 s1, s22, s2
	s_mul_i32 s0, s22, s2
	s_lshl_b64 s[0:1], s[0:1], 2
	s_mov_b32 s7, 0
	s_add_u32 s4, s16, s0
	s_addc_u32 s5, s17, s1
	s_lshl_b64 s[0:1], s[6:7], 2
	s_add_u32 s0, s4, s0
	s_addc_u32 s1, s5, s1
	v_mov_b32_e32 v0, 0
	s_waitcnt lgkmcnt(0)
	global_store_dword v0, v1, s[0:1]
	s_mov_b64 s[0:1], 0
.LBB39_16:
	s_andn2_b64 vcc, exec, s[0:1]
	s_cbranch_vccnz .LBB39_11
; %bb.17:
	s_mov_b32 s0, 0x7f800000
	s_waitcnt lgkmcnt(0)
	v_and_b32_e32 v0, 0x7f800000, v1
	v_cmp_ne_u32_e32 vcc, s0, v0
                                        ; implicit-def: $vgpr0
	s_and_saveexec_b64 s[0:1], vcc
	s_xor_b64 s[0:1], exec, s[0:1]
; %bb.18:
	v_bfe_u32 v0, v1, 16, 1
	s_movk_i32 s4, 0x7fff
	v_add3_u32 v0, v1, v0, s4
                                        ; implicit-def: $vgpr1
; %bb.19:
	s_andn2_saveexec_b64 s[0:1], s[0:1]
; %bb.20:
	v_mov_b32_e32 v0, 0
	v_or_b32_e32 v2, 0x10000, v1
	v_cmp_eq_u32_sdwa vcc, v1, v0 src0_sel:WORD_0 src1_sel:DWORD
	v_cndmask_b32_e32 v0, v2, v1, vcc
; %bb.21:
	s_or_b64 exec, exec, s[0:1]
	s_lshl_b64 s[0:1], s[2:3], 1
	s_add_u32 s0, s18, s0
	s_addc_u32 s1, s19, s1
	v_mov_b32_e32 v1, 0
	global_store_short_d16_hi v1, v0, s[0:1]
	s_endpgm
	.section	.rodata,"a",@progbits
	.p2align	6, 0x0
	.amdhsa_kernel _ZL18rocblas_dot_kernelIlLb0ELi512ELi8ELb0E16rocblas_bfloat16PKS0_fEviT5_lT_lS3_lS4_liPT6_PT4_
		.amdhsa_group_segment_fixed_size 256
		.amdhsa_private_segment_fixed_size 0
		.amdhsa_kernarg_size 352
		.amdhsa_user_sgpr_count 6
		.amdhsa_user_sgpr_private_segment_buffer 1
		.amdhsa_user_sgpr_dispatch_ptr 0
		.amdhsa_user_sgpr_queue_ptr 0
		.amdhsa_user_sgpr_kernarg_segment_ptr 1
		.amdhsa_user_sgpr_dispatch_id 0
		.amdhsa_user_sgpr_flat_scratch_init 0
		.amdhsa_user_sgpr_kernarg_preload_length 0
		.amdhsa_user_sgpr_kernarg_preload_offset 0
		.amdhsa_user_sgpr_private_segment_size 0
		.amdhsa_uses_dynamic_stack 0
		.amdhsa_system_sgpr_private_segment_wavefront_offset 0
		.amdhsa_system_sgpr_workgroup_id_x 1
		.amdhsa_system_sgpr_workgroup_id_y 0
		.amdhsa_system_sgpr_workgroup_id_z 1
		.amdhsa_system_sgpr_workgroup_info 0
		.amdhsa_system_vgpr_workitem_id 0
		.amdhsa_next_free_vgpr 11
		.amdhsa_next_free_sgpr 30
		.amdhsa_accum_offset 12
		.amdhsa_reserve_vcc 1
		.amdhsa_reserve_flat_scratch 0
		.amdhsa_float_round_mode_32 0
		.amdhsa_float_round_mode_16_64 0
		.amdhsa_float_denorm_mode_32 3
		.amdhsa_float_denorm_mode_16_64 3
		.amdhsa_dx10_clamp 1
		.amdhsa_ieee_mode 1
		.amdhsa_fp16_overflow 0
		.amdhsa_tg_split 0
		.amdhsa_exception_fp_ieee_invalid_op 0
		.amdhsa_exception_fp_denorm_src 0
		.amdhsa_exception_fp_ieee_div_zero 0
		.amdhsa_exception_fp_ieee_overflow 0
		.amdhsa_exception_fp_ieee_underflow 0
		.amdhsa_exception_fp_ieee_inexact 0
		.amdhsa_exception_int_div_zero 0
	.end_amdhsa_kernel
	.section	.text._ZL18rocblas_dot_kernelIlLb0ELi512ELi8ELb0E16rocblas_bfloat16PKS0_fEviT5_lT_lS3_lS4_liPT6_PT4_,"axG",@progbits,_ZL18rocblas_dot_kernelIlLb0ELi512ELi8ELb0E16rocblas_bfloat16PKS0_fEviT5_lT_lS3_lS4_liPT6_PT4_,comdat
.Lfunc_end39:
	.size	_ZL18rocblas_dot_kernelIlLb0ELi512ELi8ELb0E16rocblas_bfloat16PKS0_fEviT5_lT_lS3_lS4_liPT6_PT4_, .Lfunc_end39-_ZL18rocblas_dot_kernelIlLb0ELi512ELi8ELb0E16rocblas_bfloat16PKS0_fEviT5_lT_lS3_lS4_liPT6_PT4_
                                        ; -- End function
	.section	.AMDGPU.csdata,"",@progbits
; Kernel info:
; codeLenInByte = 1180
; NumSgprs: 34
; NumVgprs: 11
; NumAgprs: 0
; TotalNumVgprs: 11
; ScratchSize: 0
; MemoryBound: 0
; FloatMode: 240
; IeeeMode: 1
; LDSByteSize: 256 bytes/workgroup (compile time only)
; SGPRBlocks: 4
; VGPRBlocks: 1
; NumSGPRsForWavesPerEU: 34
; NumVGPRsForWavesPerEU: 11
; AccumOffset: 12
; Occupancy: 8
; WaveLimiterHint : 0
; COMPUTE_PGM_RSRC2:SCRATCH_EN: 0
; COMPUTE_PGM_RSRC2:USER_SGPR: 6
; COMPUTE_PGM_RSRC2:TRAP_HANDLER: 0
; COMPUTE_PGM_RSRC2:TGID_X_EN: 1
; COMPUTE_PGM_RSRC2:TGID_Y_EN: 0
; COMPUTE_PGM_RSRC2:TGID_Z_EN: 1
; COMPUTE_PGM_RSRC2:TIDIG_COMP_CNT: 0
; COMPUTE_PGM_RSRC3_GFX90A:ACCUM_OFFSET: 2
; COMPUTE_PGM_RSRC3_GFX90A:TG_SPLIT: 0
	.section	.text._ZL24rocblas_dot_kernel_magsqIlLb0ELi512ELi8ELb0E16rocblas_bfloat16PKS0_fEviT5_lT_liPT6_PT4_,"axG",@progbits,_ZL24rocblas_dot_kernel_magsqIlLb0ELi512ELi8ELb0E16rocblas_bfloat16PKS0_fEviT5_lT_liPT6_PT4_,comdat
	.globl	_ZL24rocblas_dot_kernel_magsqIlLb0ELi512ELi8ELb0E16rocblas_bfloat16PKS0_fEviT5_lT_liPT6_PT4_ ; -- Begin function _ZL24rocblas_dot_kernel_magsqIlLb0ELi512ELi8ELb0E16rocblas_bfloat16PKS0_fEviT5_lT_liPT6_PT4_
	.p2align	8
	.type	_ZL24rocblas_dot_kernel_magsqIlLb0ELi512ELi8ELb0E16rocblas_bfloat16PKS0_fEviT5_lT_liPT6_PT4_,@function
_ZL24rocblas_dot_kernel_magsqIlLb0ELi512ELi8ELb0E16rocblas_bfloat16PKS0_fEviT5_lT_liPT6_PT4_: ; @_ZL24rocblas_dot_kernel_magsqIlLb0ELi512ELi8ELb0E16rocblas_bfloat16PKS0_fEviT5_lT_liPT6_PT4_
; %bb.0:
	s_mov_b32 s2, s7
	s_load_dword s7, s[4:5], 0x0
	s_load_dwordx4 s[8:11], s[4:5], 0x30
	s_load_dword s16, s[4:5], 0x40
	v_lshl_or_b32 v2, s6, 9, v0
	s_mov_b32 s3, 0
	s_waitcnt lgkmcnt(0)
	v_cmp_gt_i32_e32 vcc, s7, v2
	v_mov_b32_e32 v1, 0
	s_and_saveexec_b64 s[12:13], vcc
	s_cbranch_execz .LBB40_4
; %bb.1:
	s_load_dwordx2 s[0:1], s[4:5], 0x8
	s_load_dwordx4 s[20:23], s[4:5], 0x10
	s_load_dwordx2 s[14:15], s[4:5], 0x20
	s_lshl_b32 s17, s16, 9
	v_add_u32_e32 v4, s17, v2
	v_ashrrev_i32_e32 v1, 31, v2
	s_waitcnt lgkmcnt(0)
	v_mul_lo_u32 v5, s23, v2
	v_mad_u64_u32 v[2:3], s[4:5], s22, v2, 0
	s_mul_i32 s4, s15, s2
	s_mul_hi_u32 s5, s14, s2
	s_add_i32 s5, s5, s4
	s_mul_i32 s4, s14, s2
	s_lshl_b64 s[4:5], s[4:5], 1
	s_lshl_b64 s[14:15], s[20:21], 1
	v_mul_lo_u32 v1, s22, v1
	s_add_u32 s0, s0, s14
	v_add3_u32 v3, v3, v1, v5
	s_addc_u32 s1, s1, s15
	v_lshlrev_b64 v[2:3], 1, v[2:3]
	s_add_u32 s0, s0, s4
	s_addc_u32 s1, s1, s5
	v_add_co_u32_e32 v2, vcc, s0, v2
	s_ashr_i32 s0, s17, 31
	v_mov_b32_e32 v1, s1
	s_mul_i32 s0, s22, s0
	s_mul_hi_u32 s1, s22, s17
	s_add_i32 s0, s1, s0
	s_mul_i32 s1, s23, s17
	s_add_i32 s1, s0, s1
	s_mul_i32 s0, s22, s17
	s_lshl_b64 s[14:15], s[0:1], 1
	v_addc_co_u32_e32 v3, vcc, v1, v3, vcc
	s_mov_b64 s[4:5], 0
	v_mov_b32_e32 v1, 0
	v_mov_b32_e32 v5, s15
	s_mov_b32 s15, s3
.LBB40_2:                               ; =>This Inner Loop Header: Depth=1
	global_load_ushort v6, v[2:3], off
	s_add_i32 s18, s15, 1
	v_add_co_u32_e64 v2, s[0:1], s14, v2
	v_addc_co_u32_e64 v3, s[0:1], v3, v5, s[0:1]
	s_cmp_gt_u32 s15, 6
	v_cmp_le_i32_e32 vcc, s7, v4
	s_cselect_b64 s[0:1], -1, 0
	s_or_b64 s[0:1], s[0:1], vcc
	s_and_b64 s[0:1], exec, s[0:1]
	v_add_u32_e32 v4, s17, v4
	s_mov_b32 s15, s18
	s_or_b64 s[4:5], s[0:1], s[4:5]
	s_waitcnt vmcnt(0)
	v_lshlrev_b32_e32 v6, 16, v6
	v_fmac_f32_e32 v1, v6, v6
	s_andn2_b64 exec, exec, s[4:5]
	s_cbranch_execnz .LBB40_2
; %bb.3:
	s_or_b64 exec, exec, s[4:5]
.LBB40_4:
	s_or_b64 exec, exec, s[12:13]
	v_and_b32_e32 v3, 63, v0
	v_cmp_gt_u32_e32 vcc, 64, v0
	v_lshlrev_b32_e32 v2, 2, v3
	s_and_saveexec_b64 s[0:1], vcc
	s_cbranch_execz .LBB40_6
; %bb.5:
	v_mov_b32_e32 v4, 0
	ds_write_b32 v2, v4
.LBB40_6:
	s_or_b64 exec, exec, s[0:1]
	v_mbcnt_lo_u32_b32 v4, -1, 0
	v_mbcnt_hi_u32_b32 v6, -1, v4
	v_and_b32_e32 v7, 63, v6
	v_cmp_gt_u32_e64 s[0:1], 32, v7
	v_cndmask_b32_e64 v4, 0, 1, s[0:1]
	v_lshlrev_b32_e32 v4, 5, v4
	v_add_lshl_u32 v4, v4, v6, 2
	ds_bpermute_b32 v4, v4, v1
	v_cmp_gt_u32_e64 s[0:1], 48, v7
	v_cndmask_b32_e64 v5, 0, 1, s[0:1]
	v_lshlrev_b32_e32 v5, 4, v5
	v_cmp_gt_u32_e64 s[0:1], 56, v7
	s_waitcnt lgkmcnt(0)
	v_add_f32_e32 v1, v1, v4
	v_add_lshl_u32 v4, v5, v6, 2
	ds_bpermute_b32 v4, v4, v1
	v_cndmask_b32_e64 v5, 0, 1, s[0:1]
	v_lshlrev_b32_e32 v5, 3, v5
	v_cmp_gt_u32_e64 s[0:1], 60, v7
	s_waitcnt lgkmcnt(0)
	v_add_f32_e32 v1, v1, v4
	v_add_lshl_u32 v4, v5, v6, 2
	ds_bpermute_b32 v4, v4, v1
	v_cndmask_b32_e64 v5, 0, 1, s[0:1]
	v_lshlrev_b32_e32 v5, 2, v5
	v_cmp_gt_u32_e64 s[0:1], 62, v7
	v_cndmask_b32_e64 v8, 0, 1, s[0:1]
	s_waitcnt lgkmcnt(0)
	v_add_f32_e32 v1, v1, v4
	v_add_lshl_u32 v4, v5, v6, 2
	ds_bpermute_b32 v5, v4, v1
	v_lshlrev_b32_e32 v8, 1, v8
	v_cmp_ne_u32_e64 s[0:1], 63, v7
	s_barrier
	s_waitcnt lgkmcnt(0)
	v_add_f32_e32 v1, v1, v5
	v_add_lshl_u32 v5, v8, v6, 2
	ds_bpermute_b32 v8, v5, v1
	v_addc_co_u32_e64 v6, s[0:1], 0, v6, s[0:1]
	v_lshlrev_b32_e32 v6, 2, v6
	v_cmp_eq_u32_e64 s[0:1], 0, v3
	s_waitcnt lgkmcnt(0)
	v_add_f32_e32 v1, v1, v8
	ds_bpermute_b32 v7, v6, v1
	s_and_saveexec_b64 s[4:5], s[0:1]
	s_cbranch_execz .LBB40_8
; %bb.7:
	v_lshrrev_b32_e32 v3, 4, v0
	s_waitcnt lgkmcnt(0)
	v_add_f32_e32 v1, v1, v7
	v_and_b32_e32 v3, 28, v3
	ds_write_b32 v3, v1
.LBB40_8:
	s_or_b64 exec, exec, s[4:5]
	v_cmp_gt_u32_e64 s[0:1], 8, v0
	v_mov_b32_e32 v1, 0
	s_waitcnt lgkmcnt(0)
	s_barrier
	s_and_saveexec_b64 s[4:5], s[0:1]
	s_cbranch_execnz .LBB40_12
; %bb.9:
	s_or_b64 exec, exec, s[4:5]
	s_and_saveexec_b64 s[0:1], vcc
	s_cbranch_execnz .LBB40_13
.LBB40_10:
	s_or_b64 exec, exec, s[0:1]
	v_cmp_eq_u32_e32 vcc, 0, v0
	s_and_saveexec_b64 s[0:1], vcc
	s_cbranch_execnz .LBB40_14
.LBB40_11:
	s_endpgm
.LBB40_12:
	ds_read_b32 v1, v2
	s_or_b64 exec, exec, s[4:5]
	s_and_saveexec_b64 s[0:1], vcc
	s_cbranch_execz .LBB40_10
.LBB40_13:
	s_waitcnt lgkmcnt(0)
	ds_bpermute_b32 v2, v4, v1
	s_waitcnt lgkmcnt(0)
	v_add_f32_e32 v1, v1, v2
	ds_bpermute_b32 v2, v5, v1
	s_waitcnt lgkmcnt(0)
	v_add_f32_e32 v1, v1, v2
	;; [unrolled: 3-line block ×3, first 2 shown]
	s_or_b64 exec, exec, s[0:1]
	v_cmp_eq_u32_e32 vcc, 0, v0
	s_and_saveexec_b64 s[0:1], vcc
	s_cbranch_execz .LBB40_11
.LBB40_14:
	s_cmp_lg_u32 s16, 1
	s_mov_b64 s[0:1], -1
	s_cbranch_scc0 .LBB40_16
; %bb.15:
	s_mul_hi_u32 s1, s16, s2
	s_mul_i32 s0, s16, s2
	s_lshl_b64 s[0:1], s[0:1], 2
	s_mov_b32 s7, 0
	s_add_u32 s4, s8, s0
	s_addc_u32 s5, s9, s1
	s_lshl_b64 s[0:1], s[6:7], 2
	s_add_u32 s0, s4, s0
	s_addc_u32 s1, s5, s1
	v_mov_b32_e32 v0, 0
	s_waitcnt lgkmcnt(0)
	global_store_dword v0, v1, s[0:1]
	s_mov_b64 s[0:1], 0
.LBB40_16:
	s_andn2_b64 vcc, exec, s[0:1]
	s_cbranch_vccnz .LBB40_11
; %bb.17:
	s_mov_b32 s0, 0x7f800000
	s_waitcnt lgkmcnt(0)
	v_and_b32_e32 v0, 0x7f800000, v1
	v_cmp_ne_u32_e32 vcc, s0, v0
                                        ; implicit-def: $vgpr0
	s_and_saveexec_b64 s[0:1], vcc
	s_xor_b64 s[0:1], exec, s[0:1]
; %bb.18:
	v_bfe_u32 v0, v1, 16, 1
	s_movk_i32 s4, 0x7fff
	v_add3_u32 v0, v1, v0, s4
                                        ; implicit-def: $vgpr1
; %bb.19:
	s_andn2_saveexec_b64 s[0:1], s[0:1]
; %bb.20:
	v_mov_b32_e32 v0, 0
	v_or_b32_e32 v2, 0x10000, v1
	v_cmp_eq_u32_sdwa vcc, v1, v0 src0_sel:WORD_0 src1_sel:DWORD
	v_cndmask_b32_e32 v0, v2, v1, vcc
; %bb.21:
	s_or_b64 exec, exec, s[0:1]
	s_lshl_b64 s[0:1], s[2:3], 1
	s_add_u32 s0, s10, s0
	s_addc_u32 s1, s11, s1
	v_mov_b32_e32 v1, 0
	global_store_short_d16_hi v1, v0, s[0:1]
	s_endpgm
	.section	.rodata,"a",@progbits
	.p2align	6, 0x0
	.amdhsa_kernel _ZL24rocblas_dot_kernel_magsqIlLb0ELi512ELi8ELb0E16rocblas_bfloat16PKS0_fEviT5_lT_liPT6_PT4_
		.amdhsa_group_segment_fixed_size 256
		.amdhsa_private_segment_fixed_size 0
		.amdhsa_kernarg_size 320
		.amdhsa_user_sgpr_count 6
		.amdhsa_user_sgpr_private_segment_buffer 1
		.amdhsa_user_sgpr_dispatch_ptr 0
		.amdhsa_user_sgpr_queue_ptr 0
		.amdhsa_user_sgpr_kernarg_segment_ptr 1
		.amdhsa_user_sgpr_dispatch_id 0
		.amdhsa_user_sgpr_flat_scratch_init 0
		.amdhsa_user_sgpr_kernarg_preload_length 0
		.amdhsa_user_sgpr_kernarg_preload_offset 0
		.amdhsa_user_sgpr_private_segment_size 0
		.amdhsa_uses_dynamic_stack 0
		.amdhsa_system_sgpr_private_segment_wavefront_offset 0
		.amdhsa_system_sgpr_workgroup_id_x 1
		.amdhsa_system_sgpr_workgroup_id_y 0
		.amdhsa_system_sgpr_workgroup_id_z 1
		.amdhsa_system_sgpr_workgroup_info 0
		.amdhsa_system_vgpr_workitem_id 0
		.amdhsa_next_free_vgpr 9
		.amdhsa_next_free_sgpr 24
		.amdhsa_accum_offset 12
		.amdhsa_reserve_vcc 1
		.amdhsa_reserve_flat_scratch 0
		.amdhsa_float_round_mode_32 0
		.amdhsa_float_round_mode_16_64 0
		.amdhsa_float_denorm_mode_32 3
		.amdhsa_float_denorm_mode_16_64 3
		.amdhsa_dx10_clamp 1
		.amdhsa_ieee_mode 1
		.amdhsa_fp16_overflow 0
		.amdhsa_tg_split 0
		.amdhsa_exception_fp_ieee_invalid_op 0
		.amdhsa_exception_fp_denorm_src 0
		.amdhsa_exception_fp_ieee_div_zero 0
		.amdhsa_exception_fp_ieee_overflow 0
		.amdhsa_exception_fp_ieee_underflow 0
		.amdhsa_exception_fp_ieee_inexact 0
		.amdhsa_exception_int_div_zero 0
	.end_amdhsa_kernel
	.section	.text._ZL24rocblas_dot_kernel_magsqIlLb0ELi512ELi8ELb0E16rocblas_bfloat16PKS0_fEviT5_lT_liPT6_PT4_,"axG",@progbits,_ZL24rocblas_dot_kernel_magsqIlLb0ELi512ELi8ELb0E16rocblas_bfloat16PKS0_fEviT5_lT_liPT6_PT4_,comdat
.Lfunc_end40:
	.size	_ZL24rocblas_dot_kernel_magsqIlLb0ELi512ELi8ELb0E16rocblas_bfloat16PKS0_fEviT5_lT_liPT6_PT4_, .Lfunc_end40-_ZL24rocblas_dot_kernel_magsqIlLb0ELi512ELi8ELb0E16rocblas_bfloat16PKS0_fEviT5_lT_liPT6_PT4_
                                        ; -- End function
	.section	.AMDGPU.csdata,"",@progbits
; Kernel info:
; codeLenInByte = 1016
; NumSgprs: 28
; NumVgprs: 9
; NumAgprs: 0
; TotalNumVgprs: 9
; ScratchSize: 0
; MemoryBound: 0
; FloatMode: 240
; IeeeMode: 1
; LDSByteSize: 256 bytes/workgroup (compile time only)
; SGPRBlocks: 3
; VGPRBlocks: 1
; NumSGPRsForWavesPerEU: 28
; NumVGPRsForWavesPerEU: 9
; AccumOffset: 12
; Occupancy: 8
; WaveLimiterHint : 0
; COMPUTE_PGM_RSRC2:SCRATCH_EN: 0
; COMPUTE_PGM_RSRC2:USER_SGPR: 6
; COMPUTE_PGM_RSRC2:TRAP_HANDLER: 0
; COMPUTE_PGM_RSRC2:TGID_X_EN: 1
; COMPUTE_PGM_RSRC2:TGID_Y_EN: 0
; COMPUTE_PGM_RSRC2:TGID_Z_EN: 1
; COMPUTE_PGM_RSRC2:TIDIG_COMP_CNT: 0
; COMPUTE_PGM_RSRC3_GFX90A:ACCUM_OFFSET: 2
; COMPUTE_PGM_RSRC3_GFX90A:TG_SPLIT: 0
	.section	.text._ZL28rocblas_dot_batched_4_kernelIiLi32ELi4ELb0EffPKfEviT5_lT_lS2_lS3_liPT4_,"axG",@progbits,_ZL28rocblas_dot_batched_4_kernelIiLi32ELi4ELb0EffPKfEviT5_lT_lS2_lS3_liPT4_,comdat
	.globl	_ZL28rocblas_dot_batched_4_kernelIiLi32ELi4ELb0EffPKfEviT5_lT_lS2_lS3_liPT4_ ; -- Begin function _ZL28rocblas_dot_batched_4_kernelIiLi32ELi4ELb0EffPKfEviT5_lT_lS2_lS3_liPT4_
	.p2align	8
	.type	_ZL28rocblas_dot_batched_4_kernelIiLi32ELi4ELb0EffPKfEviT5_lT_lS2_lS3_liPT4_,@function
_ZL28rocblas_dot_batched_4_kernelIiLi32ELi4ELb0EffPKfEviT5_lT_lS2_lS3_liPT4_: ; @_ZL28rocblas_dot_batched_4_kernelIiLi32ELi4ELb0EffPKfEviT5_lT_lS2_lS3_liPT4_
; %bb.0:
	s_load_dword s0, s[4:5], 0x48
	v_bfe_u32 v1, v0, 10, 10
	v_lshl_add_u32 v2, s6, 2, v1
	s_waitcnt lgkmcnt(0)
	v_cmp_gt_u32_e32 vcc, s0, v2
	s_and_saveexec_b64 s[0:1], vcc
	s_cbranch_execz .LBB41_7
; %bb.1:
	s_load_dword s10, s[4:5], 0x0
	s_load_dwordx2 s[0:1], s[4:5], 0x50
	v_mov_b32_e32 v3, 0
	v_and_b32_e32 v6, 0x3ff, v0
	v_mov_b32_e32 v7, v3
	s_waitcnt lgkmcnt(0)
	v_cmp_gt_i32_e32 vcc, s10, v6
	s_and_saveexec_b64 s[2:3], vcc
	s_cbranch_execz .LBB41_5
; %bb.2:
	s_load_dwordx4 s[12:15], s[4:5], 0x8
	s_load_dword s6, s[4:5], 0x18
	s_load_dword s8, s[4:5], 0x38
	s_load_dwordx4 s[16:19], s[4:5], 0x20
	s_load_dwordx2 s[20:21], s[4:5], 0x30
	s_load_dwordx2 s[22:23], s[4:5], 0x40
	s_waitcnt lgkmcnt(0)
	v_mad_i64_i32 v[0:1], s[4:5], s6, v6, 0
	v_mad_u64_u32 v[4:5], s[4:5], s16, v2, 0
	v_mov_b32_e32 v8, v5
	v_mad_u64_u32 v[8:9], s[4:5], s17, v2, v[8:9]
	v_mov_b32_e32 v5, v8
	s_ashr_i32 s7, s6, 31
	s_ashr_i32 s9, s8, 31
	v_lshlrev_b64 v[0:1], 2, v[0:1]
	v_lshlrev_b64 v[4:5], 2, v[4:5]
	s_lshl_b64 s[4:5], s[14:15], 2
	v_add_co_u32_e32 v0, vcc, v0, v4
	s_add_u32 s4, s12, s4
	v_addc_co_u32_e32 v1, vcc, v1, v5, vcc
	s_addc_u32 s5, s13, s5
	v_mov_b32_e32 v4, s5
	v_add_co_u32_e32 v0, vcc, s4, v0
	s_lshl_b64 s[4:5], s[6:7], 7
	v_mad_u64_u32 v[8:9], s[6:7], s22, v2, 0
	v_mov_b32_e32 v10, v9
	v_mad_u64_u32 v[10:11], s[6:7], s23, v2, v[10:11]
	v_addc_co_u32_e32 v1, vcc, v4, v1, vcc
	v_mad_i64_i32 v[4:5], s[6:7], s8, v6, 0
	v_mov_b32_e32 v9, v10
	v_lshlrev_b64 v[4:5], 2, v[4:5]
	v_lshlrev_b64 v[8:9], 2, v[8:9]
	s_lshl_b64 s[6:7], s[20:21], 2
	v_add_co_u32_e32 v4, vcc, v4, v8
	s_add_u32 s6, s18, s6
	v_addc_co_u32_e32 v5, vcc, v5, v9, vcc
	s_addc_u32 s7, s19, s7
	v_mov_b32_e32 v7, s7
	v_add_co_u32_e32 v4, vcc, s6, v4
	s_lshl_b64 s[8:9], s[8:9], 7
	v_addc_co_u32_e32 v5, vcc, v7, v5, vcc
	s_mov_b64 s[6:7], 0
	v_mov_b32_e32 v7, 0
	v_mov_b32_e32 v8, s5
	;; [unrolled: 1-line block ×4, first 2 shown]
.LBB41_3:                               ; =>This Inner Loop Header: Depth=1
	global_load_dword v11, v[0:1], off
	global_load_dword v12, v[4:5], off
	v_add_co_u32_e32 v0, vcc, s4, v0
	v_addc_co_u32_e32 v1, vcc, v1, v8, vcc
	v_add_co_u32_e32 v4, vcc, s8, v4
	v_add_u32_e32 v10, 32, v10
	v_addc_co_u32_e32 v5, vcc, v5, v9, vcc
	v_cmp_le_i32_e32 vcc, s10, v10
	s_or_b64 s[6:7], vcc, s[6:7]
	s_waitcnt vmcnt(0)
	v_fmac_f32_e32 v7, v11, v12
	s_andn2_b64 exec, exec, s[6:7]
	s_cbranch_execnz .LBB41_3
; %bb.4:
	s_or_b64 exec, exec, s[6:7]
.LBB41_5:
	s_or_b64 exec, exec, s[2:3]
	v_mbcnt_lo_u32_b32 v0, -1, 0
	v_mbcnt_hi_u32_b32 v0, -1, v0
	v_and_b32_e32 v1, 63, v0
	v_cmp_gt_u32_e32 vcc, 48, v1
	v_cndmask_b32_e64 v4, 0, 1, vcc
	v_lshlrev_b32_e32 v4, 4, v4
	v_add_lshl_u32 v4, v4, v0, 2
	ds_bpermute_b32 v4, v4, v7
	v_cmp_gt_u32_e32 vcc, 56, v1
	v_cndmask_b32_e64 v5, 0, 1, vcc
	v_lshlrev_b32_e32 v5, 3, v5
	v_add_lshl_u32 v5, v5, v0, 2
	s_waitcnt lgkmcnt(0)
	v_add_f32_e32 v4, v7, v4
	ds_bpermute_b32 v5, v5, v4
	v_cmp_gt_u32_e32 vcc, 60, v1
	v_cndmask_b32_e64 v7, 0, 1, vcc
	v_lshlrev_b32_e32 v7, 2, v7
	v_cmp_gt_u32_e32 vcc, 62, v1
	s_waitcnt lgkmcnt(0)
	v_add_f32_e32 v4, v4, v5
	v_add_lshl_u32 v5, v7, v0, 2
	ds_bpermute_b32 v5, v5, v4
	v_cndmask_b32_e64 v7, 0, 1, vcc
	v_lshlrev_b32_e32 v7, 1, v7
	v_cmp_ne_u32_e32 vcc, 63, v1
	v_addc_co_u32_e32 v1, vcc, 0, v0, vcc
	s_waitcnt lgkmcnt(0)
	v_add_f32_e32 v4, v4, v5
	v_add_lshl_u32 v5, v7, v0, 2
	ds_bpermute_b32 v5, v5, v4
	v_lshlrev_b32_e32 v1, 2, v1
	v_cmp_eq_u32_e32 vcc, 0, v6
	s_waitcnt lgkmcnt(0)
	s_barrier
	v_add_f32_e32 v0, v4, v5
	ds_bpermute_b32 v1, v1, v0
	s_waitcnt lgkmcnt(0)
	s_and_b64 exec, exec, vcc
	s_cbranch_execz .LBB41_7
; %bb.6:
	v_lshlrev_b64 v[2:3], 2, v[2:3]
	v_mov_b32_e32 v4, s1
	v_add_co_u32_e32 v2, vcc, s0, v2
	v_addc_co_u32_e32 v3, vcc, v4, v3, vcc
	v_add_f32_e32 v0, v0, v1
	global_store_dword v[2:3], v0, off
.LBB41_7:
	s_endpgm
	.section	.rodata,"a",@progbits
	.p2align	6, 0x0
	.amdhsa_kernel _ZL28rocblas_dot_batched_4_kernelIiLi32ELi4ELb0EffPKfEviT5_lT_lS2_lS3_liPT4_
		.amdhsa_group_segment_fixed_size 0
		.amdhsa_private_segment_fixed_size 0
		.amdhsa_kernarg_size 88
		.amdhsa_user_sgpr_count 6
		.amdhsa_user_sgpr_private_segment_buffer 1
		.amdhsa_user_sgpr_dispatch_ptr 0
		.amdhsa_user_sgpr_queue_ptr 0
		.amdhsa_user_sgpr_kernarg_segment_ptr 1
		.amdhsa_user_sgpr_dispatch_id 0
		.amdhsa_user_sgpr_flat_scratch_init 0
		.amdhsa_user_sgpr_kernarg_preload_length 0
		.amdhsa_user_sgpr_kernarg_preload_offset 0
		.amdhsa_user_sgpr_private_segment_size 0
		.amdhsa_uses_dynamic_stack 0
		.amdhsa_system_sgpr_private_segment_wavefront_offset 0
		.amdhsa_system_sgpr_workgroup_id_x 1
		.amdhsa_system_sgpr_workgroup_id_y 0
		.amdhsa_system_sgpr_workgroup_id_z 0
		.amdhsa_system_sgpr_workgroup_info 0
		.amdhsa_system_vgpr_workitem_id 1
		.amdhsa_next_free_vgpr 13
		.amdhsa_next_free_sgpr 24
		.amdhsa_accum_offset 16
		.amdhsa_reserve_vcc 1
		.amdhsa_reserve_flat_scratch 0
		.amdhsa_float_round_mode_32 0
		.amdhsa_float_round_mode_16_64 0
		.amdhsa_float_denorm_mode_32 3
		.amdhsa_float_denorm_mode_16_64 3
		.amdhsa_dx10_clamp 1
		.amdhsa_ieee_mode 1
		.amdhsa_fp16_overflow 0
		.amdhsa_tg_split 0
		.amdhsa_exception_fp_ieee_invalid_op 0
		.amdhsa_exception_fp_denorm_src 0
		.amdhsa_exception_fp_ieee_div_zero 0
		.amdhsa_exception_fp_ieee_overflow 0
		.amdhsa_exception_fp_ieee_underflow 0
		.amdhsa_exception_fp_ieee_inexact 0
		.amdhsa_exception_int_div_zero 0
	.end_amdhsa_kernel
	.section	.text._ZL28rocblas_dot_batched_4_kernelIiLi32ELi4ELb0EffPKfEviT5_lT_lS2_lS3_liPT4_,"axG",@progbits,_ZL28rocblas_dot_batched_4_kernelIiLi32ELi4ELb0EffPKfEviT5_lT_lS2_lS3_liPT4_,comdat
.Lfunc_end41:
	.size	_ZL28rocblas_dot_batched_4_kernelIiLi32ELi4ELb0EffPKfEviT5_lT_lS2_lS3_liPT4_, .Lfunc_end41-_ZL28rocblas_dot_batched_4_kernelIiLi32ELi4ELb0EffPKfEviT5_lT_lS2_lS3_liPT4_
                                        ; -- End function
	.section	.AMDGPU.csdata,"",@progbits
; Kernel info:
; codeLenInByte = 660
; NumSgprs: 28
; NumVgprs: 13
; NumAgprs: 0
; TotalNumVgprs: 13
; ScratchSize: 0
; MemoryBound: 0
; FloatMode: 240
; IeeeMode: 1
; LDSByteSize: 0 bytes/workgroup (compile time only)
; SGPRBlocks: 3
; VGPRBlocks: 1
; NumSGPRsForWavesPerEU: 28
; NumVGPRsForWavesPerEU: 13
; AccumOffset: 16
; Occupancy: 8
; WaveLimiterHint : 0
; COMPUTE_PGM_RSRC2:SCRATCH_EN: 0
; COMPUTE_PGM_RSRC2:USER_SGPR: 6
; COMPUTE_PGM_RSRC2:TRAP_HANDLER: 0
; COMPUTE_PGM_RSRC2:TGID_X_EN: 1
; COMPUTE_PGM_RSRC2:TGID_Y_EN: 0
; COMPUTE_PGM_RSRC2:TGID_Z_EN: 0
; COMPUTE_PGM_RSRC2:TIDIG_COMP_CNT: 1
; COMPUTE_PGM_RSRC3_GFX90A:ACCUM_OFFSET: 3
; COMPUTE_PGM_RSRC3_GFX90A:TG_SPLIT: 0
	.section	.text._ZL28rocblas_dot_batched_4_kernelIiLi64ELi4ELb0EffPKfEviT5_lT_lS2_lS3_liPT4_,"axG",@progbits,_ZL28rocblas_dot_batched_4_kernelIiLi64ELi4ELb0EffPKfEviT5_lT_lS2_lS3_liPT4_,comdat
	.globl	_ZL28rocblas_dot_batched_4_kernelIiLi64ELi4ELb0EffPKfEviT5_lT_lS2_lS3_liPT4_ ; -- Begin function _ZL28rocblas_dot_batched_4_kernelIiLi64ELi4ELb0EffPKfEviT5_lT_lS2_lS3_liPT4_
	.p2align	8
	.type	_ZL28rocblas_dot_batched_4_kernelIiLi64ELi4ELb0EffPKfEviT5_lT_lS2_lS3_liPT4_,@function
_ZL28rocblas_dot_batched_4_kernelIiLi64ELi4ELb0EffPKfEviT5_lT_lS2_lS3_liPT4_: ; @_ZL28rocblas_dot_batched_4_kernelIiLi64ELi4ELb0EffPKfEviT5_lT_lS2_lS3_liPT4_
; %bb.0:
	s_load_dword s0, s[4:5], 0x48
	v_bfe_u32 v1, v0, 10, 10
	v_lshl_add_u32 v2, s6, 2, v1
	s_waitcnt lgkmcnt(0)
	v_cmp_gt_u32_e32 vcc, s0, v2
	s_and_saveexec_b64 s[0:1], vcc
	s_cbranch_execz .LBB42_7
; %bb.1:
	s_load_dword s10, s[4:5], 0x0
	s_load_dwordx2 s[0:1], s[4:5], 0x50
	v_mov_b32_e32 v3, 0
	v_and_b32_e32 v6, 0x3ff, v0
	v_mov_b32_e32 v7, v3
	s_waitcnt lgkmcnt(0)
	v_cmp_gt_i32_e32 vcc, s10, v6
	s_and_saveexec_b64 s[2:3], vcc
	s_cbranch_execz .LBB42_5
; %bb.2:
	s_load_dwordx4 s[12:15], s[4:5], 0x8
	s_load_dword s6, s[4:5], 0x18
	s_load_dword s8, s[4:5], 0x38
	s_load_dwordx4 s[16:19], s[4:5], 0x20
	s_load_dwordx2 s[20:21], s[4:5], 0x30
	s_load_dwordx2 s[22:23], s[4:5], 0x40
	s_waitcnt lgkmcnt(0)
	v_mad_i64_i32 v[0:1], s[4:5], s6, v6, 0
	v_mad_u64_u32 v[4:5], s[4:5], s16, v2, 0
	v_mov_b32_e32 v8, v5
	v_mad_u64_u32 v[8:9], s[4:5], s17, v2, v[8:9]
	v_mov_b32_e32 v5, v8
	s_ashr_i32 s7, s6, 31
	s_ashr_i32 s9, s8, 31
	v_lshlrev_b64 v[0:1], 2, v[0:1]
	v_lshlrev_b64 v[4:5], 2, v[4:5]
	s_lshl_b64 s[4:5], s[14:15], 2
	v_add_co_u32_e32 v0, vcc, v0, v4
	s_add_u32 s4, s12, s4
	v_addc_co_u32_e32 v1, vcc, v1, v5, vcc
	s_addc_u32 s5, s13, s5
	v_mov_b32_e32 v4, s5
	v_add_co_u32_e32 v0, vcc, s4, v0
	s_lshl_b64 s[4:5], s[6:7], 8
	v_mad_u64_u32 v[8:9], s[6:7], s22, v2, 0
	v_mov_b32_e32 v10, v9
	v_mad_u64_u32 v[10:11], s[6:7], s23, v2, v[10:11]
	v_addc_co_u32_e32 v1, vcc, v4, v1, vcc
	v_mad_i64_i32 v[4:5], s[6:7], s8, v6, 0
	v_mov_b32_e32 v9, v10
	v_lshlrev_b64 v[4:5], 2, v[4:5]
	v_lshlrev_b64 v[8:9], 2, v[8:9]
	s_lshl_b64 s[6:7], s[20:21], 2
	v_add_co_u32_e32 v4, vcc, v4, v8
	s_add_u32 s6, s18, s6
	v_addc_co_u32_e32 v5, vcc, v5, v9, vcc
	s_addc_u32 s7, s19, s7
	v_mov_b32_e32 v7, s7
	v_add_co_u32_e32 v4, vcc, s6, v4
	s_lshl_b64 s[8:9], s[8:9], 8
	v_addc_co_u32_e32 v5, vcc, v7, v5, vcc
	s_mov_b64 s[6:7], 0
	v_mov_b32_e32 v7, 0
	v_mov_b32_e32 v8, s5
	;; [unrolled: 1-line block ×4, first 2 shown]
.LBB42_3:                               ; =>This Inner Loop Header: Depth=1
	global_load_dword v11, v[0:1], off
	global_load_dword v12, v[4:5], off
	v_add_co_u32_e32 v0, vcc, s4, v0
	v_addc_co_u32_e32 v1, vcc, v1, v8, vcc
	v_add_co_u32_e32 v4, vcc, s8, v4
	v_add_u32_e32 v10, 64, v10
	v_addc_co_u32_e32 v5, vcc, v5, v9, vcc
	v_cmp_le_i32_e32 vcc, s10, v10
	s_or_b64 s[6:7], vcc, s[6:7]
	s_waitcnt vmcnt(0)
	v_fmac_f32_e32 v7, v11, v12
	s_andn2_b64 exec, exec, s[6:7]
	s_cbranch_execnz .LBB42_3
; %bb.4:
	s_or_b64 exec, exec, s[6:7]
.LBB42_5:
	s_or_b64 exec, exec, s[2:3]
	v_mbcnt_lo_u32_b32 v0, -1, 0
	v_mbcnt_hi_u32_b32 v0, -1, v0
	v_and_b32_e32 v1, 63, v0
	v_cmp_gt_u32_e32 vcc, 32, v1
	v_cndmask_b32_e64 v4, 0, 1, vcc
	v_lshlrev_b32_e32 v4, 5, v4
	v_add_lshl_u32 v4, v4, v0, 2
	ds_bpermute_b32 v4, v4, v7
	v_cmp_gt_u32_e32 vcc, 48, v1
	v_cndmask_b32_e64 v5, 0, 1, vcc
	v_lshlrev_b32_e32 v5, 4, v5
	v_add_lshl_u32 v5, v5, v0, 2
	s_waitcnt lgkmcnt(0)
	v_add_f32_e32 v4, v7, v4
	ds_bpermute_b32 v5, v5, v4
	v_cmp_gt_u32_e32 vcc, 56, v1
	v_cndmask_b32_e64 v7, 0, 1, vcc
	v_lshlrev_b32_e32 v7, 3, v7
	v_cmp_gt_u32_e32 vcc, 60, v1
	s_waitcnt lgkmcnt(0)
	v_add_f32_e32 v4, v4, v5
	v_add_lshl_u32 v5, v7, v0, 2
	ds_bpermute_b32 v5, v5, v4
	v_cndmask_b32_e64 v7, 0, 1, vcc
	v_lshlrev_b32_e32 v7, 2, v7
	v_cmp_gt_u32_e32 vcc, 62, v1
	s_waitcnt lgkmcnt(0)
	v_add_f32_e32 v4, v4, v5
	v_add_lshl_u32 v5, v7, v0, 2
	ds_bpermute_b32 v5, v5, v4
	v_cndmask_b32_e64 v7, 0, 1, vcc
	v_lshlrev_b32_e32 v7, 1, v7
	v_cmp_ne_u32_e32 vcc, 63, v1
	v_addc_co_u32_e32 v1, vcc, 0, v0, vcc
	s_waitcnt lgkmcnt(0)
	v_add_f32_e32 v4, v4, v5
	v_add_lshl_u32 v5, v7, v0, 2
	ds_bpermute_b32 v5, v5, v4
	v_lshlrev_b32_e32 v1, 2, v1
	v_cmp_eq_u32_e32 vcc, 0, v6
	s_barrier
	s_waitcnt lgkmcnt(0)
	v_add_f32_e32 v0, v4, v5
	ds_bpermute_b32 v1, v1, v0
	s_and_b64 exec, exec, vcc
	s_cbranch_execz .LBB42_7
; %bb.6:
	v_lshlrev_b64 v[2:3], 2, v[2:3]
	v_mov_b32_e32 v4, s1
	v_add_co_u32_e32 v2, vcc, s0, v2
	v_addc_co_u32_e32 v3, vcc, v4, v3, vcc
	s_waitcnt lgkmcnt(0)
	v_add_f32_e32 v0, v0, v1
	global_store_dword v[2:3], v0, off
.LBB42_7:
	s_endpgm
	.section	.rodata,"a",@progbits
	.p2align	6, 0x0
	.amdhsa_kernel _ZL28rocblas_dot_batched_4_kernelIiLi64ELi4ELb0EffPKfEviT5_lT_lS2_lS3_liPT4_
		.amdhsa_group_segment_fixed_size 0
		.amdhsa_private_segment_fixed_size 0
		.amdhsa_kernarg_size 88
		.amdhsa_user_sgpr_count 6
		.amdhsa_user_sgpr_private_segment_buffer 1
		.amdhsa_user_sgpr_dispatch_ptr 0
		.amdhsa_user_sgpr_queue_ptr 0
		.amdhsa_user_sgpr_kernarg_segment_ptr 1
		.amdhsa_user_sgpr_dispatch_id 0
		.amdhsa_user_sgpr_flat_scratch_init 0
		.amdhsa_user_sgpr_kernarg_preload_length 0
		.amdhsa_user_sgpr_kernarg_preload_offset 0
		.amdhsa_user_sgpr_private_segment_size 0
		.amdhsa_uses_dynamic_stack 0
		.amdhsa_system_sgpr_private_segment_wavefront_offset 0
		.amdhsa_system_sgpr_workgroup_id_x 1
		.amdhsa_system_sgpr_workgroup_id_y 0
		.amdhsa_system_sgpr_workgroup_id_z 0
		.amdhsa_system_sgpr_workgroup_info 0
		.amdhsa_system_vgpr_workitem_id 1
		.amdhsa_next_free_vgpr 13
		.amdhsa_next_free_sgpr 24
		.amdhsa_accum_offset 16
		.amdhsa_reserve_vcc 1
		.amdhsa_reserve_flat_scratch 0
		.amdhsa_float_round_mode_32 0
		.amdhsa_float_round_mode_16_64 0
		.amdhsa_float_denorm_mode_32 3
		.amdhsa_float_denorm_mode_16_64 3
		.amdhsa_dx10_clamp 1
		.amdhsa_ieee_mode 1
		.amdhsa_fp16_overflow 0
		.amdhsa_tg_split 0
		.amdhsa_exception_fp_ieee_invalid_op 0
		.amdhsa_exception_fp_denorm_src 0
		.amdhsa_exception_fp_ieee_div_zero 0
		.amdhsa_exception_fp_ieee_overflow 0
		.amdhsa_exception_fp_ieee_underflow 0
		.amdhsa_exception_fp_ieee_inexact 0
		.amdhsa_exception_int_div_zero 0
	.end_amdhsa_kernel
	.section	.text._ZL28rocblas_dot_batched_4_kernelIiLi64ELi4ELb0EffPKfEviT5_lT_lS2_lS3_liPT4_,"axG",@progbits,_ZL28rocblas_dot_batched_4_kernelIiLi64ELi4ELb0EffPKfEviT5_lT_lS2_lS3_liPT4_,comdat
.Lfunc_end42:
	.size	_ZL28rocblas_dot_batched_4_kernelIiLi64ELi4ELb0EffPKfEviT5_lT_lS2_lS3_liPT4_, .Lfunc_end42-_ZL28rocblas_dot_batched_4_kernelIiLi64ELi4ELb0EffPKfEviT5_lT_lS2_lS3_liPT4_
                                        ; -- End function
	.section	.AMDGPU.csdata,"",@progbits
; Kernel info:
; codeLenInByte = 700
; NumSgprs: 28
; NumVgprs: 13
; NumAgprs: 0
; TotalNumVgprs: 13
; ScratchSize: 0
; MemoryBound: 0
; FloatMode: 240
; IeeeMode: 1
; LDSByteSize: 0 bytes/workgroup (compile time only)
; SGPRBlocks: 3
; VGPRBlocks: 1
; NumSGPRsForWavesPerEU: 28
; NumVGPRsForWavesPerEU: 13
; AccumOffset: 16
; Occupancy: 8
; WaveLimiterHint : 0
; COMPUTE_PGM_RSRC2:SCRATCH_EN: 0
; COMPUTE_PGM_RSRC2:USER_SGPR: 6
; COMPUTE_PGM_RSRC2:TRAP_HANDLER: 0
; COMPUTE_PGM_RSRC2:TGID_X_EN: 1
; COMPUTE_PGM_RSRC2:TGID_Y_EN: 0
; COMPUTE_PGM_RSRC2:TGID_Z_EN: 0
; COMPUTE_PGM_RSRC2:TIDIG_COMP_CNT: 1
; COMPUTE_PGM_RSRC3_GFX90A:ACCUM_OFFSET: 3
; COMPUTE_PGM_RSRC3_GFX90A:TG_SPLIT: 0
	.section	.text._ZL26rocblas_dot_kernel_inc1by2ILb1ELi1024ELi32ELb0EfPKffEviT4_llS2_lliPT5_PT3_,"axG",@progbits,_ZL26rocblas_dot_kernel_inc1by2ILb1ELi1024ELi32ELb0EfPKffEviT4_llS2_lliPT5_PT3_,comdat
	.globl	_ZL26rocblas_dot_kernel_inc1by2ILb1ELi1024ELi32ELb0EfPKffEviT4_llS2_lliPT5_PT3_ ; -- Begin function _ZL26rocblas_dot_kernel_inc1by2ILb1ELi1024ELi32ELb0EfPKffEviT4_llS2_lliPT5_PT3_
	.p2align	8
	.type	_ZL26rocblas_dot_kernel_inc1by2ILb1ELi1024ELi32ELb0EfPKffEviT4_llS2_lliPT5_PT3_,@function
_ZL26rocblas_dot_kernel_inc1by2ILb1ELi1024ELi32ELb0EfPKffEviT4_llS2_lliPT5_PT3_: ; @_ZL26rocblas_dot_kernel_inc1by2ILb1ELi1024ELi32ELb0EfPKffEviT4_llS2_lliPT5_PT3_
; %bb.0:
	s_mov_b32 s2, s7
	s_load_dword s24, s[4:5], 0x0
	s_load_dwordx2 s[18:19], s[4:5], 0x8
	s_load_dwordx4 s[12:15], s[4:5], 0x10
	s_load_dwordx2 s[16:17], s[4:5], 0x20
	s_load_dwordx2 s[6:7], s[4:5], 0x48
	s_load_dwordx4 s[8:11], s[4:5], 0x28
	v_lshlrev_b32_e32 v6, 1, v0
	s_waitcnt lgkmcnt(0)
	s_mul_i32 s0, s2, s15
	s_mul_hi_u32 s1, s2, s14
	s_add_i32 s15, s1, s0
	s_mul_i32 s0, s2, s11
	s_mul_hi_u32 s1, s2, s10
	s_add_i32 s4, s24, -1
	s_mov_b32 s3, 0
	s_mul_i32 s14, s2, s14
	s_add_i32 s11, s1, s0
	s_mul_i32 s10, s2, s10
	v_cmp_gt_i32_e32 vcc, s4, v6
	v_mov_b32_e32 v1, 0
	s_and_saveexec_b64 s[20:21], vcc
	s_cbranch_execz .LBB43_4
; %bb.1:
	s_lshl_b64 s[0:1], s[10:11], 2
	s_lshl_b64 s[22:23], s[8:9], 2
	s_add_u32 s5, s16, s22
	s_addc_u32 s22, s17, s23
	s_add_u32 s0, s5, s0
	v_lshlrev_b32_e32 v4, 3, v0
	s_addc_u32 s1, s22, s1
	v_mov_b32_e32 v3, s1
	v_add_co_u32_e32 v2, vcc, s0, v4
	s_lshl_b64 s[0:1], s[14:15], 2
	s_lshl_b64 s[22:23], s[12:13], 2
	s_add_u32 s5, s18, s22
	s_addc_u32 s22, s19, s23
	s_add_u32 s0, s5, s0
	v_addc_co_u32_e32 v3, vcc, 0, v3, vcc
	s_addc_u32 s1, s22, s1
	v_mov_b32_e32 v5, s1
	v_add_co_u32_e32 v4, vcc, s0, v4
	v_mov_b32_e32 v1, 0
	v_addc_co_u32_e32 v5, vcc, 0, v5, vcc
	s_mov_b64 s[22:23], 0
	s_mov_b32 s5, s3
.LBB43_2:                               ; =>This Inner Loop Header: Depth=1
	global_load_dwordx2 v[8:9], v[2:3], off
	global_load_dwordx2 v[10:11], v[4:5], off
	s_add_i32 s25, s5, 1
	v_add_u32_e32 v6, 0x800, v6
	s_cmp_gt_u32 s5, 30
	v_add_co_u32_e32 v2, vcc, 0x2000, v2
	v_cmp_le_i32_e64 s[0:1], s4, v6
	s_cselect_b64 s[26:27], -1, 0
	v_addc_co_u32_e32 v3, vcc, 0, v3, vcc
	s_or_b64 s[0:1], s[26:27], s[0:1]
	v_add_co_u32_e32 v4, vcc, 0x2000, v4
	s_and_b64 s[0:1], exec, s[0:1]
	s_mov_b32 s5, s25
	v_addc_co_u32_e32 v5, vcc, 0, v5, vcc
	s_or_b64 s[22:23], s[0:1], s[22:23]
	s_waitcnt vmcnt(0)
	v_pk_mul_f32 v[8:9], v[8:9], v[10:11]
	v_add_f32_e32 v1, v1, v8
	v_add_f32_e32 v1, v1, v9
	s_andn2_b64 exec, exec, s[22:23]
	s_cbranch_execnz .LBB43_2
; %bb.3:
	s_or_b64 exec, exec, s[22:23]
.LBB43_4:
	s_or_b64 exec, exec, s[20:21]
	s_bitcmp1_b32 s24, 0
	s_cselect_b64 s[0:1], -1, 0
	v_cmp_eq_u32_e32 vcc, s4, v6
	s_and_b64 s[20:21], s[0:1], vcc
	s_and_saveexec_b64 s[0:1], s[20:21]
	s_cbranch_execz .LBB43_6
; %bb.5:
	s_lshl_b64 s[14:15], s[14:15], 2
	s_add_u32 s5, s18, s14
	s_addc_u32 s14, s19, s15
	s_lshl_b64 s[12:13], s[12:13], 2
	s_add_u32 s12, s5, s12
	s_addc_u32 s13, s14, s13
	;; [unrolled: 3-line block ×3, first 2 shown]
	s_lshl_b64 s[8:9], s[8:9], 2
	s_add_u32 s11, s5, s8
	s_mov_b32 s5, 0
	s_addc_u32 s10, s10, s9
	s_lshl_b64 s[4:5], s[4:5], 2
	s_add_u32 s8, s12, s4
	s_addc_u32 s9, s13, s5
	s_add_u32 s4, s11, s4
	s_addc_u32 s5, s10, s5
	s_load_dword s10, s[8:9], 0x0
	s_load_dword s11, s[4:5], 0x0
	s_waitcnt lgkmcnt(0)
	v_mov_b32_e32 v2, s10
	v_fmac_f32_e32 v1, s11, v2
.LBB43_6:
	s_or_b64 exec, exec, s[0:1]
	v_and_b32_e32 v3, 63, v0
	v_cmp_gt_u32_e32 vcc, 64, v0
	v_lshlrev_b32_e32 v2, 2, v3
	s_and_saveexec_b64 s[0:1], vcc
	s_cbranch_execz .LBB43_8
; %bb.7:
	v_mov_b32_e32 v4, 0
	ds_write_b32 v2, v4
.LBB43_8:
	s_or_b64 exec, exec, s[0:1]
	v_mbcnt_lo_u32_b32 v4, -1, 0
	v_mbcnt_hi_u32_b32 v6, -1, v4
	v_and_b32_e32 v7, 63, v6
	v_cmp_gt_u32_e64 s[0:1], 32, v7
	v_cndmask_b32_e64 v4, 0, 1, s[0:1]
	v_lshlrev_b32_e32 v4, 5, v4
	v_add_lshl_u32 v4, v4, v6, 2
	ds_bpermute_b32 v4, v4, v1
	v_cmp_gt_u32_e64 s[0:1], 48, v7
	v_cndmask_b32_e64 v5, 0, 1, s[0:1]
	v_lshlrev_b32_e32 v5, 4, v5
	v_cmp_gt_u32_e64 s[0:1], 56, v7
	s_waitcnt lgkmcnt(0)
	v_add_f32_e32 v1, v1, v4
	v_add_lshl_u32 v4, v5, v6, 2
	ds_bpermute_b32 v4, v4, v1
	v_cndmask_b32_e64 v5, 0, 1, s[0:1]
	v_lshlrev_b32_e32 v5, 3, v5
	v_cmp_gt_u32_e64 s[0:1], 60, v7
	v_cndmask_b32_e64 v8, 0, 1, s[0:1]
	s_waitcnt lgkmcnt(0)
	v_add_f32_e32 v4, v1, v4
	v_add_lshl_u32 v1, v5, v6, 2
	ds_bpermute_b32 v5, v1, v4
	v_lshlrev_b32_e32 v8, 2, v8
	v_cmp_gt_u32_e64 s[0:1], 62, v7
	v_cndmask_b32_e64 v9, 0, 1, s[0:1]
	v_lshlrev_b32_e32 v9, 1, v9
	s_waitcnt lgkmcnt(0)
	v_add_f32_e32 v5, v4, v5
	v_add_lshl_u32 v4, v8, v6, 2
	ds_bpermute_b32 v8, v4, v5
	v_cmp_ne_u32_e64 s[0:1], 63, v7
	s_waitcnt lgkmcnt(0)
	s_barrier
	v_add_f32_e32 v8, v5, v8
	v_add_lshl_u32 v5, v9, v6, 2
	ds_bpermute_b32 v9, v5, v8
	v_addc_co_u32_e64 v6, s[0:1], 0, v6, s[0:1]
	v_lshlrev_b32_e32 v6, 2, v6
	v_cmp_eq_u32_e64 s[0:1], 0, v3
	s_waitcnt lgkmcnt(0)
	v_add_f32_e32 v7, v8, v9
	ds_bpermute_b32 v8, v6, v7
	s_and_saveexec_b64 s[4:5], s[0:1]
	s_cbranch_execz .LBB43_10
; %bb.9:
	s_waitcnt lgkmcnt(0)
	v_add_f32_e32 v3, v7, v8
	v_lshrrev_b32_e32 v7, 4, v0
	v_and_b32_e32 v7, 60, v7
	ds_write_b32 v7, v3
.LBB43_10:
	s_or_b64 exec, exec, s[4:5]
	v_cmp_gt_u32_e64 s[0:1], 16, v0
	v_mov_b32_e32 v3, 0
	s_waitcnt lgkmcnt(0)
	s_barrier
	s_and_saveexec_b64 s[4:5], s[0:1]
	s_cbranch_execnz .LBB43_14
; %bb.11:
	s_or_b64 exec, exec, s[4:5]
	s_and_saveexec_b64 s[0:1], vcc
	s_cbranch_execnz .LBB43_15
.LBB43_12:
	s_or_b64 exec, exec, s[0:1]
	v_cmp_eq_u32_e32 vcc, 0, v0
	s_and_saveexec_b64 s[0:1], vcc
	s_cbranch_execnz .LBB43_16
.LBB43_13:
	s_endpgm
.LBB43_14:
	ds_read_b32 v3, v2
	s_or_b64 exec, exec, s[4:5]
	s_and_saveexec_b64 s[0:1], vcc
	s_cbranch_execz .LBB43_12
.LBB43_15:
	s_waitcnt lgkmcnt(0)
	ds_bpermute_b32 v1, v1, v3
	s_waitcnt lgkmcnt(0)
	v_add_f32_e32 v1, v3, v1
	ds_bpermute_b32 v2, v4, v1
	s_waitcnt lgkmcnt(0)
	v_add_f32_e32 v1, v1, v2
	;; [unrolled: 3-line block ×4, first 2 shown]
	s_or_b64 exec, exec, s[0:1]
	v_cmp_eq_u32_e32 vcc, 0, v0
	s_and_saveexec_b64 s[0:1], vcc
	s_cbranch_execz .LBB43_13
.LBB43_16:
	s_lshl_b64 s[0:1], s[2:3], 2
	s_add_u32 s0, s6, s0
	s_addc_u32 s1, s7, s1
	v_mov_b32_e32 v0, 0
	s_waitcnt lgkmcnt(0)
	global_store_dword v0, v3, s[0:1]
	s_endpgm
	.section	.rodata,"a",@progbits
	.p2align	6, 0x0
	.amdhsa_kernel _ZL26rocblas_dot_kernel_inc1by2ILb1ELi1024ELi32ELb0EfPKffEviT4_llS2_lliPT5_PT3_
		.amdhsa_group_segment_fixed_size 256
		.amdhsa_private_segment_fixed_size 0
		.amdhsa_kernarg_size 80
		.amdhsa_user_sgpr_count 6
		.amdhsa_user_sgpr_private_segment_buffer 1
		.amdhsa_user_sgpr_dispatch_ptr 0
		.amdhsa_user_sgpr_queue_ptr 0
		.amdhsa_user_sgpr_kernarg_segment_ptr 1
		.amdhsa_user_sgpr_dispatch_id 0
		.amdhsa_user_sgpr_flat_scratch_init 0
		.amdhsa_user_sgpr_kernarg_preload_length 0
		.amdhsa_user_sgpr_kernarg_preload_offset 0
		.amdhsa_user_sgpr_private_segment_size 0
		.amdhsa_uses_dynamic_stack 0
		.amdhsa_system_sgpr_private_segment_wavefront_offset 0
		.amdhsa_system_sgpr_workgroup_id_x 1
		.amdhsa_system_sgpr_workgroup_id_y 0
		.amdhsa_system_sgpr_workgroup_id_z 1
		.amdhsa_system_sgpr_workgroup_info 0
		.amdhsa_system_vgpr_workitem_id 0
		.amdhsa_next_free_vgpr 12
		.amdhsa_next_free_sgpr 28
		.amdhsa_accum_offset 12
		.amdhsa_reserve_vcc 1
		.amdhsa_reserve_flat_scratch 0
		.amdhsa_float_round_mode_32 0
		.amdhsa_float_round_mode_16_64 0
		.amdhsa_float_denorm_mode_32 3
		.amdhsa_float_denorm_mode_16_64 3
		.amdhsa_dx10_clamp 1
		.amdhsa_ieee_mode 1
		.amdhsa_fp16_overflow 0
		.amdhsa_tg_split 0
		.amdhsa_exception_fp_ieee_invalid_op 0
		.amdhsa_exception_fp_denorm_src 0
		.amdhsa_exception_fp_ieee_div_zero 0
		.amdhsa_exception_fp_ieee_overflow 0
		.amdhsa_exception_fp_ieee_underflow 0
		.amdhsa_exception_fp_ieee_inexact 0
		.amdhsa_exception_int_div_zero 0
	.end_amdhsa_kernel
	.section	.text._ZL26rocblas_dot_kernel_inc1by2ILb1ELi1024ELi32ELb0EfPKffEviT4_llS2_lliPT5_PT3_,"axG",@progbits,_ZL26rocblas_dot_kernel_inc1by2ILb1ELi1024ELi32ELb0EfPKffEviT4_llS2_lliPT5_PT3_,comdat
.Lfunc_end43:
	.size	_ZL26rocblas_dot_kernel_inc1by2ILb1ELi1024ELi32ELb0EfPKffEviT4_llS2_lliPT5_PT3_, .Lfunc_end43-_ZL26rocblas_dot_kernel_inc1by2ILb1ELi1024ELi32ELb0EfPKffEviT4_llS2_lliPT5_PT3_
                                        ; -- End function
	.section	.AMDGPU.csdata,"",@progbits
; Kernel info:
; codeLenInByte = 1000
; NumSgprs: 32
; NumVgprs: 12
; NumAgprs: 0
; TotalNumVgprs: 12
; ScratchSize: 0
; MemoryBound: 0
; FloatMode: 240
; IeeeMode: 1
; LDSByteSize: 256 bytes/workgroup (compile time only)
; SGPRBlocks: 3
; VGPRBlocks: 1
; NumSGPRsForWavesPerEU: 32
; NumVGPRsForWavesPerEU: 12
; AccumOffset: 12
; Occupancy: 8
; WaveLimiterHint : 0
; COMPUTE_PGM_RSRC2:SCRATCH_EN: 0
; COMPUTE_PGM_RSRC2:USER_SGPR: 6
; COMPUTE_PGM_RSRC2:TRAP_HANDLER: 0
; COMPUTE_PGM_RSRC2:TGID_X_EN: 1
; COMPUTE_PGM_RSRC2:TGID_Y_EN: 0
; COMPUTE_PGM_RSRC2:TGID_Z_EN: 1
; COMPUTE_PGM_RSRC2:TIDIG_COMP_CNT: 0
; COMPUTE_PGM_RSRC3_GFX90A:ACCUM_OFFSET: 2
; COMPUTE_PGM_RSRC3_GFX90A:TG_SPLIT: 0
	.section	.text._ZL18rocblas_dot_kernelIiLb1ELi1024ELi32ELb0EfPKffEviT5_lT_lS2_lS3_liPT6_PT4_,"axG",@progbits,_ZL18rocblas_dot_kernelIiLb1ELi1024ELi32ELb0EfPKffEviT5_lT_lS2_lS3_liPT6_PT4_,comdat
	.globl	_ZL18rocblas_dot_kernelIiLb1ELi1024ELi32ELb0EfPKffEviT5_lT_lS2_lS3_liPT6_PT4_ ; -- Begin function _ZL18rocblas_dot_kernelIiLb1ELi1024ELi32ELb0EfPKffEviT5_lT_lS2_lS3_liPT6_PT4_
	.p2align	8
	.type	_ZL18rocblas_dot_kernelIiLb1ELi1024ELi32ELb0EfPKffEviT5_lT_lS2_lS3_liPT6_PT4_,@function
_ZL18rocblas_dot_kernelIiLb1ELi1024ELi32ELb0EfPKffEviT5_lT_lS2_lS3_liPT6_PT4_: ; @_ZL18rocblas_dot_kernelIiLb1ELi1024ELi32ELb0EfPKffEviT5_lT_lS2_lS3_liPT6_PT4_
; %bb.0:
	s_load_dword s14, s[4:5], 0x0
	s_load_dwordx2 s[8:9], s[4:5], 0x58
	s_mov_b32 s6, s7
	s_mov_b32 s7, 0
	v_mov_b32_e32 v6, 0
	s_waitcnt lgkmcnt(0)
	v_cmp_gt_i32_e32 vcc, s14, v0
	s_and_saveexec_b64 s[10:11], vcc
	s_cbranch_execz .LBB44_4
; %bb.1:
	s_load_dword s22, s[4:5], 0x38
	s_load_dwordx2 s[12:13], s[4:5], 0x40
	s_load_dword s15, s[4:5], 0x60
	s_load_dwordx4 s[0:3], s[4:5], 0x20
	s_load_dwordx4 s[16:19], s[4:5], 0x8
	s_load_dword s23, s[4:5], 0x18
	s_load_dwordx2 s[20:21], s[4:5], 0x30
	s_waitcnt lgkmcnt(0)
	s_lshl_b32 s15, s15, 10
	s_mul_i32 s1, s1, s6
	s_mul_hi_u32 s4, s0, s6
	s_add_i32 s1, s4, s1
	s_mul_i32 s0, s0, s6
	v_mad_i64_i32 v[2:3], s[4:5], s23, v0, 0
	s_lshl_b64 s[0:1], s[0:1], 2
	s_lshl_b64 s[4:5], s[18:19], 2
	s_add_u32 s4, s16, s4
	s_addc_u32 s5, s17, s5
	s_add_u32 s0, s4, s0
	v_lshlrev_b64 v[2:3], 2, v[2:3]
	s_addc_u32 s1, s5, s1
	v_mov_b32_e32 v4, s1
	v_add_co_u32_e32 v2, vcc, s0, v2
	s_mul_hi_i32 s1, s23, s15
	s_mul_i32 s0, s23, s15
	s_lshl_b64 s[4:5], s[0:1], 2
	s_mul_i32 s0, s13, s6
	s_mul_hi_u32 s1, s12, s6
	v_addc_co_u32_e32 v3, vcc, v4, v3, vcc
	s_add_i32 s1, s1, s0
	s_mul_i32 s0, s12, s6
	v_mad_i64_i32 v[4:5], s[12:13], s22, v0, 0
	s_lshl_b64 s[0:1], s[0:1], 2
	s_lshl_b64 s[12:13], s[20:21], 2
	s_add_u32 s2, s2, s12
	s_addc_u32 s3, s3, s13
	s_add_u32 s0, s2, s0
	v_lshlrev_b64 v[4:5], 2, v[4:5]
	s_addc_u32 s1, s3, s1
	v_mov_b32_e32 v6, s1
	v_add_co_u32_e32 v4, vcc, s0, v4
	s_mul_hi_i32 s1, s22, s15
	s_mul_i32 s0, s22, s15
	s_lshl_b64 s[12:13], s[0:1], 2
	v_or_b32_e32 v1, s15, v0
	v_addc_co_u32_e32 v5, vcc, v6, v5, vcc
	s_mov_b64 s[2:3], 0
	v_mov_b32_e32 v6, 0
	v_mov_b32_e32 v7, s5
	v_mov_b32_e32 v8, s13
	s_mov_b32 s5, s7
.LBB44_2:                               ; =>This Inner Loop Header: Depth=1
	global_load_dword v9, v[4:5], off
	global_load_dword v10, v[2:3], off
	v_add_co_u32_e64 v2, s[0:1], s4, v2
	v_addc_co_u32_e64 v3, s[0:1], v3, v7, s[0:1]
	s_add_i32 s13, s5, 1
	v_add_co_u32_e64 v4, s[0:1], s12, v4
	v_addc_co_u32_e64 v5, s[0:1], v5, v8, s[0:1]
	s_cmp_gt_u32 s5, 30
	v_cmp_le_i32_e32 vcc, s14, v1
	s_cselect_b64 s[0:1], -1, 0
	s_or_b64 s[0:1], s[0:1], vcc
	s_and_b64 s[0:1], exec, s[0:1]
	v_add_u32_e32 v1, s15, v1
	s_mov_b32 s5, s13
	s_or_b64 s[2:3], s[0:1], s[2:3]
	s_waitcnt vmcnt(0)
	v_fmac_f32_e32 v6, v9, v10
	s_andn2_b64 exec, exec, s[2:3]
	s_cbranch_execnz .LBB44_2
; %bb.3:
	s_or_b64 exec, exec, s[2:3]
.LBB44_4:
	s_or_b64 exec, exec, s[10:11]
	v_and_b32_e32 v2, 63, v0
	v_cmp_gt_u32_e32 vcc, 64, v0
	v_lshlrev_b32_e32 v1, 2, v2
	s_and_saveexec_b64 s[0:1], vcc
	s_cbranch_execz .LBB44_6
; %bb.5:
	v_mov_b32_e32 v3, 0
	ds_write_b32 v1, v3
.LBB44_6:
	s_or_b64 exec, exec, s[0:1]
	v_mbcnt_lo_u32_b32 v3, -1, 0
	v_mbcnt_hi_u32_b32 v7, -1, v3
	v_and_b32_e32 v8, 63, v7
	v_cmp_gt_u32_e64 s[0:1], 32, v8
	v_cndmask_b32_e64 v3, 0, 1, s[0:1]
	v_lshlrev_b32_e32 v3, 5, v3
	v_add_lshl_u32 v3, v3, v7, 2
	ds_bpermute_b32 v3, v3, v6
	v_cmp_gt_u32_e64 s[0:1], 48, v8
	v_cndmask_b32_e64 v4, 0, 1, s[0:1]
	v_lshlrev_b32_e32 v4, 4, v4
	v_add_lshl_u32 v4, v4, v7, 2
	s_waitcnt lgkmcnt(0)
	v_add_f32_e32 v3, v6, v3
	ds_bpermute_b32 v4, v4, v3
	v_cmp_gt_u32_e64 s[0:1], 56, v8
	v_cndmask_b32_e64 v5, 0, 1, s[0:1]
	v_lshlrev_b32_e32 v5, 3, v5
	v_cmp_gt_u32_e64 s[0:1], 60, v8
	s_waitcnt lgkmcnt(0)
	v_add_f32_e32 v4, v3, v4
	v_add_lshl_u32 v3, v5, v7, 2
	ds_bpermute_b32 v5, v3, v4
	v_cndmask_b32_e64 v6, 0, 1, s[0:1]
	v_lshlrev_b32_e32 v6, 2, v6
	v_cmp_gt_u32_e64 s[0:1], 62, v8
	v_cndmask_b32_e64 v9, 0, 1, s[0:1]
	s_waitcnt lgkmcnt(0)
	v_add_f32_e32 v5, v4, v5
	v_add_lshl_u32 v4, v6, v7, 2
	ds_bpermute_b32 v6, v4, v5
	v_lshlrev_b32_e32 v9, 1, v9
	v_cmp_ne_u32_e64 s[0:1], 63, v8
	v_addc_co_u32_e64 v8, s[0:1], 0, v7, s[0:1]
	s_waitcnt lgkmcnt(0)
	v_add_f32_e32 v6, v5, v6
	v_add_lshl_u32 v5, v9, v7, 2
	ds_bpermute_b32 v9, v5, v6
	v_cmp_eq_u32_e64 s[0:1], 0, v2
	s_waitcnt lgkmcnt(0)
	s_barrier
	v_add_f32_e32 v7, v6, v9
	v_lshlrev_b32_e32 v6, 2, v8
	ds_bpermute_b32 v8, v6, v7
	s_and_saveexec_b64 s[2:3], s[0:1]
	s_cbranch_execz .LBB44_8
; %bb.7:
	s_waitcnt lgkmcnt(0)
	v_add_f32_e32 v2, v7, v8
	v_lshrrev_b32_e32 v7, 4, v0
	v_and_b32_e32 v7, 60, v7
	ds_write_b32 v7, v2
.LBB44_8:
	s_or_b64 exec, exec, s[2:3]
	v_cmp_gt_u32_e64 s[0:1], 16, v0
	v_mov_b32_e32 v2, 0
	s_waitcnt lgkmcnt(0)
	s_barrier
	s_and_saveexec_b64 s[2:3], s[0:1]
	s_cbranch_execnz .LBB44_12
; %bb.9:
	s_or_b64 exec, exec, s[2:3]
	s_and_saveexec_b64 s[0:1], vcc
	s_cbranch_execnz .LBB44_13
.LBB44_10:
	s_or_b64 exec, exec, s[0:1]
	v_cmp_eq_u32_e32 vcc, 0, v0
	s_and_saveexec_b64 s[0:1], vcc
	s_cbranch_execnz .LBB44_14
.LBB44_11:
	s_endpgm
.LBB44_12:
	ds_read_b32 v2, v1
	s_or_b64 exec, exec, s[2:3]
	s_and_saveexec_b64 s[0:1], vcc
	s_cbranch_execz .LBB44_10
.LBB44_13:
	s_waitcnt lgkmcnt(0)
	ds_bpermute_b32 v1, v3, v2
	s_waitcnt lgkmcnt(0)
	v_add_f32_e32 v1, v2, v1
	ds_bpermute_b32 v2, v4, v1
	s_waitcnt lgkmcnt(0)
	v_add_f32_e32 v1, v1, v2
	;; [unrolled: 3-line block ×4, first 2 shown]
	s_or_b64 exec, exec, s[0:1]
	v_cmp_eq_u32_e32 vcc, 0, v0
	s_and_saveexec_b64 s[0:1], vcc
	s_cbranch_execz .LBB44_11
.LBB44_14:
	s_lshl_b64 s[0:1], s[6:7], 2
	s_add_u32 s0, s8, s0
	s_addc_u32 s1, s9, s1
	v_mov_b32_e32 v0, 0
	s_waitcnt lgkmcnt(0)
	global_store_dword v0, v2, s[0:1]
	s_endpgm
	.section	.rodata,"a",@progbits
	.p2align	6, 0x0
	.amdhsa_kernel _ZL18rocblas_dot_kernelIiLb1ELi1024ELi32ELb0EfPKffEviT5_lT_lS2_lS3_liPT6_PT4_
		.amdhsa_group_segment_fixed_size 256
		.amdhsa_private_segment_fixed_size 0
		.amdhsa_kernarg_size 352
		.amdhsa_user_sgpr_count 6
		.amdhsa_user_sgpr_private_segment_buffer 1
		.amdhsa_user_sgpr_dispatch_ptr 0
		.amdhsa_user_sgpr_queue_ptr 0
		.amdhsa_user_sgpr_kernarg_segment_ptr 1
		.amdhsa_user_sgpr_dispatch_id 0
		.amdhsa_user_sgpr_flat_scratch_init 0
		.amdhsa_user_sgpr_kernarg_preload_length 0
		.amdhsa_user_sgpr_kernarg_preload_offset 0
		.amdhsa_user_sgpr_private_segment_size 0
		.amdhsa_uses_dynamic_stack 0
		.amdhsa_system_sgpr_private_segment_wavefront_offset 0
		.amdhsa_system_sgpr_workgroup_id_x 1
		.amdhsa_system_sgpr_workgroup_id_y 0
		.amdhsa_system_sgpr_workgroup_id_z 1
		.amdhsa_system_sgpr_workgroup_info 0
		.amdhsa_system_vgpr_workitem_id 0
		.amdhsa_next_free_vgpr 11
		.amdhsa_next_free_sgpr 24
		.amdhsa_accum_offset 12
		.amdhsa_reserve_vcc 1
		.amdhsa_reserve_flat_scratch 0
		.amdhsa_float_round_mode_32 0
		.amdhsa_float_round_mode_16_64 0
		.amdhsa_float_denorm_mode_32 3
		.amdhsa_float_denorm_mode_16_64 3
		.amdhsa_dx10_clamp 1
		.amdhsa_ieee_mode 1
		.amdhsa_fp16_overflow 0
		.amdhsa_tg_split 0
		.amdhsa_exception_fp_ieee_invalid_op 0
		.amdhsa_exception_fp_denorm_src 0
		.amdhsa_exception_fp_ieee_div_zero 0
		.amdhsa_exception_fp_ieee_overflow 0
		.amdhsa_exception_fp_ieee_underflow 0
		.amdhsa_exception_fp_ieee_inexact 0
		.amdhsa_exception_int_div_zero 0
	.end_amdhsa_kernel
	.section	.text._ZL18rocblas_dot_kernelIiLb1ELi1024ELi32ELb0EfPKffEviT5_lT_lS2_lS3_liPT6_PT4_,"axG",@progbits,_ZL18rocblas_dot_kernelIiLb1ELi1024ELi32ELb0EfPKffEviT5_lT_lS2_lS3_liPT6_PT4_,comdat
.Lfunc_end44:
	.size	_ZL18rocblas_dot_kernelIiLb1ELi1024ELi32ELb0EfPKffEviT5_lT_lS2_lS3_liPT6_PT4_, .Lfunc_end44-_ZL18rocblas_dot_kernelIiLb1ELi1024ELi32ELb0EfPKffEviT5_lT_lS2_lS3_liPT6_PT4_
                                        ; -- End function
	.section	.AMDGPU.csdata,"",@progbits
; Kernel info:
; codeLenInByte = 948
; NumSgprs: 28
; NumVgprs: 11
; NumAgprs: 0
; TotalNumVgprs: 11
; ScratchSize: 0
; MemoryBound: 0
; FloatMode: 240
; IeeeMode: 1
; LDSByteSize: 256 bytes/workgroup (compile time only)
; SGPRBlocks: 3
; VGPRBlocks: 1
; NumSGPRsForWavesPerEU: 28
; NumVGPRsForWavesPerEU: 11
; AccumOffset: 12
; Occupancy: 8
; WaveLimiterHint : 0
; COMPUTE_PGM_RSRC2:SCRATCH_EN: 0
; COMPUTE_PGM_RSRC2:USER_SGPR: 6
; COMPUTE_PGM_RSRC2:TRAP_HANDLER: 0
; COMPUTE_PGM_RSRC2:TGID_X_EN: 1
; COMPUTE_PGM_RSRC2:TGID_Y_EN: 0
; COMPUTE_PGM_RSRC2:TGID_Z_EN: 1
; COMPUTE_PGM_RSRC2:TIDIG_COMP_CNT: 0
; COMPUTE_PGM_RSRC3_GFX90A:ACCUM_OFFSET: 2
; COMPUTE_PGM_RSRC3_GFX90A:TG_SPLIT: 0
	.section	.text._ZL24rocblas_dot_kernel_magsqIiLb1ELi1024ELi32ELb0EfPKffEviT5_lT_liPT6_PT4_,"axG",@progbits,_ZL24rocblas_dot_kernel_magsqIiLb1ELi1024ELi32ELb0EfPKffEviT5_lT_liPT6_PT4_,comdat
	.globl	_ZL24rocblas_dot_kernel_magsqIiLb1ELi1024ELi32ELb0EfPKffEviT5_lT_liPT6_PT4_ ; -- Begin function _ZL24rocblas_dot_kernel_magsqIiLb1ELi1024ELi32ELb0EfPKffEviT5_lT_liPT6_PT4_
	.p2align	8
	.type	_ZL24rocblas_dot_kernel_magsqIiLb1ELi1024ELi32ELb0EfPKffEviT5_lT_liPT6_PT4_,@function
_ZL24rocblas_dot_kernel_magsqIiLb1ELi1024ELi32ELb0EfPKffEviT5_lT_liPT6_PT4_: ; @_ZL24rocblas_dot_kernel_magsqIiLb1ELi1024ELi32ELb0EfPKffEviT5_lT_liPT6_PT4_
; %bb.0:
	s_mov_b32 s2, s7
	s_load_dword s12, s[4:5], 0x0
	s_load_dwordx2 s[6:7], s[4:5], 0x38
	s_mov_b32 s3, 0
	v_mov_b32_e32 v1, 0
	s_waitcnt lgkmcnt(0)
	v_cmp_gt_i32_e32 vcc, s12, v0
	s_and_saveexec_b64 s[8:9], vcc
	s_cbranch_execz .LBB45_4
; %bb.1:
	s_load_dword s10, s[4:5], 0x40
	s_load_dwordx2 s[0:1], s[4:5], 0x20
	s_load_dwordx4 s[16:19], s[4:5], 0x8
	s_load_dword s11, s[4:5], 0x18
	s_waitcnt lgkmcnt(0)
	s_lshl_b32 s13, s10, 10
	s_mul_i32 s1, s1, s2
	s_mul_hi_u32 s4, s0, s2
	s_add_i32 s1, s4, s1
	s_mul_i32 s0, s0, s2
	v_mad_i64_i32 v[2:3], s[4:5], s11, v0, 0
	s_lshl_b64 s[0:1], s[0:1], 2
	s_lshl_b64 s[4:5], s[18:19], 2
	s_add_u32 s4, s16, s4
	s_addc_u32 s5, s17, s5
	s_add_u32 s0, s4, s0
	v_lshlrev_b64 v[2:3], 2, v[2:3]
	s_addc_u32 s1, s5, s1
	v_mov_b32_e32 v1, s1
	v_add_co_u32_e32 v2, vcc, s0, v2
	s_mul_hi_i32 s1, s11, s13
	s_mul_i32 s0, s11, s13
	s_lshl_b64 s[10:11], s[0:1], 2
	v_or_b32_e32 v4, s13, v0
	v_addc_co_u32_e32 v3, vcc, v1, v3, vcc
	s_mov_b64 s[4:5], 0
	v_mov_b32_e32 v1, 0
	v_mov_b32_e32 v5, s11
	s_mov_b32 s11, s3
.LBB45_2:                               ; =>This Inner Loop Header: Depth=1
	global_load_dword v6, v[2:3], off
	s_add_i32 s14, s11, 1
	v_add_co_u32_e64 v2, s[0:1], s10, v2
	v_addc_co_u32_e64 v3, s[0:1], v3, v5, s[0:1]
	s_cmp_gt_u32 s11, 30
	v_cmp_le_i32_e32 vcc, s12, v4
	s_cselect_b64 s[0:1], -1, 0
	s_or_b64 s[0:1], s[0:1], vcc
	s_and_b64 s[0:1], exec, s[0:1]
	v_add_u32_e32 v4, s13, v4
	s_mov_b32 s11, s14
	s_or_b64 s[4:5], s[0:1], s[4:5]
	s_waitcnt vmcnt(0)
	v_fmac_f32_e32 v1, v6, v6
	s_andn2_b64 exec, exec, s[4:5]
	s_cbranch_execnz .LBB45_2
; %bb.3:
	s_or_b64 exec, exec, s[4:5]
.LBB45_4:
	s_or_b64 exec, exec, s[8:9]
	v_and_b32_e32 v3, 63, v0
	v_cmp_gt_u32_e32 vcc, 64, v0
	v_lshlrev_b32_e32 v2, 2, v3
	s_and_saveexec_b64 s[0:1], vcc
	s_cbranch_execz .LBB45_6
; %bb.5:
	v_mov_b32_e32 v4, 0
	ds_write_b32 v2, v4
.LBB45_6:
	s_or_b64 exec, exec, s[0:1]
	v_mbcnt_lo_u32_b32 v4, -1, 0
	v_mbcnt_hi_u32_b32 v6, -1, v4
	v_and_b32_e32 v7, 63, v6
	v_cmp_gt_u32_e64 s[0:1], 32, v7
	v_cndmask_b32_e64 v4, 0, 1, s[0:1]
	v_lshlrev_b32_e32 v4, 5, v4
	v_add_lshl_u32 v4, v4, v6, 2
	ds_bpermute_b32 v4, v4, v1
	v_cmp_gt_u32_e64 s[0:1], 48, v7
	v_cndmask_b32_e64 v5, 0, 1, s[0:1]
	v_lshlrev_b32_e32 v5, 4, v5
	v_cmp_gt_u32_e64 s[0:1], 56, v7
	s_waitcnt lgkmcnt(0)
	v_add_f32_e32 v1, v1, v4
	v_add_lshl_u32 v4, v5, v6, 2
	ds_bpermute_b32 v4, v4, v1
	v_cndmask_b32_e64 v5, 0, 1, s[0:1]
	v_lshlrev_b32_e32 v5, 3, v5
	v_cmp_gt_u32_e64 s[0:1], 60, v7
	v_cndmask_b32_e64 v8, 0, 1, s[0:1]
	s_waitcnt lgkmcnt(0)
	v_add_f32_e32 v4, v1, v4
	v_add_lshl_u32 v1, v5, v6, 2
	ds_bpermute_b32 v5, v1, v4
	v_lshlrev_b32_e32 v8, 2, v8
	v_cmp_gt_u32_e64 s[0:1], 62, v7
	v_cndmask_b32_e64 v9, 0, 1, s[0:1]
	v_lshlrev_b32_e32 v9, 1, v9
	s_waitcnt lgkmcnt(0)
	v_add_f32_e32 v5, v4, v5
	v_add_lshl_u32 v4, v8, v6, 2
	ds_bpermute_b32 v8, v4, v5
	v_cmp_ne_u32_e64 s[0:1], 63, v7
	s_waitcnt lgkmcnt(0)
	s_barrier
	v_add_f32_e32 v8, v5, v8
	v_add_lshl_u32 v5, v9, v6, 2
	ds_bpermute_b32 v9, v5, v8
	v_addc_co_u32_e64 v6, s[0:1], 0, v6, s[0:1]
	v_lshlrev_b32_e32 v6, 2, v6
	v_cmp_eq_u32_e64 s[0:1], 0, v3
	s_waitcnt lgkmcnt(0)
	v_add_f32_e32 v7, v8, v9
	ds_bpermute_b32 v8, v6, v7
	s_and_saveexec_b64 s[4:5], s[0:1]
	s_cbranch_execz .LBB45_8
; %bb.7:
	s_waitcnt lgkmcnt(0)
	v_add_f32_e32 v3, v7, v8
	v_lshrrev_b32_e32 v7, 4, v0
	v_and_b32_e32 v7, 60, v7
	ds_write_b32 v7, v3
.LBB45_8:
	s_or_b64 exec, exec, s[4:5]
	v_cmp_gt_u32_e64 s[0:1], 16, v0
	v_mov_b32_e32 v3, 0
	s_waitcnt lgkmcnt(0)
	s_barrier
	s_and_saveexec_b64 s[4:5], s[0:1]
	s_cbranch_execnz .LBB45_12
; %bb.9:
	s_or_b64 exec, exec, s[4:5]
	s_and_saveexec_b64 s[0:1], vcc
	s_cbranch_execnz .LBB45_13
.LBB45_10:
	s_or_b64 exec, exec, s[0:1]
	v_cmp_eq_u32_e32 vcc, 0, v0
	s_and_saveexec_b64 s[0:1], vcc
	s_cbranch_execnz .LBB45_14
.LBB45_11:
	s_endpgm
.LBB45_12:
	ds_read_b32 v3, v2
	s_or_b64 exec, exec, s[4:5]
	s_and_saveexec_b64 s[0:1], vcc
	s_cbranch_execz .LBB45_10
.LBB45_13:
	s_waitcnt lgkmcnt(0)
	ds_bpermute_b32 v1, v1, v3
	s_waitcnt lgkmcnt(0)
	v_add_f32_e32 v1, v3, v1
	ds_bpermute_b32 v2, v4, v1
	s_waitcnt lgkmcnt(0)
	v_add_f32_e32 v1, v1, v2
	;; [unrolled: 3-line block ×4, first 2 shown]
	s_or_b64 exec, exec, s[0:1]
	v_cmp_eq_u32_e32 vcc, 0, v0
	s_and_saveexec_b64 s[0:1], vcc
	s_cbranch_execz .LBB45_11
.LBB45_14:
	s_lshl_b64 s[0:1], s[2:3], 2
	s_add_u32 s0, s6, s0
	s_addc_u32 s1, s7, s1
	v_mov_b32_e32 v0, 0
	s_waitcnt lgkmcnt(0)
	global_store_dword v0, v3, s[0:1]
	s_endpgm
	.section	.rodata,"a",@progbits
	.p2align	6, 0x0
	.amdhsa_kernel _ZL24rocblas_dot_kernel_magsqIiLb1ELi1024ELi32ELb0EfPKffEviT5_lT_liPT6_PT4_
		.amdhsa_group_segment_fixed_size 256
		.amdhsa_private_segment_fixed_size 0
		.amdhsa_kernarg_size 320
		.amdhsa_user_sgpr_count 6
		.amdhsa_user_sgpr_private_segment_buffer 1
		.amdhsa_user_sgpr_dispatch_ptr 0
		.amdhsa_user_sgpr_queue_ptr 0
		.amdhsa_user_sgpr_kernarg_segment_ptr 1
		.amdhsa_user_sgpr_dispatch_id 0
		.amdhsa_user_sgpr_flat_scratch_init 0
		.amdhsa_user_sgpr_kernarg_preload_length 0
		.amdhsa_user_sgpr_kernarg_preload_offset 0
		.amdhsa_user_sgpr_private_segment_size 0
		.amdhsa_uses_dynamic_stack 0
		.amdhsa_system_sgpr_private_segment_wavefront_offset 0
		.amdhsa_system_sgpr_workgroup_id_x 1
		.amdhsa_system_sgpr_workgroup_id_y 0
		.amdhsa_system_sgpr_workgroup_id_z 1
		.amdhsa_system_sgpr_workgroup_info 0
		.amdhsa_system_vgpr_workitem_id 0
		.amdhsa_next_free_vgpr 10
		.amdhsa_next_free_sgpr 20
		.amdhsa_accum_offset 12
		.amdhsa_reserve_vcc 1
		.amdhsa_reserve_flat_scratch 0
		.amdhsa_float_round_mode_32 0
		.amdhsa_float_round_mode_16_64 0
		.amdhsa_float_denorm_mode_32 3
		.amdhsa_float_denorm_mode_16_64 3
		.amdhsa_dx10_clamp 1
		.amdhsa_ieee_mode 1
		.amdhsa_fp16_overflow 0
		.amdhsa_tg_split 0
		.amdhsa_exception_fp_ieee_invalid_op 0
		.amdhsa_exception_fp_denorm_src 0
		.amdhsa_exception_fp_ieee_div_zero 0
		.amdhsa_exception_fp_ieee_overflow 0
		.amdhsa_exception_fp_ieee_underflow 0
		.amdhsa_exception_fp_ieee_inexact 0
		.amdhsa_exception_int_div_zero 0
	.end_amdhsa_kernel
	.section	.text._ZL24rocblas_dot_kernel_magsqIiLb1ELi1024ELi32ELb0EfPKffEviT5_lT_liPT6_PT4_,"axG",@progbits,_ZL24rocblas_dot_kernel_magsqIiLb1ELi1024ELi32ELb0EfPKffEviT5_lT_liPT6_PT4_,comdat
.Lfunc_end45:
	.size	_ZL24rocblas_dot_kernel_magsqIiLb1ELi1024ELi32ELb0EfPKffEviT5_lT_liPT6_PT4_, .Lfunc_end45-_ZL24rocblas_dot_kernel_magsqIiLb1ELi1024ELi32ELb0EfPKffEviT5_lT_liPT6_PT4_
                                        ; -- End function
	.section	.AMDGPU.csdata,"",@progbits
; Kernel info:
; codeLenInByte = 816
; NumSgprs: 24
; NumVgprs: 10
; NumAgprs: 0
; TotalNumVgprs: 10
; ScratchSize: 0
; MemoryBound: 0
; FloatMode: 240
; IeeeMode: 1
; LDSByteSize: 256 bytes/workgroup (compile time only)
; SGPRBlocks: 2
; VGPRBlocks: 1
; NumSGPRsForWavesPerEU: 24
; NumVGPRsForWavesPerEU: 10
; AccumOffset: 12
; Occupancy: 8
; WaveLimiterHint : 0
; COMPUTE_PGM_RSRC2:SCRATCH_EN: 0
; COMPUTE_PGM_RSRC2:USER_SGPR: 6
; COMPUTE_PGM_RSRC2:TRAP_HANDLER: 0
; COMPUTE_PGM_RSRC2:TGID_X_EN: 1
; COMPUTE_PGM_RSRC2:TGID_Y_EN: 0
; COMPUTE_PGM_RSRC2:TGID_Z_EN: 1
; COMPUTE_PGM_RSRC2:TIDIG_COMP_CNT: 0
; COMPUTE_PGM_RSRC3_GFX90A:ACCUM_OFFSET: 2
; COMPUTE_PGM_RSRC3_GFX90A:TG_SPLIT: 0
	.section	.text._ZL38rocblas_dot_kernel_gfx942_float_doubleIiLi1024EfPKffEviT2_lT_lS2_lS3_lPT3_PT1_,"axG",@progbits,_ZL38rocblas_dot_kernel_gfx942_float_doubleIiLi1024EfPKffEviT2_lT_lS2_lS3_lPT3_PT1_,comdat
	.globl	_ZL38rocblas_dot_kernel_gfx942_float_doubleIiLi1024EfPKffEviT2_lT_lS2_lS3_lPT3_PT1_ ; -- Begin function _ZL38rocblas_dot_kernel_gfx942_float_doubleIiLi1024EfPKffEviT2_lT_lS2_lS3_lPT3_PT1_
	.p2align	8
	.type	_ZL38rocblas_dot_kernel_gfx942_float_doubleIiLi1024EfPKffEviT2_lT_lS2_lS3_lPT3_PT1_,@function
_ZL38rocblas_dot_kernel_gfx942_float_doubleIiLi1024EfPKffEviT2_lT_lS2_lS3_lPT3_PT1_: ; @_ZL38rocblas_dot_kernel_gfx942_float_doubleIiLi1024EfPKffEviT2_lT_lS2_lS3_lPT3_PT1_
; %bb.0:
	s_endpgm
	.section	.rodata,"a",@progbits
	.p2align	6, 0x0
	.amdhsa_kernel _ZL38rocblas_dot_kernel_gfx942_float_doubleIiLi1024EfPKffEviT2_lT_lS2_lS3_lPT3_PT1_
		.amdhsa_group_segment_fixed_size 0
		.amdhsa_private_segment_fixed_size 0
		.amdhsa_kernarg_size 88
		.amdhsa_user_sgpr_count 6
		.amdhsa_user_sgpr_private_segment_buffer 1
		.amdhsa_user_sgpr_dispatch_ptr 0
		.amdhsa_user_sgpr_queue_ptr 0
		.amdhsa_user_sgpr_kernarg_segment_ptr 1
		.amdhsa_user_sgpr_dispatch_id 0
		.amdhsa_user_sgpr_flat_scratch_init 0
		.amdhsa_user_sgpr_kernarg_preload_length 0
		.amdhsa_user_sgpr_kernarg_preload_offset 0
		.amdhsa_user_sgpr_private_segment_size 0
		.amdhsa_uses_dynamic_stack 0
		.amdhsa_system_sgpr_private_segment_wavefront_offset 0
		.amdhsa_system_sgpr_workgroup_id_x 1
		.amdhsa_system_sgpr_workgroup_id_y 0
		.amdhsa_system_sgpr_workgroup_id_z 0
		.amdhsa_system_sgpr_workgroup_info 0
		.amdhsa_system_vgpr_workitem_id 0
		.amdhsa_next_free_vgpr 1
		.amdhsa_next_free_sgpr 0
		.amdhsa_accum_offset 4
		.amdhsa_reserve_vcc 0
		.amdhsa_reserve_flat_scratch 0
		.amdhsa_float_round_mode_32 0
		.amdhsa_float_round_mode_16_64 0
		.amdhsa_float_denorm_mode_32 3
		.amdhsa_float_denorm_mode_16_64 3
		.amdhsa_dx10_clamp 1
		.amdhsa_ieee_mode 1
		.amdhsa_fp16_overflow 0
		.amdhsa_tg_split 0
		.amdhsa_exception_fp_ieee_invalid_op 0
		.amdhsa_exception_fp_denorm_src 0
		.amdhsa_exception_fp_ieee_div_zero 0
		.amdhsa_exception_fp_ieee_overflow 0
		.amdhsa_exception_fp_ieee_underflow 0
		.amdhsa_exception_fp_ieee_inexact 0
		.amdhsa_exception_int_div_zero 0
	.end_amdhsa_kernel
	.section	.text._ZL38rocblas_dot_kernel_gfx942_float_doubleIiLi1024EfPKffEviT2_lT_lS2_lS3_lPT3_PT1_,"axG",@progbits,_ZL38rocblas_dot_kernel_gfx942_float_doubleIiLi1024EfPKffEviT2_lT_lS2_lS3_lPT3_PT1_,comdat
.Lfunc_end46:
	.size	_ZL38rocblas_dot_kernel_gfx942_float_doubleIiLi1024EfPKffEviT2_lT_lS2_lS3_lPT3_PT1_, .Lfunc_end46-_ZL38rocblas_dot_kernel_gfx942_float_doubleIiLi1024EfPKffEviT2_lT_lS2_lS3_lPT3_PT1_
                                        ; -- End function
	.section	.AMDGPU.csdata,"",@progbits
; Kernel info:
; codeLenInByte = 4
; NumSgprs: 4
; NumVgprs: 0
; NumAgprs: 0
; TotalNumVgprs: 0
; ScratchSize: 0
; MemoryBound: 0
; FloatMode: 240
; IeeeMode: 1
; LDSByteSize: 0 bytes/workgroup (compile time only)
; SGPRBlocks: 0
; VGPRBlocks: 0
; NumSGPRsForWavesPerEU: 4
; NumVGPRsForWavesPerEU: 1
; AccumOffset: 4
; Occupancy: 8
; WaveLimiterHint : 0
; COMPUTE_PGM_RSRC2:SCRATCH_EN: 0
; COMPUTE_PGM_RSRC2:USER_SGPR: 6
; COMPUTE_PGM_RSRC2:TRAP_HANDLER: 0
; COMPUTE_PGM_RSRC2:TGID_X_EN: 1
; COMPUTE_PGM_RSRC2:TGID_Y_EN: 0
; COMPUTE_PGM_RSRC2:TGID_Z_EN: 0
; COMPUTE_PGM_RSRC2:TIDIG_COMP_CNT: 0
; COMPUTE_PGM_RSRC3_GFX90A:ACCUM_OFFSET: 0
; COMPUTE_PGM_RSRC3_GFX90A:TG_SPLIT: 0
	.section	.text._ZL23rocblas_dot_kernel_inc1ILb0ELi512ELi4ELb0EfPKffEviT4_llS2_lliPT5_PT3_,"axG",@progbits,_ZL23rocblas_dot_kernel_inc1ILb0ELi512ELi4ELb0EfPKffEviT4_llS2_lliPT5_PT3_,comdat
	.globl	_ZL23rocblas_dot_kernel_inc1ILb0ELi512ELi4ELb0EfPKffEviT4_llS2_lliPT5_PT3_ ; -- Begin function _ZL23rocblas_dot_kernel_inc1ILb0ELi512ELi4ELb0EfPKffEviT4_llS2_lliPT5_PT3_
	.p2align	8
	.type	_ZL23rocblas_dot_kernel_inc1ILb0ELi512ELi4ELb0EfPKffEviT4_llS2_lliPT5_PT3_,@function
_ZL23rocblas_dot_kernel_inc1ILb0ELi512ELi4ELb0EfPKffEviT4_llS2_lliPT5_PT3_: ; @_ZL23rocblas_dot_kernel_inc1ILb0ELi512ELi4ELb0EfPKffEviT4_llS2_lliPT5_PT3_
; %bb.0:
	s_mov_b32 s2, s7
	s_load_dword s18, s[4:5], 0x50
	s_load_dword s7, s[4:5], 0x0
	s_load_dwordx4 s[8:11], s[4:5], 0x40
	v_lshl_or_b32 v2, s6, 9, v0
	s_mov_b32 s3, 0
	v_mov_b32_e32 v1, 0
	s_waitcnt lgkmcnt(0)
	v_cmp_gt_i32_e32 vcc, s7, v2
	s_and_saveexec_b64 s[12:13], vcc
	s_cbranch_execz .LBB47_4
; %bb.1:
	s_load_dwordx4 s[20:23], s[4:5], 0x10
	s_load_dwordx2 s[0:1], s[4:5], 0x8
	s_load_dwordx2 s[14:15], s[4:5], 0x20
	s_load_dwordx4 s[24:27], s[4:5], 0x28
	v_ashrrev_i32_e32 v3, 31, v2
	s_waitcnt lgkmcnt(0)
	s_mul_i32 s4, s2, s23
	s_mul_hi_u32 s5, s2, s22
	s_add_i32 s5, s5, s4
	s_mul_i32 s4, s2, s22
	s_lshl_b64 s[4:5], s[4:5], 2
	s_add_u32 s4, s0, s4
	s_addc_u32 s5, s1, s5
	s_lshl_b64 s[0:1], s[20:21], 2
	s_add_u32 s19, s4, s0
	s_addc_u32 s21, s5, s1
	s_mul_i32 s0, s2, s27
	s_mul_hi_u32 s1, s2, s26
	s_add_i32 s1, s1, s0
	s_mul_i32 s0, s2, s26
	s_lshl_b64 s[0:1], s[0:1], 2
	s_add_u32 s4, s14, s0
	s_addc_u32 s5, s15, s1
	s_lshl_b64 s[0:1], s[24:25], 2
	s_add_u32 s20, s4, s0
	s_addc_u32 s0, s5, s1
	s_lshl_b32 s4, s18, 9
	s_ashr_i32 s5, s4, 31
	s_lshl_b64 s[16:17], s[4:5], 2
	v_add_u32_e32 v4, s4, v2
	v_lshlrev_b64 v[2:3], 2, v[2:3]
	s_mov_b64 s[14:15], 0
	v_mov_b32_e32 v1, 0
	v_mov_b32_e32 v5, s0
	v_mov_b32_e32 v6, s21
	v_mov_b32_e32 v7, s17
	s_mov_b32 s5, s3
.LBB47_2:                               ; =>This Inner Loop Header: Depth=1
	v_add_co_u32_e32 v8, vcc, s20, v2
	v_addc_co_u32_e32 v9, vcc, v5, v3, vcc
	v_add_co_u32_e32 v10, vcc, s19, v2
	v_addc_co_u32_e32 v11, vcc, v6, v3, vcc
	global_load_dword v12, v[8:9], off
	global_load_dword v13, v[10:11], off
	s_add_i32 s17, s5, 1
	v_add_co_u32_e64 v2, s[0:1], s16, v2
	v_addc_co_u32_e64 v3, s[0:1], v3, v7, s[0:1]
	s_cmp_gt_u32 s5, 2
	v_cmp_le_i32_e32 vcc, s7, v4
	s_cselect_b64 s[0:1], -1, 0
	s_or_b64 s[0:1], s[0:1], vcc
	s_and_b64 s[0:1], exec, s[0:1]
	v_add_u32_e32 v4, s4, v4
	s_mov_b32 s5, s17
	s_or_b64 s[14:15], s[0:1], s[14:15]
	s_waitcnt vmcnt(0)
	v_fmac_f32_e32 v1, v12, v13
	s_andn2_b64 exec, exec, s[14:15]
	s_cbranch_execnz .LBB47_2
; %bb.3:
	s_or_b64 exec, exec, s[14:15]
.LBB47_4:
	s_or_b64 exec, exec, s[12:13]
	v_and_b32_e32 v3, 63, v0
	v_cmp_gt_u32_e32 vcc, 64, v0
	v_lshlrev_b32_e32 v2, 2, v3
	s_and_saveexec_b64 s[0:1], vcc
	s_cbranch_execz .LBB47_6
; %bb.5:
	v_mov_b32_e32 v4, 0
	ds_write_b32 v2, v4
.LBB47_6:
	s_or_b64 exec, exec, s[0:1]
	v_mbcnt_lo_u32_b32 v4, -1, 0
	v_mbcnt_hi_u32_b32 v6, -1, v4
	v_and_b32_e32 v7, 63, v6
	v_cmp_gt_u32_e64 s[0:1], 32, v7
	v_cndmask_b32_e64 v4, 0, 1, s[0:1]
	v_lshlrev_b32_e32 v4, 5, v4
	v_add_lshl_u32 v4, v4, v6, 2
	ds_bpermute_b32 v4, v4, v1
	v_cmp_gt_u32_e64 s[0:1], 48, v7
	v_cndmask_b32_e64 v5, 0, 1, s[0:1]
	v_lshlrev_b32_e32 v5, 4, v5
	v_cmp_gt_u32_e64 s[0:1], 56, v7
	s_waitcnt lgkmcnt(0)
	v_add_f32_e32 v1, v1, v4
	v_add_lshl_u32 v4, v5, v6, 2
	ds_bpermute_b32 v4, v4, v1
	v_cndmask_b32_e64 v5, 0, 1, s[0:1]
	v_lshlrev_b32_e32 v5, 3, v5
	v_cmp_gt_u32_e64 s[0:1], 60, v7
	s_waitcnt lgkmcnt(0)
	v_add_f32_e32 v1, v1, v4
	v_add_lshl_u32 v4, v5, v6, 2
	ds_bpermute_b32 v4, v4, v1
	v_cndmask_b32_e64 v5, 0, 1, s[0:1]
	v_lshlrev_b32_e32 v5, 2, v5
	v_cmp_gt_u32_e64 s[0:1], 62, v7
	v_cndmask_b32_e64 v8, 0, 1, s[0:1]
	s_waitcnt lgkmcnt(0)
	v_add_f32_e32 v1, v1, v4
	v_add_lshl_u32 v4, v5, v6, 2
	ds_bpermute_b32 v5, v4, v1
	v_lshlrev_b32_e32 v8, 1, v8
	v_cmp_ne_u32_e64 s[0:1], 63, v7
	s_barrier
	s_waitcnt lgkmcnt(0)
	v_add_f32_e32 v1, v1, v5
	v_add_lshl_u32 v5, v8, v6, 2
	ds_bpermute_b32 v8, v5, v1
	v_addc_co_u32_e64 v6, s[0:1], 0, v6, s[0:1]
	v_lshlrev_b32_e32 v6, 2, v6
	v_cmp_eq_u32_e64 s[0:1], 0, v3
	s_waitcnt lgkmcnt(0)
	v_add_f32_e32 v1, v1, v8
	ds_bpermute_b32 v7, v6, v1
	s_and_saveexec_b64 s[4:5], s[0:1]
	s_cbranch_execz .LBB47_8
; %bb.7:
	v_lshrrev_b32_e32 v3, 4, v0
	s_waitcnt lgkmcnt(0)
	v_add_f32_e32 v1, v1, v7
	v_and_b32_e32 v3, 28, v3
	ds_write_b32 v3, v1
.LBB47_8:
	s_or_b64 exec, exec, s[4:5]
	v_cmp_gt_u32_e64 s[0:1], 8, v0
	v_mov_b32_e32 v1, 0
	s_waitcnt lgkmcnt(0)
	s_barrier
	s_and_saveexec_b64 s[4:5], s[0:1]
	s_cbranch_execnz .LBB47_12
; %bb.9:
	s_or_b64 exec, exec, s[4:5]
	s_and_saveexec_b64 s[0:1], vcc
	s_cbranch_execnz .LBB47_13
.LBB47_10:
	s_or_b64 exec, exec, s[0:1]
	v_cmp_eq_u32_e32 vcc, 0, v0
	s_and_saveexec_b64 s[0:1], vcc
	s_cbranch_execnz .LBB47_14
.LBB47_11:
	s_endpgm
.LBB47_12:
	ds_read_b32 v1, v2
	s_or_b64 exec, exec, s[4:5]
	s_and_saveexec_b64 s[0:1], vcc
	s_cbranch_execz .LBB47_10
.LBB47_13:
	s_waitcnt lgkmcnt(0)
	ds_bpermute_b32 v2, v4, v1
	s_waitcnt lgkmcnt(0)
	v_add_f32_e32 v1, v1, v2
	ds_bpermute_b32 v2, v5, v1
	s_waitcnt lgkmcnt(0)
	v_add_f32_e32 v1, v1, v2
	;; [unrolled: 3-line block ×3, first 2 shown]
	s_or_b64 exec, exec, s[0:1]
	v_cmp_eq_u32_e32 vcc, 0, v0
	s_and_saveexec_b64 s[0:1], vcc
	s_cbranch_execz .LBB47_11
.LBB47_14:
	s_cmp_lg_u32 s18, 1
	s_cbranch_scc0 .LBB47_16
; %bb.15:
	s_mul_hi_u32 s1, s18, s2
	s_mul_i32 s0, s18, s2
	s_lshl_b64 s[0:1], s[0:1], 2
	s_mov_b32 s7, 0
	s_add_u32 s4, s8, s0
	s_addc_u32 s5, s9, s1
	s_lshl_b64 s[0:1], s[6:7], 2
	s_add_u32 s0, s4, s0
	s_addc_u32 s1, s5, s1
	s_cbranch_execz .LBB47_17
	s_branch .LBB47_18
.LBB47_16:
                                        ; implicit-def: $sgpr0_sgpr1
.LBB47_17:
	s_lshl_b64 s[0:1], s[2:3], 2
	s_add_u32 s0, s10, s0
	s_addc_u32 s1, s11, s1
.LBB47_18:
	v_mov_b32_e32 v0, 0
	s_waitcnt lgkmcnt(0)
	global_store_dword v0, v1, s[0:1]
	s_endpgm
	.section	.rodata,"a",@progbits
	.p2align	6, 0x0
	.amdhsa_kernel _ZL23rocblas_dot_kernel_inc1ILb0ELi512ELi4ELb0EfPKffEviT4_llS2_lliPT5_PT3_
		.amdhsa_group_segment_fixed_size 256
		.amdhsa_private_segment_fixed_size 0
		.amdhsa_kernarg_size 336
		.amdhsa_user_sgpr_count 6
		.amdhsa_user_sgpr_private_segment_buffer 1
		.amdhsa_user_sgpr_dispatch_ptr 0
		.amdhsa_user_sgpr_queue_ptr 0
		.amdhsa_user_sgpr_kernarg_segment_ptr 1
		.amdhsa_user_sgpr_dispatch_id 0
		.amdhsa_user_sgpr_flat_scratch_init 0
		.amdhsa_user_sgpr_kernarg_preload_length 0
		.amdhsa_user_sgpr_kernarg_preload_offset 0
		.amdhsa_user_sgpr_private_segment_size 0
		.amdhsa_uses_dynamic_stack 0
		.amdhsa_system_sgpr_private_segment_wavefront_offset 0
		.amdhsa_system_sgpr_workgroup_id_x 1
		.amdhsa_system_sgpr_workgroup_id_y 0
		.amdhsa_system_sgpr_workgroup_id_z 1
		.amdhsa_system_sgpr_workgroup_info 0
		.amdhsa_system_vgpr_workitem_id 0
		.amdhsa_next_free_vgpr 14
		.amdhsa_next_free_sgpr 28
		.amdhsa_accum_offset 16
		.amdhsa_reserve_vcc 1
		.amdhsa_reserve_flat_scratch 0
		.amdhsa_float_round_mode_32 0
		.amdhsa_float_round_mode_16_64 0
		.amdhsa_float_denorm_mode_32 3
		.amdhsa_float_denorm_mode_16_64 3
		.amdhsa_dx10_clamp 1
		.amdhsa_ieee_mode 1
		.amdhsa_fp16_overflow 0
		.amdhsa_tg_split 0
		.amdhsa_exception_fp_ieee_invalid_op 0
		.amdhsa_exception_fp_denorm_src 0
		.amdhsa_exception_fp_ieee_div_zero 0
		.amdhsa_exception_fp_ieee_overflow 0
		.amdhsa_exception_fp_ieee_underflow 0
		.amdhsa_exception_fp_ieee_inexact 0
		.amdhsa_exception_int_div_zero 0
	.end_amdhsa_kernel
	.section	.text._ZL23rocblas_dot_kernel_inc1ILb0ELi512ELi4ELb0EfPKffEviT4_llS2_lliPT5_PT3_,"axG",@progbits,_ZL23rocblas_dot_kernel_inc1ILb0ELi512ELi4ELb0EfPKffEviT4_llS2_lliPT5_PT3_,comdat
.Lfunc_end47:
	.size	_ZL23rocblas_dot_kernel_inc1ILb0ELi512ELi4ELb0EfPKffEviT4_llS2_lliPT5_PT3_, .Lfunc_end47-_ZL23rocblas_dot_kernel_inc1ILb0ELi512ELi4ELb0EfPKffEviT4_llS2_lliPT5_PT3_
                                        ; -- End function
	.section	.AMDGPU.csdata,"",@progbits
; Kernel info:
; codeLenInByte = 920
; NumSgprs: 32
; NumVgprs: 14
; NumAgprs: 0
; TotalNumVgprs: 14
; ScratchSize: 0
; MemoryBound: 0
; FloatMode: 240
; IeeeMode: 1
; LDSByteSize: 256 bytes/workgroup (compile time only)
; SGPRBlocks: 3
; VGPRBlocks: 1
; NumSGPRsForWavesPerEU: 32
; NumVGPRsForWavesPerEU: 14
; AccumOffset: 16
; Occupancy: 8
; WaveLimiterHint : 0
; COMPUTE_PGM_RSRC2:SCRATCH_EN: 0
; COMPUTE_PGM_RSRC2:USER_SGPR: 6
; COMPUTE_PGM_RSRC2:TRAP_HANDLER: 0
; COMPUTE_PGM_RSRC2:TGID_X_EN: 1
; COMPUTE_PGM_RSRC2:TGID_Y_EN: 0
; COMPUTE_PGM_RSRC2:TGID_Z_EN: 1
; COMPUTE_PGM_RSRC2:TIDIG_COMP_CNT: 0
; COMPUTE_PGM_RSRC3_GFX90A:ACCUM_OFFSET: 3
; COMPUTE_PGM_RSRC3_GFX90A:TG_SPLIT: 0
	.section	.text._ZL18rocblas_dot_kernelIiLb0ELi512ELi4ELb0EfPKffEviT5_lT_lS2_lS3_liPT6_PT4_,"axG",@progbits,_ZL18rocblas_dot_kernelIiLb0ELi512ELi4ELb0EfPKffEviT5_lT_lS2_lS3_liPT6_PT4_,comdat
	.globl	_ZL18rocblas_dot_kernelIiLb0ELi512ELi4ELb0EfPKffEviT5_lT_lS2_lS3_liPT6_PT4_ ; -- Begin function _ZL18rocblas_dot_kernelIiLb0ELi512ELi4ELb0EfPKffEviT5_lT_lS2_lS3_liPT6_PT4_
	.p2align	8
	.type	_ZL18rocblas_dot_kernelIiLb0ELi512ELi4ELb0EfPKffEviT5_lT_lS2_lS3_liPT6_PT4_,@function
_ZL18rocblas_dot_kernelIiLb0ELi512ELi4ELb0EfPKffEviT5_lT_lS2_lS3_liPT6_PT4_: ; @_ZL18rocblas_dot_kernelIiLb0ELi512ELi4ELb0EfPKffEviT5_lT_lS2_lS3_liPT6_PT4_
; %bb.0:
	s_mov_b32 s12, s7
	s_load_dword s18, s[4:5], 0x60
	s_load_dword s7, s[4:5], 0x0
	s_load_dwordx4 s[8:11], s[4:5], 0x50
	v_lshl_or_b32 v4, s6, 9, v0
	s_mov_b32 s13, 0
	v_mov_b32_e32 v6, 0
	s_waitcnt lgkmcnt(0)
	v_cmp_gt_i32_e32 vcc, s7, v4
	s_and_saveexec_b64 s[14:15], vcc
	s_cbranch_execz .LBB48_4
; %bb.1:
	s_load_dwordx4 s[20:23], s[4:5], 0x8
	s_load_dword s26, s[4:5], 0x18
	s_load_dwordx4 s[0:3], s[4:5], 0x20
	s_load_dwordx2 s[16:17], s[4:5], 0x30
	s_load_dword s27, s[4:5], 0x38
	s_load_dwordx2 s[24:25], s[4:5], 0x40
	s_waitcnt lgkmcnt(0)
	v_mad_i64_i32 v[2:3], s[4:5], s26, v4, 0
	s_mul_i32 s1, s1, s12
	s_mul_hi_u32 s4, s0, s12
	s_add_i32 s1, s4, s1
	s_mul_i32 s0, s0, s12
	s_lshl_b32 s19, s18, 9
	s_lshl_b64 s[0:1], s[0:1], 2
	s_lshl_b64 s[4:5], s[22:23], 2
	s_add_u32 s4, s20, s4
	s_addc_u32 s5, s21, s5
	s_add_u32 s0, s4, s0
	v_lshlrev_b64 v[2:3], 2, v[2:3]
	s_addc_u32 s1, s5, s1
	v_mov_b32_e32 v5, s1
	v_add_co_u32_e32 v2, vcc, s0, v2
	s_mul_hi_i32 s1, s26, s19
	s_mul_i32 s0, s26, s19
	v_add_u32_e32 v1, s19, v4
	v_addc_co_u32_e32 v3, vcc, v5, v3, vcc
	s_lshl_b64 s[4:5], s[0:1], 2
	v_mad_i64_i32 v[4:5], s[0:1], s27, v4, 0
	s_mul_i32 s0, s25, s12
	s_mul_hi_u32 s1, s24, s12
	s_add_i32 s1, s1, s0
	s_mul_i32 s0, s24, s12
	s_lshl_b64 s[0:1], s[0:1], 2
	s_lshl_b64 s[16:17], s[16:17], 2
	s_add_u32 s2, s2, s16
	s_addc_u32 s3, s3, s17
	s_add_u32 s0, s2, s0
	v_lshlrev_b64 v[4:5], 2, v[4:5]
	s_addc_u32 s1, s3, s1
	v_mov_b32_e32 v6, s1
	v_add_co_u32_e32 v4, vcc, s0, v4
	s_mul_hi_i32 s1, s27, s19
	s_mul_i32 s0, s27, s19
	s_lshl_b64 s[16:17], s[0:1], 2
	v_addc_co_u32_e32 v5, vcc, v6, v5, vcc
	s_mov_b64 s[2:3], 0
	v_mov_b32_e32 v6, 0
	v_mov_b32_e32 v7, s5
	;; [unrolled: 1-line block ×3, first 2 shown]
	s_mov_b32 s5, s13
.LBB48_2:                               ; =>This Inner Loop Header: Depth=1
	global_load_dword v9, v[4:5], off
	global_load_dword v10, v[2:3], off
	v_add_co_u32_e64 v2, s[0:1], s4, v2
	v_addc_co_u32_e64 v3, s[0:1], v3, v7, s[0:1]
	s_add_i32 s17, s5, 1
	v_add_co_u32_e64 v4, s[0:1], s16, v4
	v_addc_co_u32_e64 v5, s[0:1], v5, v8, s[0:1]
	s_cmp_gt_u32 s5, 2
	v_cmp_le_i32_e32 vcc, s7, v1
	s_cselect_b64 s[0:1], -1, 0
	s_or_b64 s[0:1], s[0:1], vcc
	s_and_b64 s[0:1], exec, s[0:1]
	v_add_u32_e32 v1, s19, v1
	s_mov_b32 s5, s17
	s_or_b64 s[2:3], s[0:1], s[2:3]
	s_waitcnt vmcnt(0)
	v_fmac_f32_e32 v6, v9, v10
	s_andn2_b64 exec, exec, s[2:3]
	s_cbranch_execnz .LBB48_2
; %bb.3:
	s_or_b64 exec, exec, s[2:3]
.LBB48_4:
	s_or_b64 exec, exec, s[14:15]
	v_and_b32_e32 v2, 63, v0
	v_cmp_gt_u32_e32 vcc, 64, v0
	v_lshlrev_b32_e32 v1, 2, v2
	s_and_saveexec_b64 s[0:1], vcc
	s_cbranch_execz .LBB48_6
; %bb.5:
	v_mov_b32_e32 v3, 0
	ds_write_b32 v1, v3
.LBB48_6:
	s_or_b64 exec, exec, s[0:1]
	v_mbcnt_lo_u32_b32 v3, -1, 0
	v_mbcnt_hi_u32_b32 v5, -1, v3
	v_and_b32_e32 v7, 63, v5
	v_cmp_gt_u32_e64 s[0:1], 32, v7
	v_cndmask_b32_e64 v3, 0, 1, s[0:1]
	v_lshlrev_b32_e32 v3, 5, v3
	v_add_lshl_u32 v3, v3, v5, 2
	ds_bpermute_b32 v3, v3, v6
	v_cmp_gt_u32_e64 s[0:1], 48, v7
	v_cndmask_b32_e64 v4, 0, 1, s[0:1]
	v_lshlrev_b32_e32 v4, 4, v4
	v_add_lshl_u32 v4, v4, v5, 2
	s_waitcnt lgkmcnt(0)
	v_add_f32_e32 v3, v6, v3
	ds_bpermute_b32 v4, v4, v3
	v_cmp_gt_u32_e64 s[0:1], 56, v7
	v_cndmask_b32_e64 v6, 0, 1, s[0:1]
	v_lshlrev_b32_e32 v6, 3, v6
	v_cmp_gt_u32_e64 s[0:1], 60, v7
	s_waitcnt lgkmcnt(0)
	v_add_f32_e32 v3, v3, v4
	v_add_lshl_u32 v4, v6, v5, 2
	ds_bpermute_b32 v4, v4, v3
	v_cndmask_b32_e64 v6, 0, 1, s[0:1]
	v_lshlrev_b32_e32 v6, 2, v6
	v_cmp_gt_u32_e64 s[0:1], 62, v7
	v_cndmask_b32_e64 v8, 0, 1, s[0:1]
	s_waitcnt lgkmcnt(0)
	v_add_f32_e32 v4, v3, v4
	v_add_lshl_u32 v3, v6, v5, 2
	ds_bpermute_b32 v6, v3, v4
	v_lshlrev_b32_e32 v8, 1, v8
	v_cmp_ne_u32_e64 s[0:1], 63, v7
	s_waitcnt lgkmcnt(0)
	s_barrier
	v_add_f32_e32 v6, v4, v6
	v_add_lshl_u32 v4, v8, v5, 2
	ds_bpermute_b32 v8, v4, v6
	v_addc_co_u32_e64 v5, s[0:1], 0, v5, s[0:1]
	v_lshlrev_b32_e32 v5, 2, v5
	v_cmp_eq_u32_e64 s[0:1], 0, v2
	s_waitcnt lgkmcnt(0)
	v_add_f32_e32 v6, v6, v8
	ds_bpermute_b32 v7, v5, v6
	s_waitcnt lgkmcnt(0)
	s_and_saveexec_b64 s[2:3], s[0:1]
	s_cbranch_execz .LBB48_8
; %bb.7:
	v_add_f32_e32 v2, v6, v7
	v_lshrrev_b32_e32 v6, 4, v0
	v_and_b32_e32 v6, 28, v6
	ds_write_b32 v6, v2
.LBB48_8:
	s_or_b64 exec, exec, s[2:3]
	v_cmp_gt_u32_e64 s[0:1], 8, v0
	v_mov_b32_e32 v2, 0
	s_waitcnt lgkmcnt(0)
	s_barrier
	s_and_saveexec_b64 s[2:3], s[0:1]
	s_cbranch_execnz .LBB48_12
; %bb.9:
	s_or_b64 exec, exec, s[2:3]
	s_and_saveexec_b64 s[0:1], vcc
	s_cbranch_execnz .LBB48_13
.LBB48_10:
	s_or_b64 exec, exec, s[0:1]
	v_cmp_eq_u32_e32 vcc, 0, v0
	s_and_saveexec_b64 s[0:1], vcc
	s_cbranch_execnz .LBB48_14
.LBB48_11:
	s_endpgm
.LBB48_12:
	ds_read_b32 v2, v1
	s_or_b64 exec, exec, s[2:3]
	s_and_saveexec_b64 s[0:1], vcc
	s_cbranch_execz .LBB48_10
.LBB48_13:
	s_waitcnt lgkmcnt(0)
	ds_bpermute_b32 v1, v3, v2
	s_waitcnt lgkmcnt(0)
	v_add_f32_e32 v1, v2, v1
	ds_bpermute_b32 v2, v4, v1
	s_waitcnt lgkmcnt(0)
	v_add_f32_e32 v1, v1, v2
	;; [unrolled: 3-line block ×3, first 2 shown]
	s_or_b64 exec, exec, s[0:1]
	v_cmp_eq_u32_e32 vcc, 0, v0
	s_and_saveexec_b64 s[0:1], vcc
	s_cbranch_execz .LBB48_11
.LBB48_14:
	s_cmp_lg_u32 s18, 1
	s_cbranch_scc0 .LBB48_16
; %bb.15:
	s_mul_hi_u32 s1, s18, s12
	s_mul_i32 s0, s18, s12
	s_lshl_b64 s[0:1], s[0:1], 2
	s_mov_b32 s7, 0
	s_add_u32 s2, s8, s0
	s_addc_u32 s3, s9, s1
	s_lshl_b64 s[0:1], s[6:7], 2
	s_add_u32 s0, s2, s0
	s_addc_u32 s1, s3, s1
	s_cbranch_execz .LBB48_17
	s_branch .LBB48_18
.LBB48_16:
                                        ; implicit-def: $sgpr0_sgpr1
.LBB48_17:
	s_lshl_b64 s[0:1], s[12:13], 2
	s_add_u32 s0, s10, s0
	s_addc_u32 s1, s11, s1
.LBB48_18:
	v_mov_b32_e32 v0, 0
	s_waitcnt lgkmcnt(0)
	global_store_dword v0, v2, s[0:1]
	s_endpgm
	.section	.rodata,"a",@progbits
	.p2align	6, 0x0
	.amdhsa_kernel _ZL18rocblas_dot_kernelIiLb0ELi512ELi4ELb0EfPKffEviT5_lT_lS2_lS3_liPT6_PT4_
		.amdhsa_group_segment_fixed_size 256
		.amdhsa_private_segment_fixed_size 0
		.amdhsa_kernarg_size 352
		.amdhsa_user_sgpr_count 6
		.amdhsa_user_sgpr_private_segment_buffer 1
		.amdhsa_user_sgpr_dispatch_ptr 0
		.amdhsa_user_sgpr_queue_ptr 0
		.amdhsa_user_sgpr_kernarg_segment_ptr 1
		.amdhsa_user_sgpr_dispatch_id 0
		.amdhsa_user_sgpr_flat_scratch_init 0
		.amdhsa_user_sgpr_kernarg_preload_length 0
		.amdhsa_user_sgpr_kernarg_preload_offset 0
		.amdhsa_user_sgpr_private_segment_size 0
		.amdhsa_uses_dynamic_stack 0
		.amdhsa_system_sgpr_private_segment_wavefront_offset 0
		.amdhsa_system_sgpr_workgroup_id_x 1
		.amdhsa_system_sgpr_workgroup_id_y 0
		.amdhsa_system_sgpr_workgroup_id_z 1
		.amdhsa_system_sgpr_workgroup_info 0
		.amdhsa_system_vgpr_workitem_id 0
		.amdhsa_next_free_vgpr 11
		.amdhsa_next_free_sgpr 28
		.amdhsa_accum_offset 12
		.amdhsa_reserve_vcc 1
		.amdhsa_reserve_flat_scratch 0
		.amdhsa_float_round_mode_32 0
		.amdhsa_float_round_mode_16_64 0
		.amdhsa_float_denorm_mode_32 3
		.amdhsa_float_denorm_mode_16_64 3
		.amdhsa_dx10_clamp 1
		.amdhsa_ieee_mode 1
		.amdhsa_fp16_overflow 0
		.amdhsa_tg_split 0
		.amdhsa_exception_fp_ieee_invalid_op 0
		.amdhsa_exception_fp_denorm_src 0
		.amdhsa_exception_fp_ieee_div_zero 0
		.amdhsa_exception_fp_ieee_overflow 0
		.amdhsa_exception_fp_ieee_underflow 0
		.amdhsa_exception_fp_ieee_inexact 0
		.amdhsa_exception_int_div_zero 0
	.end_amdhsa_kernel
	.section	.text._ZL18rocblas_dot_kernelIiLb0ELi512ELi4ELb0EfPKffEviT5_lT_lS2_lS3_liPT6_PT4_,"axG",@progbits,_ZL18rocblas_dot_kernelIiLb0ELi512ELi4ELb0EfPKffEviT5_lT_lS2_lS3_liPT6_PT4_,comdat
.Lfunc_end48:
	.size	_ZL18rocblas_dot_kernelIiLb0ELi512ELi4ELb0EfPKffEviT5_lT_lS2_lS3_liPT6_PT4_, .Lfunc_end48-_ZL18rocblas_dot_kernelIiLb0ELi512ELi4ELb0EfPKffEviT5_lT_lS2_lS3_liPT6_PT4_
                                        ; -- End function
	.section	.AMDGPU.csdata,"",@progbits
; Kernel info:
; codeLenInByte = 992
; NumSgprs: 32
; NumVgprs: 11
; NumAgprs: 0
; TotalNumVgprs: 11
; ScratchSize: 0
; MemoryBound: 0
; FloatMode: 240
; IeeeMode: 1
; LDSByteSize: 256 bytes/workgroup (compile time only)
; SGPRBlocks: 3
; VGPRBlocks: 1
; NumSGPRsForWavesPerEU: 32
; NumVGPRsForWavesPerEU: 11
; AccumOffset: 12
; Occupancy: 8
; WaveLimiterHint : 0
; COMPUTE_PGM_RSRC2:SCRATCH_EN: 0
; COMPUTE_PGM_RSRC2:USER_SGPR: 6
; COMPUTE_PGM_RSRC2:TRAP_HANDLER: 0
; COMPUTE_PGM_RSRC2:TGID_X_EN: 1
; COMPUTE_PGM_RSRC2:TGID_Y_EN: 0
; COMPUTE_PGM_RSRC2:TGID_Z_EN: 1
; COMPUTE_PGM_RSRC2:TIDIG_COMP_CNT: 0
; COMPUTE_PGM_RSRC3_GFX90A:ACCUM_OFFSET: 2
; COMPUTE_PGM_RSRC3_GFX90A:TG_SPLIT: 0
	.section	.text._ZL24rocblas_dot_kernel_magsqIiLb0ELi512ELi4ELb0EfPKffEviT5_lT_liPT6_PT4_,"axG",@progbits,_ZL24rocblas_dot_kernel_magsqIiLb0ELi512ELi4ELb0EfPKffEviT5_lT_liPT6_PT4_,comdat
	.globl	_ZL24rocblas_dot_kernel_magsqIiLb0ELi512ELi4ELb0EfPKffEviT5_lT_liPT6_PT4_ ; -- Begin function _ZL24rocblas_dot_kernel_magsqIiLb0ELi512ELi4ELb0EfPKffEviT5_lT_liPT6_PT4_
	.p2align	8
	.type	_ZL24rocblas_dot_kernel_magsqIiLb0ELi512ELi4ELb0EfPKffEviT5_lT_liPT6_PT4_,@function
_ZL24rocblas_dot_kernel_magsqIiLb0ELi512ELi4ELb0EfPKffEviT5_lT_liPT6_PT4_: ; @_ZL24rocblas_dot_kernel_magsqIiLb0ELi512ELi4ELb0EfPKffEviT5_lT_liPT6_PT4_
; %bb.0:
	s_mov_b32 s2, s7
	s_load_dword s7, s[4:5], 0x0
	s_load_dwordx4 s[8:11], s[4:5], 0x30
	s_load_dword s16, s[4:5], 0x40
	v_lshl_or_b32 v2, s6, 9, v0
	s_mov_b32 s3, 0
	s_waitcnt lgkmcnt(0)
	v_cmp_gt_i32_e32 vcc, s7, v2
	v_mov_b32_e32 v1, 0
	s_and_saveexec_b64 s[12:13], vcc
	s_cbranch_execz .LBB49_4
; %bb.1:
	s_load_dwordx4 s[20:23], s[4:5], 0x8
	s_load_dword s14, s[4:5], 0x18
	s_load_dwordx2 s[0:1], s[4:5], 0x20
	s_lshl_b32 s17, s16, 9
	v_add_u32_e32 v4, s17, v2
	s_waitcnt lgkmcnt(0)
	v_mad_i64_i32 v[2:3], s[4:5], s14, v2, 0
	s_mul_i32 s1, s1, s2
	s_mul_hi_u32 s4, s0, s2
	s_add_i32 s1, s4, s1
	s_mul_i32 s0, s0, s2
	s_lshl_b64 s[0:1], s[0:1], 2
	s_lshl_b64 s[4:5], s[22:23], 2
	s_add_u32 s4, s20, s4
	s_addc_u32 s5, s21, s5
	s_add_u32 s0, s4, s0
	v_lshlrev_b64 v[2:3], 2, v[2:3]
	s_addc_u32 s1, s5, s1
	v_mov_b32_e32 v1, s1
	v_add_co_u32_e32 v2, vcc, s0, v2
	s_mul_hi_i32 s1, s14, s17
	s_mul_i32 s0, s14, s17
	s_lshl_b64 s[14:15], s[0:1], 2
	v_addc_co_u32_e32 v3, vcc, v1, v3, vcc
	s_mov_b64 s[4:5], 0
	v_mov_b32_e32 v1, 0
	v_mov_b32_e32 v5, s15
	s_mov_b32 s15, s3
.LBB49_2:                               ; =>This Inner Loop Header: Depth=1
	global_load_dword v6, v[2:3], off
	s_add_i32 s18, s15, 1
	v_add_co_u32_e64 v2, s[0:1], s14, v2
	v_addc_co_u32_e64 v3, s[0:1], v3, v5, s[0:1]
	s_cmp_gt_u32 s15, 2
	v_cmp_le_i32_e32 vcc, s7, v4
	s_cselect_b64 s[0:1], -1, 0
	s_or_b64 s[0:1], s[0:1], vcc
	s_and_b64 s[0:1], exec, s[0:1]
	v_add_u32_e32 v4, s17, v4
	s_mov_b32 s15, s18
	s_or_b64 s[4:5], s[0:1], s[4:5]
	s_waitcnt vmcnt(0)
	v_fmac_f32_e32 v1, v6, v6
	s_andn2_b64 exec, exec, s[4:5]
	s_cbranch_execnz .LBB49_2
; %bb.3:
	s_or_b64 exec, exec, s[4:5]
.LBB49_4:
	s_or_b64 exec, exec, s[12:13]
	v_and_b32_e32 v3, 63, v0
	v_cmp_gt_u32_e32 vcc, 64, v0
	v_lshlrev_b32_e32 v2, 2, v3
	s_and_saveexec_b64 s[0:1], vcc
	s_cbranch_execz .LBB49_6
; %bb.5:
	v_mov_b32_e32 v4, 0
	ds_write_b32 v2, v4
.LBB49_6:
	s_or_b64 exec, exec, s[0:1]
	v_mbcnt_lo_u32_b32 v4, -1, 0
	v_mbcnt_hi_u32_b32 v6, -1, v4
	v_and_b32_e32 v7, 63, v6
	v_cmp_gt_u32_e64 s[0:1], 32, v7
	v_cndmask_b32_e64 v4, 0, 1, s[0:1]
	v_lshlrev_b32_e32 v4, 5, v4
	v_add_lshl_u32 v4, v4, v6, 2
	ds_bpermute_b32 v4, v4, v1
	v_cmp_gt_u32_e64 s[0:1], 48, v7
	v_cndmask_b32_e64 v5, 0, 1, s[0:1]
	v_lshlrev_b32_e32 v5, 4, v5
	v_cmp_gt_u32_e64 s[0:1], 56, v7
	s_waitcnt lgkmcnt(0)
	v_add_f32_e32 v1, v1, v4
	v_add_lshl_u32 v4, v5, v6, 2
	ds_bpermute_b32 v4, v4, v1
	v_cndmask_b32_e64 v5, 0, 1, s[0:1]
	v_lshlrev_b32_e32 v5, 3, v5
	v_cmp_gt_u32_e64 s[0:1], 60, v7
	s_waitcnt lgkmcnt(0)
	v_add_f32_e32 v1, v1, v4
	v_add_lshl_u32 v4, v5, v6, 2
	ds_bpermute_b32 v4, v4, v1
	v_cndmask_b32_e64 v5, 0, 1, s[0:1]
	v_lshlrev_b32_e32 v5, 2, v5
	v_cmp_gt_u32_e64 s[0:1], 62, v7
	v_cndmask_b32_e64 v8, 0, 1, s[0:1]
	s_waitcnt lgkmcnt(0)
	v_add_f32_e32 v1, v1, v4
	v_add_lshl_u32 v4, v5, v6, 2
	ds_bpermute_b32 v5, v4, v1
	v_lshlrev_b32_e32 v8, 1, v8
	v_cmp_ne_u32_e64 s[0:1], 63, v7
	s_barrier
	s_waitcnt lgkmcnt(0)
	v_add_f32_e32 v1, v1, v5
	v_add_lshl_u32 v5, v8, v6, 2
	ds_bpermute_b32 v8, v5, v1
	v_addc_co_u32_e64 v6, s[0:1], 0, v6, s[0:1]
	v_lshlrev_b32_e32 v6, 2, v6
	v_cmp_eq_u32_e64 s[0:1], 0, v3
	s_waitcnt lgkmcnt(0)
	v_add_f32_e32 v1, v1, v8
	ds_bpermute_b32 v7, v6, v1
	s_and_saveexec_b64 s[4:5], s[0:1]
	s_cbranch_execz .LBB49_8
; %bb.7:
	v_lshrrev_b32_e32 v3, 4, v0
	s_waitcnt lgkmcnt(0)
	v_add_f32_e32 v1, v1, v7
	v_and_b32_e32 v3, 28, v3
	ds_write_b32 v3, v1
.LBB49_8:
	s_or_b64 exec, exec, s[4:5]
	v_cmp_gt_u32_e64 s[0:1], 8, v0
	v_mov_b32_e32 v1, 0
	s_waitcnt lgkmcnt(0)
	s_barrier
	s_and_saveexec_b64 s[4:5], s[0:1]
	s_cbranch_execnz .LBB49_12
; %bb.9:
	s_or_b64 exec, exec, s[4:5]
	s_and_saveexec_b64 s[0:1], vcc
	s_cbranch_execnz .LBB49_13
.LBB49_10:
	s_or_b64 exec, exec, s[0:1]
	v_cmp_eq_u32_e32 vcc, 0, v0
	s_and_saveexec_b64 s[0:1], vcc
	s_cbranch_execnz .LBB49_14
.LBB49_11:
	s_endpgm
.LBB49_12:
	ds_read_b32 v1, v2
	s_or_b64 exec, exec, s[4:5]
	s_and_saveexec_b64 s[0:1], vcc
	s_cbranch_execz .LBB49_10
.LBB49_13:
	s_waitcnt lgkmcnt(0)
	ds_bpermute_b32 v2, v4, v1
	s_waitcnt lgkmcnt(0)
	v_add_f32_e32 v1, v1, v2
	ds_bpermute_b32 v2, v5, v1
	s_waitcnt lgkmcnt(0)
	v_add_f32_e32 v1, v1, v2
	;; [unrolled: 3-line block ×3, first 2 shown]
	s_or_b64 exec, exec, s[0:1]
	v_cmp_eq_u32_e32 vcc, 0, v0
	s_and_saveexec_b64 s[0:1], vcc
	s_cbranch_execz .LBB49_11
.LBB49_14:
	s_cmp_lg_u32 s16, 1
	s_cbranch_scc0 .LBB49_16
; %bb.15:
	s_mul_hi_u32 s1, s16, s2
	s_mul_i32 s0, s16, s2
	s_lshl_b64 s[0:1], s[0:1], 2
	s_mov_b32 s7, 0
	s_add_u32 s4, s8, s0
	s_addc_u32 s5, s9, s1
	s_lshl_b64 s[0:1], s[6:7], 2
	s_add_u32 s0, s4, s0
	s_addc_u32 s1, s5, s1
	s_cbranch_execz .LBB49_17
	s_branch .LBB49_18
.LBB49_16:
                                        ; implicit-def: $sgpr0_sgpr1
.LBB49_17:
	s_lshl_b64 s[0:1], s[2:3], 2
	s_add_u32 s0, s10, s0
	s_addc_u32 s1, s11, s1
.LBB49_18:
	v_mov_b32_e32 v0, 0
	s_waitcnt lgkmcnt(0)
	global_store_dword v0, v1, s[0:1]
	s_endpgm
	.section	.rodata,"a",@progbits
	.p2align	6, 0x0
	.amdhsa_kernel _ZL24rocblas_dot_kernel_magsqIiLb0ELi512ELi4ELb0EfPKffEviT5_lT_liPT6_PT4_
		.amdhsa_group_segment_fixed_size 256
		.amdhsa_private_segment_fixed_size 0
		.amdhsa_kernarg_size 320
		.amdhsa_user_sgpr_count 6
		.amdhsa_user_sgpr_private_segment_buffer 1
		.amdhsa_user_sgpr_dispatch_ptr 0
		.amdhsa_user_sgpr_queue_ptr 0
		.amdhsa_user_sgpr_kernarg_segment_ptr 1
		.amdhsa_user_sgpr_dispatch_id 0
		.amdhsa_user_sgpr_flat_scratch_init 0
		.amdhsa_user_sgpr_kernarg_preload_length 0
		.amdhsa_user_sgpr_kernarg_preload_offset 0
		.amdhsa_user_sgpr_private_segment_size 0
		.amdhsa_uses_dynamic_stack 0
		.amdhsa_system_sgpr_private_segment_wavefront_offset 0
		.amdhsa_system_sgpr_workgroup_id_x 1
		.amdhsa_system_sgpr_workgroup_id_y 0
		.amdhsa_system_sgpr_workgroup_id_z 1
		.amdhsa_system_sgpr_workgroup_info 0
		.amdhsa_system_vgpr_workitem_id 0
		.amdhsa_next_free_vgpr 9
		.amdhsa_next_free_sgpr 24
		.amdhsa_accum_offset 12
		.amdhsa_reserve_vcc 1
		.amdhsa_reserve_flat_scratch 0
		.amdhsa_float_round_mode_32 0
		.amdhsa_float_round_mode_16_64 0
		.amdhsa_float_denorm_mode_32 3
		.amdhsa_float_denorm_mode_16_64 3
		.amdhsa_dx10_clamp 1
		.amdhsa_ieee_mode 1
		.amdhsa_fp16_overflow 0
		.amdhsa_tg_split 0
		.amdhsa_exception_fp_ieee_invalid_op 0
		.amdhsa_exception_fp_denorm_src 0
		.amdhsa_exception_fp_ieee_div_zero 0
		.amdhsa_exception_fp_ieee_overflow 0
		.amdhsa_exception_fp_ieee_underflow 0
		.amdhsa_exception_fp_ieee_inexact 0
		.amdhsa_exception_int_div_zero 0
	.end_amdhsa_kernel
	.section	.text._ZL24rocblas_dot_kernel_magsqIiLb0ELi512ELi4ELb0EfPKffEviT5_lT_liPT6_PT4_,"axG",@progbits,_ZL24rocblas_dot_kernel_magsqIiLb0ELi512ELi4ELb0EfPKffEviT5_lT_liPT6_PT4_,comdat
.Lfunc_end49:
	.size	_ZL24rocblas_dot_kernel_magsqIiLb0ELi512ELi4ELb0EfPKffEviT5_lT_liPT6_PT4_, .Lfunc_end49-_ZL24rocblas_dot_kernel_magsqIiLb0ELi512ELi4ELb0EfPKffEviT5_lT_liPT6_PT4_
                                        ; -- End function
	.section	.AMDGPU.csdata,"",@progbits
; Kernel info:
; codeLenInByte = 860
; NumSgprs: 28
; NumVgprs: 9
; NumAgprs: 0
; TotalNumVgprs: 9
; ScratchSize: 0
; MemoryBound: 0
; FloatMode: 240
; IeeeMode: 1
; LDSByteSize: 256 bytes/workgroup (compile time only)
; SGPRBlocks: 3
; VGPRBlocks: 1
; NumSGPRsForWavesPerEU: 28
; NumVGPRsForWavesPerEU: 9
; AccumOffset: 12
; Occupancy: 8
; WaveLimiterHint : 0
; COMPUTE_PGM_RSRC2:SCRATCH_EN: 0
; COMPUTE_PGM_RSRC2:USER_SGPR: 6
; COMPUTE_PGM_RSRC2:TRAP_HANDLER: 0
; COMPUTE_PGM_RSRC2:TGID_X_EN: 1
; COMPUTE_PGM_RSRC2:TGID_Y_EN: 0
; COMPUTE_PGM_RSRC2:TGID_Z_EN: 1
; COMPUTE_PGM_RSRC2:TIDIG_COMP_CNT: 0
; COMPUTE_PGM_RSRC3_GFX90A:ACCUM_OFFSET: 2
; COMPUTE_PGM_RSRC3_GFX90A:TG_SPLIT: 0
	.section	.text._ZL28rocblas_dot_batched_4_kernelIlLi32ELi4ELb0EffPKfEviT5_lT_lS2_lS3_liPT4_,"axG",@progbits,_ZL28rocblas_dot_batched_4_kernelIlLi32ELi4ELb0EffPKfEviT5_lT_lS2_lS3_liPT4_,comdat
	.globl	_ZL28rocblas_dot_batched_4_kernelIlLi32ELi4ELb0EffPKfEviT5_lT_lS2_lS3_liPT4_ ; -- Begin function _ZL28rocblas_dot_batched_4_kernelIlLi32ELi4ELb0EffPKfEviT5_lT_lS2_lS3_liPT4_
	.p2align	8
	.type	_ZL28rocblas_dot_batched_4_kernelIlLi32ELi4ELb0EffPKfEviT5_lT_lS2_lS3_liPT4_,@function
_ZL28rocblas_dot_batched_4_kernelIlLi32ELi4ELb0EffPKfEviT5_lT_lS2_lS3_liPT4_: ; @_ZL28rocblas_dot_batched_4_kernelIlLi32ELi4ELb0EffPKfEviT5_lT_lS2_lS3_liPT4_
; %bb.0:
	s_load_dword s0, s[4:5], 0x48
	v_bfe_u32 v1, v0, 10, 10
	v_lshl_add_u32 v2, s6, 2, v1
	s_waitcnt lgkmcnt(0)
	v_cmp_gt_u32_e32 vcc, s0, v2
	s_and_saveexec_b64 s[0:1], vcc
	s_cbranch_execz .LBB50_7
; %bb.1:
	s_load_dword s16, s[4:5], 0x0
	s_load_dwordx2 s[0:1], s[4:5], 0x50
	v_mov_b32_e32 v3, 0
	v_and_b32_e32 v6, 0x3ff, v0
	v_mov_b32_e32 v7, v3
	s_waitcnt lgkmcnt(0)
	v_cmp_gt_i32_e32 vcc, s16, v6
	s_and_saveexec_b64 s[2:3], vcc
	s_cbranch_execz .LBB50_5
; %bb.2:
	s_load_dwordx4 s[20:23], s[4:5], 0x10
	s_load_dwordx2 s[6:7], s[4:5], 0x8
	s_load_dwordx8 s[8:15], s[4:5], 0x20
	s_load_dwordx2 s[18:19], s[4:5], 0x40
	s_waitcnt lgkmcnt(0)
	v_mad_u64_u32 v[0:1], s[4:5], s22, v6, 0
	v_mov_b32_e32 v4, v1
	v_mad_u64_u32 v[4:5], s[4:5], s23, v6, v[4:5]
	v_mov_b32_e32 v1, v4
	;; [unrolled: 2-line block ×4, first 2 shown]
	v_lshlrev_b64 v[0:1], 2, v[0:1]
	v_lshlrev_b64 v[4:5], 2, v[4:5]
	s_lshl_b64 s[4:5], s[20:21], 2
	v_add_co_u32_e32 v0, vcc, v0, v4
	s_add_u32 s4, s6, s4
	v_addc_co_u32_e32 v1, vcc, v1, v5, vcc
	s_addc_u32 s5, s7, s5
	v_mov_b32_e32 v4, s5
	v_add_co_u32_e32 v0, vcc, s4, v0
	v_addc_co_u32_e32 v1, vcc, v4, v1, vcc
	v_mad_u64_u32 v[4:5], s[6:7], s14, v6, 0
	v_mov_b32_e32 v8, v5
	v_mad_u64_u32 v[8:9], s[6:7], s15, v6, v[8:9]
	v_mov_b32_e32 v5, v8
	;; [unrolled: 2-line block ×4, first 2 shown]
	s_lshl_b64 s[4:5], s[22:23], 7
	v_lshlrev_b64 v[4:5], 2, v[4:5]
	v_lshlrev_b64 v[8:9], 2, v[8:9]
	s_lshl_b64 s[6:7], s[12:13], 2
	v_add_co_u32_e32 v4, vcc, v4, v8
	s_add_u32 s6, s10, s6
	v_addc_co_u32_e32 v5, vcc, v5, v9, vcc
	s_addc_u32 s7, s11, s7
	v_mov_b32_e32 v7, s7
	v_add_co_u32_e32 v4, vcc, s6, v4
	s_lshl_b64 s[8:9], s[14:15], 7
	v_addc_co_u32_e32 v5, vcc, v7, v5, vcc
	s_mov_b64 s[6:7], 0
	v_mov_b32_e32 v7, 0
	v_mov_b32_e32 v8, s5
	;; [unrolled: 1-line block ×4, first 2 shown]
.LBB50_3:                               ; =>This Inner Loop Header: Depth=1
	global_load_dword v11, v[0:1], off
	global_load_dword v12, v[4:5], off
	v_add_co_u32_e32 v0, vcc, s4, v0
	v_addc_co_u32_e32 v1, vcc, v1, v8, vcc
	v_add_co_u32_e32 v4, vcc, s8, v4
	v_add_u32_e32 v10, 32, v10
	v_addc_co_u32_e32 v5, vcc, v5, v9, vcc
	v_cmp_le_i32_e32 vcc, s16, v10
	s_or_b64 s[6:7], vcc, s[6:7]
	s_waitcnt vmcnt(0)
	v_fmac_f32_e32 v7, v11, v12
	s_andn2_b64 exec, exec, s[6:7]
	s_cbranch_execnz .LBB50_3
; %bb.4:
	s_or_b64 exec, exec, s[6:7]
.LBB50_5:
	s_or_b64 exec, exec, s[2:3]
	v_mbcnt_lo_u32_b32 v0, -1, 0
	v_mbcnt_hi_u32_b32 v0, -1, v0
	v_and_b32_e32 v1, 63, v0
	v_cmp_gt_u32_e32 vcc, 48, v1
	v_cndmask_b32_e64 v4, 0, 1, vcc
	v_lshlrev_b32_e32 v4, 4, v4
	v_add_lshl_u32 v4, v4, v0, 2
	ds_bpermute_b32 v4, v4, v7
	v_cmp_gt_u32_e32 vcc, 56, v1
	v_cndmask_b32_e64 v5, 0, 1, vcc
	v_lshlrev_b32_e32 v5, 3, v5
	v_add_lshl_u32 v5, v5, v0, 2
	s_waitcnt lgkmcnt(0)
	v_add_f32_e32 v4, v7, v4
	ds_bpermute_b32 v5, v5, v4
	v_cmp_gt_u32_e32 vcc, 60, v1
	v_cndmask_b32_e64 v7, 0, 1, vcc
	v_lshlrev_b32_e32 v7, 2, v7
	v_cmp_gt_u32_e32 vcc, 62, v1
	s_waitcnt lgkmcnt(0)
	v_add_f32_e32 v4, v4, v5
	v_add_lshl_u32 v5, v7, v0, 2
	ds_bpermute_b32 v5, v5, v4
	v_cndmask_b32_e64 v7, 0, 1, vcc
	v_lshlrev_b32_e32 v7, 1, v7
	v_cmp_ne_u32_e32 vcc, 63, v1
	v_addc_co_u32_e32 v1, vcc, 0, v0, vcc
	s_waitcnt lgkmcnt(0)
	v_add_f32_e32 v4, v4, v5
	v_add_lshl_u32 v5, v7, v0, 2
	ds_bpermute_b32 v5, v5, v4
	v_lshlrev_b32_e32 v1, 2, v1
	v_cmp_eq_u32_e32 vcc, 0, v6
	s_waitcnt lgkmcnt(0)
	s_barrier
	v_add_f32_e32 v0, v4, v5
	ds_bpermute_b32 v1, v1, v0
	s_waitcnt lgkmcnt(0)
	s_and_b64 exec, exec, vcc
	s_cbranch_execz .LBB50_7
; %bb.6:
	v_lshlrev_b64 v[2:3], 2, v[2:3]
	v_mov_b32_e32 v4, s1
	v_add_co_u32_e32 v2, vcc, s0, v2
	v_addc_co_u32_e32 v3, vcc, v4, v3, vcc
	v_add_f32_e32 v0, v0, v1
	global_store_dword v[2:3], v0, off
.LBB50_7:
	s_endpgm
	.section	.rodata,"a",@progbits
	.p2align	6, 0x0
	.amdhsa_kernel _ZL28rocblas_dot_batched_4_kernelIlLi32ELi4ELb0EffPKfEviT5_lT_lS2_lS3_liPT4_
		.amdhsa_group_segment_fixed_size 0
		.amdhsa_private_segment_fixed_size 0
		.amdhsa_kernarg_size 88
		.amdhsa_user_sgpr_count 6
		.amdhsa_user_sgpr_private_segment_buffer 1
		.amdhsa_user_sgpr_dispatch_ptr 0
		.amdhsa_user_sgpr_queue_ptr 0
		.amdhsa_user_sgpr_kernarg_segment_ptr 1
		.amdhsa_user_sgpr_dispatch_id 0
		.amdhsa_user_sgpr_flat_scratch_init 0
		.amdhsa_user_sgpr_kernarg_preload_length 0
		.amdhsa_user_sgpr_kernarg_preload_offset 0
		.amdhsa_user_sgpr_private_segment_size 0
		.amdhsa_uses_dynamic_stack 0
		.amdhsa_system_sgpr_private_segment_wavefront_offset 0
		.amdhsa_system_sgpr_workgroup_id_x 1
		.amdhsa_system_sgpr_workgroup_id_y 0
		.amdhsa_system_sgpr_workgroup_id_z 0
		.amdhsa_system_sgpr_workgroup_info 0
		.amdhsa_system_vgpr_workitem_id 1
		.amdhsa_next_free_vgpr 13
		.amdhsa_next_free_sgpr 24
		.amdhsa_accum_offset 16
		.amdhsa_reserve_vcc 1
		.amdhsa_reserve_flat_scratch 0
		.amdhsa_float_round_mode_32 0
		.amdhsa_float_round_mode_16_64 0
		.amdhsa_float_denorm_mode_32 3
		.amdhsa_float_denorm_mode_16_64 3
		.amdhsa_dx10_clamp 1
		.amdhsa_ieee_mode 1
		.amdhsa_fp16_overflow 0
		.amdhsa_tg_split 0
		.amdhsa_exception_fp_ieee_invalid_op 0
		.amdhsa_exception_fp_denorm_src 0
		.amdhsa_exception_fp_ieee_div_zero 0
		.amdhsa_exception_fp_ieee_overflow 0
		.amdhsa_exception_fp_ieee_underflow 0
		.amdhsa_exception_fp_ieee_inexact 0
		.amdhsa_exception_int_div_zero 0
	.end_amdhsa_kernel
	.section	.text._ZL28rocblas_dot_batched_4_kernelIlLi32ELi4ELb0EffPKfEviT5_lT_lS2_lS3_liPT4_,"axG",@progbits,_ZL28rocblas_dot_batched_4_kernelIlLi32ELi4ELb0EffPKfEviT5_lT_lS2_lS3_liPT4_,comdat
.Lfunc_end50:
	.size	_ZL28rocblas_dot_batched_4_kernelIlLi32ELi4ELb0EffPKfEviT5_lT_lS2_lS3_liPT4_, .Lfunc_end50-_ZL28rocblas_dot_batched_4_kernelIlLi32ELi4ELb0EffPKfEviT5_lT_lS2_lS3_liPT4_
                                        ; -- End function
	.section	.AMDGPU.csdata,"",@progbits
; Kernel info:
; codeLenInByte = 668
; NumSgprs: 28
; NumVgprs: 13
; NumAgprs: 0
; TotalNumVgprs: 13
; ScratchSize: 0
; MemoryBound: 0
; FloatMode: 240
; IeeeMode: 1
; LDSByteSize: 0 bytes/workgroup (compile time only)
; SGPRBlocks: 3
; VGPRBlocks: 1
; NumSGPRsForWavesPerEU: 28
; NumVGPRsForWavesPerEU: 13
; AccumOffset: 16
; Occupancy: 8
; WaveLimiterHint : 0
; COMPUTE_PGM_RSRC2:SCRATCH_EN: 0
; COMPUTE_PGM_RSRC2:USER_SGPR: 6
; COMPUTE_PGM_RSRC2:TRAP_HANDLER: 0
; COMPUTE_PGM_RSRC2:TGID_X_EN: 1
; COMPUTE_PGM_RSRC2:TGID_Y_EN: 0
; COMPUTE_PGM_RSRC2:TGID_Z_EN: 0
; COMPUTE_PGM_RSRC2:TIDIG_COMP_CNT: 1
; COMPUTE_PGM_RSRC3_GFX90A:ACCUM_OFFSET: 3
; COMPUTE_PGM_RSRC3_GFX90A:TG_SPLIT: 0
	.section	.text._ZL28rocblas_dot_batched_4_kernelIlLi64ELi4ELb0EffPKfEviT5_lT_lS2_lS3_liPT4_,"axG",@progbits,_ZL28rocblas_dot_batched_4_kernelIlLi64ELi4ELb0EffPKfEviT5_lT_lS2_lS3_liPT4_,comdat
	.globl	_ZL28rocblas_dot_batched_4_kernelIlLi64ELi4ELb0EffPKfEviT5_lT_lS2_lS3_liPT4_ ; -- Begin function _ZL28rocblas_dot_batched_4_kernelIlLi64ELi4ELb0EffPKfEviT5_lT_lS2_lS3_liPT4_
	.p2align	8
	.type	_ZL28rocblas_dot_batched_4_kernelIlLi64ELi4ELb0EffPKfEviT5_lT_lS2_lS3_liPT4_,@function
_ZL28rocblas_dot_batched_4_kernelIlLi64ELi4ELb0EffPKfEviT5_lT_lS2_lS3_liPT4_: ; @_ZL28rocblas_dot_batched_4_kernelIlLi64ELi4ELb0EffPKfEviT5_lT_lS2_lS3_liPT4_
; %bb.0:
	s_load_dword s0, s[4:5], 0x48
	v_bfe_u32 v1, v0, 10, 10
	v_lshl_add_u32 v2, s6, 2, v1
	s_waitcnt lgkmcnt(0)
	v_cmp_gt_u32_e32 vcc, s0, v2
	s_and_saveexec_b64 s[0:1], vcc
	s_cbranch_execz .LBB51_7
; %bb.1:
	s_load_dword s16, s[4:5], 0x0
	s_load_dwordx2 s[0:1], s[4:5], 0x50
	v_mov_b32_e32 v3, 0
	v_and_b32_e32 v6, 0x3ff, v0
	v_mov_b32_e32 v7, v3
	s_waitcnt lgkmcnt(0)
	v_cmp_gt_i32_e32 vcc, s16, v6
	s_and_saveexec_b64 s[2:3], vcc
	s_cbranch_execz .LBB51_5
; %bb.2:
	s_load_dwordx4 s[20:23], s[4:5], 0x10
	s_load_dwordx2 s[6:7], s[4:5], 0x8
	s_load_dwordx8 s[8:15], s[4:5], 0x20
	s_load_dwordx2 s[18:19], s[4:5], 0x40
	s_waitcnt lgkmcnt(0)
	v_mad_u64_u32 v[0:1], s[4:5], s22, v6, 0
	v_mov_b32_e32 v4, v1
	v_mad_u64_u32 v[4:5], s[4:5], s23, v6, v[4:5]
	v_mov_b32_e32 v1, v4
	;; [unrolled: 2-line block ×4, first 2 shown]
	v_lshlrev_b64 v[0:1], 2, v[0:1]
	v_lshlrev_b64 v[4:5], 2, v[4:5]
	s_lshl_b64 s[4:5], s[20:21], 2
	v_add_co_u32_e32 v0, vcc, v0, v4
	s_add_u32 s4, s6, s4
	v_addc_co_u32_e32 v1, vcc, v1, v5, vcc
	s_addc_u32 s5, s7, s5
	v_mov_b32_e32 v4, s5
	v_add_co_u32_e32 v0, vcc, s4, v0
	v_addc_co_u32_e32 v1, vcc, v4, v1, vcc
	v_mad_u64_u32 v[4:5], s[6:7], s14, v6, 0
	v_mov_b32_e32 v8, v5
	v_mad_u64_u32 v[8:9], s[6:7], s15, v6, v[8:9]
	v_mov_b32_e32 v5, v8
	;; [unrolled: 2-line block ×4, first 2 shown]
	s_lshl_b64 s[4:5], s[22:23], 8
	v_lshlrev_b64 v[4:5], 2, v[4:5]
	v_lshlrev_b64 v[8:9], 2, v[8:9]
	s_lshl_b64 s[6:7], s[12:13], 2
	v_add_co_u32_e32 v4, vcc, v4, v8
	s_add_u32 s6, s10, s6
	v_addc_co_u32_e32 v5, vcc, v5, v9, vcc
	s_addc_u32 s7, s11, s7
	v_mov_b32_e32 v7, s7
	v_add_co_u32_e32 v4, vcc, s6, v4
	s_lshl_b64 s[8:9], s[14:15], 8
	v_addc_co_u32_e32 v5, vcc, v7, v5, vcc
	s_mov_b64 s[6:7], 0
	v_mov_b32_e32 v7, 0
	v_mov_b32_e32 v8, s5
	v_mov_b32_e32 v9, s9
	v_mov_b32_e32 v10, v6
.LBB51_3:                               ; =>This Inner Loop Header: Depth=1
	global_load_dword v11, v[0:1], off
	global_load_dword v12, v[4:5], off
	v_add_co_u32_e32 v0, vcc, s4, v0
	v_addc_co_u32_e32 v1, vcc, v1, v8, vcc
	v_add_co_u32_e32 v4, vcc, s8, v4
	v_add_u32_e32 v10, 64, v10
	v_addc_co_u32_e32 v5, vcc, v5, v9, vcc
	v_cmp_le_i32_e32 vcc, s16, v10
	s_or_b64 s[6:7], vcc, s[6:7]
	s_waitcnt vmcnt(0)
	v_fmac_f32_e32 v7, v11, v12
	s_andn2_b64 exec, exec, s[6:7]
	s_cbranch_execnz .LBB51_3
; %bb.4:
	s_or_b64 exec, exec, s[6:7]
.LBB51_5:
	s_or_b64 exec, exec, s[2:3]
	v_mbcnt_lo_u32_b32 v0, -1, 0
	v_mbcnt_hi_u32_b32 v0, -1, v0
	v_and_b32_e32 v1, 63, v0
	v_cmp_gt_u32_e32 vcc, 32, v1
	v_cndmask_b32_e64 v4, 0, 1, vcc
	v_lshlrev_b32_e32 v4, 5, v4
	v_add_lshl_u32 v4, v4, v0, 2
	ds_bpermute_b32 v4, v4, v7
	v_cmp_gt_u32_e32 vcc, 48, v1
	v_cndmask_b32_e64 v5, 0, 1, vcc
	v_lshlrev_b32_e32 v5, 4, v5
	v_add_lshl_u32 v5, v5, v0, 2
	s_waitcnt lgkmcnt(0)
	v_add_f32_e32 v4, v7, v4
	ds_bpermute_b32 v5, v5, v4
	v_cmp_gt_u32_e32 vcc, 56, v1
	v_cndmask_b32_e64 v7, 0, 1, vcc
	v_lshlrev_b32_e32 v7, 3, v7
	v_cmp_gt_u32_e32 vcc, 60, v1
	s_waitcnt lgkmcnt(0)
	v_add_f32_e32 v4, v4, v5
	v_add_lshl_u32 v5, v7, v0, 2
	ds_bpermute_b32 v5, v5, v4
	v_cndmask_b32_e64 v7, 0, 1, vcc
	v_lshlrev_b32_e32 v7, 2, v7
	v_cmp_gt_u32_e32 vcc, 62, v1
	s_waitcnt lgkmcnt(0)
	v_add_f32_e32 v4, v4, v5
	v_add_lshl_u32 v5, v7, v0, 2
	ds_bpermute_b32 v5, v5, v4
	v_cndmask_b32_e64 v7, 0, 1, vcc
	v_lshlrev_b32_e32 v7, 1, v7
	v_cmp_ne_u32_e32 vcc, 63, v1
	v_addc_co_u32_e32 v1, vcc, 0, v0, vcc
	s_waitcnt lgkmcnt(0)
	v_add_f32_e32 v4, v4, v5
	v_add_lshl_u32 v5, v7, v0, 2
	ds_bpermute_b32 v5, v5, v4
	v_lshlrev_b32_e32 v1, 2, v1
	v_cmp_eq_u32_e32 vcc, 0, v6
	s_barrier
	s_waitcnt lgkmcnt(0)
	v_add_f32_e32 v0, v4, v5
	ds_bpermute_b32 v1, v1, v0
	s_and_b64 exec, exec, vcc
	s_cbranch_execz .LBB51_7
; %bb.6:
	v_lshlrev_b64 v[2:3], 2, v[2:3]
	v_mov_b32_e32 v4, s1
	v_add_co_u32_e32 v2, vcc, s0, v2
	v_addc_co_u32_e32 v3, vcc, v4, v3, vcc
	s_waitcnt lgkmcnt(0)
	v_add_f32_e32 v0, v0, v1
	global_store_dword v[2:3], v0, off
.LBB51_7:
	s_endpgm
	.section	.rodata,"a",@progbits
	.p2align	6, 0x0
	.amdhsa_kernel _ZL28rocblas_dot_batched_4_kernelIlLi64ELi4ELb0EffPKfEviT5_lT_lS2_lS3_liPT4_
		.amdhsa_group_segment_fixed_size 0
		.amdhsa_private_segment_fixed_size 0
		.amdhsa_kernarg_size 88
		.amdhsa_user_sgpr_count 6
		.amdhsa_user_sgpr_private_segment_buffer 1
		.amdhsa_user_sgpr_dispatch_ptr 0
		.amdhsa_user_sgpr_queue_ptr 0
		.amdhsa_user_sgpr_kernarg_segment_ptr 1
		.amdhsa_user_sgpr_dispatch_id 0
		.amdhsa_user_sgpr_flat_scratch_init 0
		.amdhsa_user_sgpr_kernarg_preload_length 0
		.amdhsa_user_sgpr_kernarg_preload_offset 0
		.amdhsa_user_sgpr_private_segment_size 0
		.amdhsa_uses_dynamic_stack 0
		.amdhsa_system_sgpr_private_segment_wavefront_offset 0
		.amdhsa_system_sgpr_workgroup_id_x 1
		.amdhsa_system_sgpr_workgroup_id_y 0
		.amdhsa_system_sgpr_workgroup_id_z 0
		.amdhsa_system_sgpr_workgroup_info 0
		.amdhsa_system_vgpr_workitem_id 1
		.amdhsa_next_free_vgpr 13
		.amdhsa_next_free_sgpr 24
		.amdhsa_accum_offset 16
		.amdhsa_reserve_vcc 1
		.amdhsa_reserve_flat_scratch 0
		.amdhsa_float_round_mode_32 0
		.amdhsa_float_round_mode_16_64 0
		.amdhsa_float_denorm_mode_32 3
		.amdhsa_float_denorm_mode_16_64 3
		.amdhsa_dx10_clamp 1
		.amdhsa_ieee_mode 1
		.amdhsa_fp16_overflow 0
		.amdhsa_tg_split 0
		.amdhsa_exception_fp_ieee_invalid_op 0
		.amdhsa_exception_fp_denorm_src 0
		.amdhsa_exception_fp_ieee_div_zero 0
		.amdhsa_exception_fp_ieee_overflow 0
		.amdhsa_exception_fp_ieee_underflow 0
		.amdhsa_exception_fp_ieee_inexact 0
		.amdhsa_exception_int_div_zero 0
	.end_amdhsa_kernel
	.section	.text._ZL28rocblas_dot_batched_4_kernelIlLi64ELi4ELb0EffPKfEviT5_lT_lS2_lS3_liPT4_,"axG",@progbits,_ZL28rocblas_dot_batched_4_kernelIlLi64ELi4ELb0EffPKfEviT5_lT_lS2_lS3_liPT4_,comdat
.Lfunc_end51:
	.size	_ZL28rocblas_dot_batched_4_kernelIlLi64ELi4ELb0EffPKfEviT5_lT_lS2_lS3_liPT4_, .Lfunc_end51-_ZL28rocblas_dot_batched_4_kernelIlLi64ELi4ELb0EffPKfEviT5_lT_lS2_lS3_liPT4_
                                        ; -- End function
	.section	.AMDGPU.csdata,"",@progbits
; Kernel info:
; codeLenInByte = 708
; NumSgprs: 28
; NumVgprs: 13
; NumAgprs: 0
; TotalNumVgprs: 13
; ScratchSize: 0
; MemoryBound: 0
; FloatMode: 240
; IeeeMode: 1
; LDSByteSize: 0 bytes/workgroup (compile time only)
; SGPRBlocks: 3
; VGPRBlocks: 1
; NumSGPRsForWavesPerEU: 28
; NumVGPRsForWavesPerEU: 13
; AccumOffset: 16
; Occupancy: 8
; WaveLimiterHint : 0
; COMPUTE_PGM_RSRC2:SCRATCH_EN: 0
; COMPUTE_PGM_RSRC2:USER_SGPR: 6
; COMPUTE_PGM_RSRC2:TRAP_HANDLER: 0
; COMPUTE_PGM_RSRC2:TGID_X_EN: 1
; COMPUTE_PGM_RSRC2:TGID_Y_EN: 0
; COMPUTE_PGM_RSRC2:TGID_Z_EN: 0
; COMPUTE_PGM_RSRC2:TIDIG_COMP_CNT: 1
; COMPUTE_PGM_RSRC3_GFX90A:ACCUM_OFFSET: 3
; COMPUTE_PGM_RSRC3_GFX90A:TG_SPLIT: 0
	.section	.text._ZL18rocblas_dot_kernelIlLb1ELi1024ELi32ELb0EfPKffEviT5_lT_lS2_lS3_liPT6_PT4_,"axG",@progbits,_ZL18rocblas_dot_kernelIlLb1ELi1024ELi32ELb0EfPKffEviT5_lT_lS2_lS3_liPT6_PT4_,comdat
	.globl	_ZL18rocblas_dot_kernelIlLb1ELi1024ELi32ELb0EfPKffEviT5_lT_lS2_lS3_liPT6_PT4_ ; -- Begin function _ZL18rocblas_dot_kernelIlLb1ELi1024ELi32ELb0EfPKffEviT5_lT_lS2_lS3_liPT6_PT4_
	.p2align	8
	.type	_ZL18rocblas_dot_kernelIlLb1ELi1024ELi32ELb0EfPKffEviT5_lT_lS2_lS3_liPT6_PT4_,@function
_ZL18rocblas_dot_kernelIlLb1ELi1024ELi32ELb0EfPKffEviT5_lT_lS2_lS3_liPT6_PT4_: ; @_ZL18rocblas_dot_kernelIlLb1ELi1024ELi32ELb0EfPKffEviT5_lT_lS2_lS3_liPT6_PT4_
; %bb.0:
	s_mov_b32 s2, s7
	s_load_dword s18, s[4:5], 0x0
	s_load_dwordx2 s[6:7], s[4:5], 0x58
	s_mov_b32 s3, 0
	v_mov_b32_e32 v6, 0
	s_waitcnt lgkmcnt(0)
	v_cmp_gt_i32_e32 vcc, s18, v0
	s_and_saveexec_b64 s[16:17], vcc
	s_cbranch_execz .LBB52_4
; %bb.1:
	s_load_dword s19, s[4:5], 0x60
	s_load_dwordx2 s[0:1], s[4:5], 0x40
	s_load_dwordx8 s[8:15], s[4:5], 0x20
	s_load_dwordx2 s[24:25], s[4:5], 0x8
	s_load_dwordx4 s[20:23], s[4:5], 0x10
	s_waitcnt lgkmcnt(0)
	s_lshl_b32 s19, s19, 10
	s_mul_i32 s1, s1, s2
	s_mul_i32 s4, s9, s2
	s_mul_hi_u32 s5, s8, s2
	s_add_i32 s5, s5, s4
	s_mul_i32 s4, s8, s2
	v_mad_u64_u32 v[2:3], s[8:9], s22, v0, 0
	v_mov_b32_e32 v4, v3
	v_mad_u64_u32 v[4:5], s[8:9], s23, v0, v[4:5]
	s_lshl_b64 s[4:5], s[4:5], 2
	s_lshl_b64 s[8:9], s[20:21], 2
	s_add_u32 s8, s24, s8
	s_addc_u32 s9, s25, s9
	v_mov_b32_e32 v3, v4
	s_add_u32 s4, s8, s4
	v_lshlrev_b64 v[2:3], 2, v[2:3]
	s_addc_u32 s5, s9, s5
	v_mov_b32_e32 v4, s5
	v_add_co_u32_e32 v2, vcc, s4, v2
	s_ashr_i32 s20, s19, 31
	s_mul_hi_u32 s8, s0, s2
	v_addc_co_u32_e32 v3, vcc, v4, v3, vcc
	s_mul_i32 s4, s22, s20
	s_mul_hi_u32 s5, s22, s19
	s_add_i32 s1, s8, s1
	v_mad_u64_u32 v[4:5], s[8:9], s14, v0, 0
	s_add_i32 s4, s5, s4
	s_mul_i32 s5, s23, s19
	v_mov_b32_e32 v6, v5
	s_add_i32 s5, s4, s5
	s_mul_i32 s4, s22, s19
	s_mul_i32 s0, s0, s2
	v_mad_u64_u32 v[6:7], s[8:9], s15, v0, v[6:7]
	s_lshl_b64 s[4:5], s[4:5], 2
	s_lshl_b64 s[0:1], s[0:1], 2
	;; [unrolled: 1-line block ×3, first 2 shown]
	s_add_u32 s8, s10, s8
	s_addc_u32 s9, s11, s9
	v_mov_b32_e32 v5, v6
	s_add_u32 s0, s8, s0
	v_lshlrev_b64 v[4:5], 2, v[4:5]
	s_addc_u32 s1, s9, s1
	v_mov_b32_e32 v6, s1
	v_add_co_u32_e32 v4, vcc, s0, v4
	s_mul_i32 s0, s14, s20
	s_mul_hi_u32 s1, s14, s19
	s_add_i32 s0, s1, s0
	s_mul_i32 s1, s15, s19
	s_add_i32 s1, s0, s1
	s_mul_i32 s0, s14, s19
	s_lshl_b64 s[10:11], s[0:1], 2
	v_or_b32_e32 v1, s19, v0
	v_addc_co_u32_e32 v5, vcc, v6, v5, vcc
	s_mov_b64 s[8:9], 0
	v_mov_b32_e32 v6, 0
	v_mov_b32_e32 v7, s5
	v_mov_b32_e32 v8, s11
	s_mov_b32 s5, s3
.LBB52_2:                               ; =>This Inner Loop Header: Depth=1
	global_load_dword v9, v[4:5], off
	global_load_dword v10, v[2:3], off
	v_add_co_u32_e64 v2, s[0:1], s4, v2
	v_addc_co_u32_e64 v3, s[0:1], v3, v7, s[0:1]
	s_add_i32 s11, s5, 1
	v_add_co_u32_e64 v4, s[0:1], s10, v4
	v_addc_co_u32_e64 v5, s[0:1], v5, v8, s[0:1]
	s_cmp_gt_u32 s5, 30
	v_cmp_le_i32_e32 vcc, s18, v1
	s_cselect_b64 s[0:1], -1, 0
	s_or_b64 s[0:1], s[0:1], vcc
	s_and_b64 s[0:1], exec, s[0:1]
	v_add_u32_e32 v1, s19, v1
	s_mov_b32 s5, s11
	s_or_b64 s[8:9], s[0:1], s[8:9]
	s_waitcnt vmcnt(0)
	v_fmac_f32_e32 v6, v9, v10
	s_andn2_b64 exec, exec, s[8:9]
	s_cbranch_execnz .LBB52_2
; %bb.3:
	s_or_b64 exec, exec, s[8:9]
.LBB52_4:
	s_or_b64 exec, exec, s[16:17]
	v_and_b32_e32 v2, 63, v0
	v_cmp_gt_u32_e32 vcc, 64, v0
	v_lshlrev_b32_e32 v1, 2, v2
	s_and_saveexec_b64 s[0:1], vcc
	s_cbranch_execz .LBB52_6
; %bb.5:
	v_mov_b32_e32 v3, 0
	ds_write_b32 v1, v3
.LBB52_6:
	s_or_b64 exec, exec, s[0:1]
	v_mbcnt_lo_u32_b32 v3, -1, 0
	v_mbcnt_hi_u32_b32 v7, -1, v3
	v_and_b32_e32 v8, 63, v7
	v_cmp_gt_u32_e64 s[0:1], 32, v8
	v_cndmask_b32_e64 v3, 0, 1, s[0:1]
	v_lshlrev_b32_e32 v3, 5, v3
	v_add_lshl_u32 v3, v3, v7, 2
	ds_bpermute_b32 v3, v3, v6
	v_cmp_gt_u32_e64 s[0:1], 48, v8
	v_cndmask_b32_e64 v4, 0, 1, s[0:1]
	v_lshlrev_b32_e32 v4, 4, v4
	v_add_lshl_u32 v4, v4, v7, 2
	s_waitcnt lgkmcnt(0)
	v_add_f32_e32 v3, v6, v3
	ds_bpermute_b32 v4, v4, v3
	v_cmp_gt_u32_e64 s[0:1], 56, v8
	v_cndmask_b32_e64 v5, 0, 1, s[0:1]
	v_lshlrev_b32_e32 v5, 3, v5
	v_cmp_gt_u32_e64 s[0:1], 60, v8
	s_waitcnt lgkmcnt(0)
	v_add_f32_e32 v4, v3, v4
	v_add_lshl_u32 v3, v5, v7, 2
	ds_bpermute_b32 v5, v3, v4
	v_cndmask_b32_e64 v6, 0, 1, s[0:1]
	v_lshlrev_b32_e32 v6, 2, v6
	v_cmp_gt_u32_e64 s[0:1], 62, v8
	v_cndmask_b32_e64 v9, 0, 1, s[0:1]
	s_waitcnt lgkmcnt(0)
	v_add_f32_e32 v5, v4, v5
	v_add_lshl_u32 v4, v6, v7, 2
	ds_bpermute_b32 v6, v4, v5
	v_lshlrev_b32_e32 v9, 1, v9
	v_cmp_ne_u32_e64 s[0:1], 63, v8
	v_addc_co_u32_e64 v8, s[0:1], 0, v7, s[0:1]
	s_waitcnt lgkmcnt(0)
	v_add_f32_e32 v6, v5, v6
	v_add_lshl_u32 v5, v9, v7, 2
	ds_bpermute_b32 v9, v5, v6
	v_cmp_eq_u32_e64 s[0:1], 0, v2
	s_waitcnt lgkmcnt(0)
	s_barrier
	v_add_f32_e32 v7, v6, v9
	v_lshlrev_b32_e32 v6, 2, v8
	ds_bpermute_b32 v8, v6, v7
	s_and_saveexec_b64 s[4:5], s[0:1]
	s_cbranch_execz .LBB52_8
; %bb.7:
	s_waitcnt lgkmcnt(0)
	v_add_f32_e32 v2, v7, v8
	v_lshrrev_b32_e32 v7, 4, v0
	v_and_b32_e32 v7, 60, v7
	ds_write_b32 v7, v2
.LBB52_8:
	s_or_b64 exec, exec, s[4:5]
	v_cmp_gt_u32_e64 s[0:1], 16, v0
	v_mov_b32_e32 v2, 0
	s_waitcnt lgkmcnt(0)
	s_barrier
	s_and_saveexec_b64 s[4:5], s[0:1]
	s_cbranch_execnz .LBB52_12
; %bb.9:
	s_or_b64 exec, exec, s[4:5]
	s_and_saveexec_b64 s[0:1], vcc
	s_cbranch_execnz .LBB52_13
.LBB52_10:
	s_or_b64 exec, exec, s[0:1]
	v_cmp_eq_u32_e32 vcc, 0, v0
	s_and_saveexec_b64 s[0:1], vcc
	s_cbranch_execnz .LBB52_14
.LBB52_11:
	s_endpgm
.LBB52_12:
	ds_read_b32 v2, v1
	s_or_b64 exec, exec, s[4:5]
	s_and_saveexec_b64 s[0:1], vcc
	s_cbranch_execz .LBB52_10
.LBB52_13:
	s_waitcnt lgkmcnt(0)
	ds_bpermute_b32 v1, v3, v2
	s_waitcnt lgkmcnt(0)
	v_add_f32_e32 v1, v2, v1
	ds_bpermute_b32 v2, v4, v1
	s_waitcnt lgkmcnt(0)
	v_add_f32_e32 v1, v1, v2
	;; [unrolled: 3-line block ×4, first 2 shown]
	s_or_b64 exec, exec, s[0:1]
	v_cmp_eq_u32_e32 vcc, 0, v0
	s_and_saveexec_b64 s[0:1], vcc
	s_cbranch_execz .LBB52_11
.LBB52_14:
	s_lshl_b64 s[0:1], s[2:3], 2
	s_add_u32 s0, s6, s0
	s_addc_u32 s1, s7, s1
	v_mov_b32_e32 v0, 0
	s_waitcnt lgkmcnt(0)
	global_store_dword v0, v2, s[0:1]
	s_endpgm
	.section	.rodata,"a",@progbits
	.p2align	6, 0x0
	.amdhsa_kernel _ZL18rocblas_dot_kernelIlLb1ELi1024ELi32ELb0EfPKffEviT5_lT_lS2_lS3_liPT6_PT4_
		.amdhsa_group_segment_fixed_size 256
		.amdhsa_private_segment_fixed_size 0
		.amdhsa_kernarg_size 352
		.amdhsa_user_sgpr_count 6
		.amdhsa_user_sgpr_private_segment_buffer 1
		.amdhsa_user_sgpr_dispatch_ptr 0
		.amdhsa_user_sgpr_queue_ptr 0
		.amdhsa_user_sgpr_kernarg_segment_ptr 1
		.amdhsa_user_sgpr_dispatch_id 0
		.amdhsa_user_sgpr_flat_scratch_init 0
		.amdhsa_user_sgpr_kernarg_preload_length 0
		.amdhsa_user_sgpr_kernarg_preload_offset 0
		.amdhsa_user_sgpr_private_segment_size 0
		.amdhsa_uses_dynamic_stack 0
		.amdhsa_system_sgpr_private_segment_wavefront_offset 0
		.amdhsa_system_sgpr_workgroup_id_x 1
		.amdhsa_system_sgpr_workgroup_id_y 0
		.amdhsa_system_sgpr_workgroup_id_z 1
		.amdhsa_system_sgpr_workgroup_info 0
		.amdhsa_system_vgpr_workitem_id 0
		.amdhsa_next_free_vgpr 11
		.amdhsa_next_free_sgpr 26
		.amdhsa_accum_offset 12
		.amdhsa_reserve_vcc 1
		.amdhsa_reserve_flat_scratch 0
		.amdhsa_float_round_mode_32 0
		.amdhsa_float_round_mode_16_64 0
		.amdhsa_float_denorm_mode_32 3
		.amdhsa_float_denorm_mode_16_64 3
		.amdhsa_dx10_clamp 1
		.amdhsa_ieee_mode 1
		.amdhsa_fp16_overflow 0
		.amdhsa_tg_split 0
		.amdhsa_exception_fp_ieee_invalid_op 0
		.amdhsa_exception_fp_denorm_src 0
		.amdhsa_exception_fp_ieee_div_zero 0
		.amdhsa_exception_fp_ieee_overflow 0
		.amdhsa_exception_fp_ieee_underflow 0
		.amdhsa_exception_fp_ieee_inexact 0
		.amdhsa_exception_int_div_zero 0
	.end_amdhsa_kernel
	.section	.text._ZL18rocblas_dot_kernelIlLb1ELi1024ELi32ELb0EfPKffEviT5_lT_lS2_lS3_liPT6_PT4_,"axG",@progbits,_ZL18rocblas_dot_kernelIlLb1ELi1024ELi32ELb0EfPKffEviT5_lT_lS2_lS3_liPT6_PT4_,comdat
.Lfunc_end52:
	.size	_ZL18rocblas_dot_kernelIlLb1ELi1024ELi32ELb0EfPKffEviT5_lT_lS2_lS3_liPT6_PT4_, .Lfunc_end52-_ZL18rocblas_dot_kernelIlLb1ELi1024ELi32ELb0EfPKffEviT5_lT_lS2_lS3_liPT6_PT4_
                                        ; -- End function
	.section	.AMDGPU.csdata,"",@progbits
; Kernel info:
; codeLenInByte = 1000
; NumSgprs: 30
; NumVgprs: 11
; NumAgprs: 0
; TotalNumVgprs: 11
; ScratchSize: 0
; MemoryBound: 0
; FloatMode: 240
; IeeeMode: 1
; LDSByteSize: 256 bytes/workgroup (compile time only)
; SGPRBlocks: 3
; VGPRBlocks: 1
; NumSGPRsForWavesPerEU: 30
; NumVGPRsForWavesPerEU: 11
; AccumOffset: 12
; Occupancy: 8
; WaveLimiterHint : 0
; COMPUTE_PGM_RSRC2:SCRATCH_EN: 0
; COMPUTE_PGM_RSRC2:USER_SGPR: 6
; COMPUTE_PGM_RSRC2:TRAP_HANDLER: 0
; COMPUTE_PGM_RSRC2:TGID_X_EN: 1
; COMPUTE_PGM_RSRC2:TGID_Y_EN: 0
; COMPUTE_PGM_RSRC2:TGID_Z_EN: 1
; COMPUTE_PGM_RSRC2:TIDIG_COMP_CNT: 0
; COMPUTE_PGM_RSRC3_GFX90A:ACCUM_OFFSET: 2
; COMPUTE_PGM_RSRC3_GFX90A:TG_SPLIT: 0
	.section	.text._ZL24rocblas_dot_kernel_magsqIlLb1ELi1024ELi32ELb0EfPKffEviT5_lT_liPT6_PT4_,"axG",@progbits,_ZL24rocblas_dot_kernel_magsqIlLb1ELi1024ELi32ELb0EfPKffEviT5_lT_liPT6_PT4_,comdat
	.globl	_ZL24rocblas_dot_kernel_magsqIlLb1ELi1024ELi32ELb0EfPKffEviT5_lT_liPT6_PT4_ ; -- Begin function _ZL24rocblas_dot_kernel_magsqIlLb1ELi1024ELi32ELb0EfPKffEviT5_lT_liPT6_PT4_
	.p2align	8
	.type	_ZL24rocblas_dot_kernel_magsqIlLb1ELi1024ELi32ELb0EfPKffEviT5_lT_liPT6_PT4_,@function
_ZL24rocblas_dot_kernel_magsqIlLb1ELi1024ELi32ELb0EfPKffEviT5_lT_liPT6_PT4_: ; @_ZL24rocblas_dot_kernel_magsqIlLb1ELi1024ELi32ELb0EfPKffEviT5_lT_liPT6_PT4_
; %bb.0:
	s_mov_b32 s2, s7
	s_load_dword s12, s[4:5], 0x0
	s_load_dwordx2 s[6:7], s[4:5], 0x38
	s_mov_b32 s3, 0
	v_mov_b32_e32 v1, 0
	s_waitcnt lgkmcnt(0)
	v_cmp_gt_i32_e32 vcc, s12, v0
	s_and_saveexec_b64 s[8:9], vcc
	s_cbranch_execz .LBB53_4
; %bb.1:
	s_load_dword s13, s[4:5], 0x40
	s_load_dwordx2 s[0:1], s[4:5], 0x20
	s_load_dwordx2 s[10:11], s[4:5], 0x8
	s_load_dwordx4 s[16:19], s[4:5], 0x10
	s_waitcnt lgkmcnt(0)
	s_lshl_b32 s13, s13, 10
	s_mul_i32 s1, s1, s2
	s_mul_hi_u32 s4, s0, s2
	s_add_i32 s1, s4, s1
	v_mad_u64_u32 v[2:3], s[4:5], s18, v0, 0
	v_mov_b32_e32 v6, v3
	s_mul_i32 s0, s0, s2
	v_mad_u64_u32 v[6:7], s[4:5], s19, v0, v[6:7]
	s_lshl_b64 s[0:1], s[0:1], 2
	s_lshl_b64 s[4:5], s[16:17], 2
	s_add_u32 s4, s10, s4
	v_mov_b32_e32 v3, v6
	s_addc_u32 s5, s11, s5
	v_lshlrev_b64 v[2:3], 2, v[2:3]
	s_add_u32 s0, s4, s0
	s_addc_u32 s1, s5, s1
	v_add_co_u32_e32 v2, vcc, s0, v2
	s_ashr_i32 s0, s13, 31
	v_mov_b32_e32 v1, s1
	s_mul_i32 s0, s18, s0
	s_mul_hi_u32 s1, s18, s13
	s_add_i32 s0, s1, s0
	s_mul_i32 s1, s19, s13
	s_add_i32 s1, s0, s1
	s_mul_i32 s0, s18, s13
	s_lshl_b64 s[10:11], s[0:1], 2
	v_or_b32_e32 v4, s13, v0
	v_addc_co_u32_e32 v3, vcc, v1, v3, vcc
	s_mov_b64 s[4:5], 0
	v_mov_b32_e32 v1, 0
	v_mov_b32_e32 v5, s11
	s_mov_b32 s11, s3
.LBB53_2:                               ; =>This Inner Loop Header: Depth=1
	global_load_dword v6, v[2:3], off
	s_add_i32 s14, s11, 1
	v_add_co_u32_e64 v2, s[0:1], s10, v2
	v_addc_co_u32_e64 v3, s[0:1], v3, v5, s[0:1]
	s_cmp_gt_u32 s11, 30
	v_cmp_le_i32_e32 vcc, s12, v4
	s_cselect_b64 s[0:1], -1, 0
	s_or_b64 s[0:1], s[0:1], vcc
	s_and_b64 s[0:1], exec, s[0:1]
	v_add_u32_e32 v4, s13, v4
	s_mov_b32 s11, s14
	s_or_b64 s[4:5], s[0:1], s[4:5]
	s_waitcnt vmcnt(0)
	v_fmac_f32_e32 v1, v6, v6
	s_andn2_b64 exec, exec, s[4:5]
	s_cbranch_execnz .LBB53_2
; %bb.3:
	s_or_b64 exec, exec, s[4:5]
.LBB53_4:
	s_or_b64 exec, exec, s[8:9]
	v_and_b32_e32 v3, 63, v0
	v_cmp_gt_u32_e32 vcc, 64, v0
	v_lshlrev_b32_e32 v2, 2, v3
	s_and_saveexec_b64 s[0:1], vcc
	s_cbranch_execz .LBB53_6
; %bb.5:
	v_mov_b32_e32 v4, 0
	ds_write_b32 v2, v4
.LBB53_6:
	s_or_b64 exec, exec, s[0:1]
	v_mbcnt_lo_u32_b32 v4, -1, 0
	v_mbcnt_hi_u32_b32 v6, -1, v4
	v_and_b32_e32 v7, 63, v6
	v_cmp_gt_u32_e64 s[0:1], 32, v7
	v_cndmask_b32_e64 v4, 0, 1, s[0:1]
	v_lshlrev_b32_e32 v4, 5, v4
	v_add_lshl_u32 v4, v4, v6, 2
	ds_bpermute_b32 v4, v4, v1
	v_cmp_gt_u32_e64 s[0:1], 48, v7
	v_cndmask_b32_e64 v5, 0, 1, s[0:1]
	v_lshlrev_b32_e32 v5, 4, v5
	v_cmp_gt_u32_e64 s[0:1], 56, v7
	s_waitcnt lgkmcnt(0)
	v_add_f32_e32 v1, v1, v4
	v_add_lshl_u32 v4, v5, v6, 2
	ds_bpermute_b32 v4, v4, v1
	v_cndmask_b32_e64 v5, 0, 1, s[0:1]
	v_lshlrev_b32_e32 v5, 3, v5
	v_cmp_gt_u32_e64 s[0:1], 60, v7
	v_cndmask_b32_e64 v8, 0, 1, s[0:1]
	s_waitcnt lgkmcnt(0)
	v_add_f32_e32 v4, v1, v4
	v_add_lshl_u32 v1, v5, v6, 2
	ds_bpermute_b32 v5, v1, v4
	v_lshlrev_b32_e32 v8, 2, v8
	v_cmp_gt_u32_e64 s[0:1], 62, v7
	v_cndmask_b32_e64 v9, 0, 1, s[0:1]
	v_lshlrev_b32_e32 v9, 1, v9
	s_waitcnt lgkmcnt(0)
	v_add_f32_e32 v5, v4, v5
	v_add_lshl_u32 v4, v8, v6, 2
	ds_bpermute_b32 v8, v4, v5
	v_cmp_ne_u32_e64 s[0:1], 63, v7
	s_waitcnt lgkmcnt(0)
	s_barrier
	v_add_f32_e32 v8, v5, v8
	v_add_lshl_u32 v5, v9, v6, 2
	ds_bpermute_b32 v9, v5, v8
	v_addc_co_u32_e64 v6, s[0:1], 0, v6, s[0:1]
	v_lshlrev_b32_e32 v6, 2, v6
	v_cmp_eq_u32_e64 s[0:1], 0, v3
	s_waitcnt lgkmcnt(0)
	v_add_f32_e32 v7, v8, v9
	ds_bpermute_b32 v8, v6, v7
	s_and_saveexec_b64 s[4:5], s[0:1]
	s_cbranch_execz .LBB53_8
; %bb.7:
	s_waitcnt lgkmcnt(0)
	v_add_f32_e32 v3, v7, v8
	v_lshrrev_b32_e32 v7, 4, v0
	v_and_b32_e32 v7, 60, v7
	ds_write_b32 v7, v3
.LBB53_8:
	s_or_b64 exec, exec, s[4:5]
	v_cmp_gt_u32_e64 s[0:1], 16, v0
	v_mov_b32_e32 v3, 0
	s_waitcnt lgkmcnt(0)
	s_barrier
	s_and_saveexec_b64 s[4:5], s[0:1]
	s_cbranch_execnz .LBB53_12
; %bb.9:
	s_or_b64 exec, exec, s[4:5]
	s_and_saveexec_b64 s[0:1], vcc
	s_cbranch_execnz .LBB53_13
.LBB53_10:
	s_or_b64 exec, exec, s[0:1]
	v_cmp_eq_u32_e32 vcc, 0, v0
	s_and_saveexec_b64 s[0:1], vcc
	s_cbranch_execnz .LBB53_14
.LBB53_11:
	s_endpgm
.LBB53_12:
	ds_read_b32 v3, v2
	s_or_b64 exec, exec, s[4:5]
	s_and_saveexec_b64 s[0:1], vcc
	s_cbranch_execz .LBB53_10
.LBB53_13:
	s_waitcnt lgkmcnt(0)
	ds_bpermute_b32 v1, v1, v3
	s_waitcnt lgkmcnt(0)
	v_add_f32_e32 v1, v3, v1
	ds_bpermute_b32 v2, v4, v1
	s_waitcnt lgkmcnt(0)
	v_add_f32_e32 v1, v1, v2
	;; [unrolled: 3-line block ×4, first 2 shown]
	s_or_b64 exec, exec, s[0:1]
	v_cmp_eq_u32_e32 vcc, 0, v0
	s_and_saveexec_b64 s[0:1], vcc
	s_cbranch_execz .LBB53_11
.LBB53_14:
	s_lshl_b64 s[0:1], s[2:3], 2
	s_add_u32 s0, s6, s0
	s_addc_u32 s1, s7, s1
	v_mov_b32_e32 v0, 0
	s_waitcnt lgkmcnt(0)
	global_store_dword v0, v3, s[0:1]
	s_endpgm
	.section	.rodata,"a",@progbits
	.p2align	6, 0x0
	.amdhsa_kernel _ZL24rocblas_dot_kernel_magsqIlLb1ELi1024ELi32ELb0EfPKffEviT5_lT_liPT6_PT4_
		.amdhsa_group_segment_fixed_size 256
		.amdhsa_private_segment_fixed_size 0
		.amdhsa_kernarg_size 320
		.amdhsa_user_sgpr_count 6
		.amdhsa_user_sgpr_private_segment_buffer 1
		.amdhsa_user_sgpr_dispatch_ptr 0
		.amdhsa_user_sgpr_queue_ptr 0
		.amdhsa_user_sgpr_kernarg_segment_ptr 1
		.amdhsa_user_sgpr_dispatch_id 0
		.amdhsa_user_sgpr_flat_scratch_init 0
		.amdhsa_user_sgpr_kernarg_preload_length 0
		.amdhsa_user_sgpr_kernarg_preload_offset 0
		.amdhsa_user_sgpr_private_segment_size 0
		.amdhsa_uses_dynamic_stack 0
		.amdhsa_system_sgpr_private_segment_wavefront_offset 0
		.amdhsa_system_sgpr_workgroup_id_x 1
		.amdhsa_system_sgpr_workgroup_id_y 0
		.amdhsa_system_sgpr_workgroup_id_z 1
		.amdhsa_system_sgpr_workgroup_info 0
		.amdhsa_system_vgpr_workitem_id 0
		.amdhsa_next_free_vgpr 10
		.amdhsa_next_free_sgpr 20
		.amdhsa_accum_offset 12
		.amdhsa_reserve_vcc 1
		.amdhsa_reserve_flat_scratch 0
		.amdhsa_float_round_mode_32 0
		.amdhsa_float_round_mode_16_64 0
		.amdhsa_float_denorm_mode_32 3
		.amdhsa_float_denorm_mode_16_64 3
		.amdhsa_dx10_clamp 1
		.amdhsa_ieee_mode 1
		.amdhsa_fp16_overflow 0
		.amdhsa_tg_split 0
		.amdhsa_exception_fp_ieee_invalid_op 0
		.amdhsa_exception_fp_denorm_src 0
		.amdhsa_exception_fp_ieee_div_zero 0
		.amdhsa_exception_fp_ieee_overflow 0
		.amdhsa_exception_fp_ieee_underflow 0
		.amdhsa_exception_fp_ieee_inexact 0
		.amdhsa_exception_int_div_zero 0
	.end_amdhsa_kernel
	.section	.text._ZL24rocblas_dot_kernel_magsqIlLb1ELi1024ELi32ELb0EfPKffEviT5_lT_liPT6_PT4_,"axG",@progbits,_ZL24rocblas_dot_kernel_magsqIlLb1ELi1024ELi32ELb0EfPKffEviT5_lT_liPT6_PT4_,comdat
.Lfunc_end53:
	.size	_ZL24rocblas_dot_kernel_magsqIlLb1ELi1024ELi32ELb0EfPKffEviT5_lT_liPT6_PT4_, .Lfunc_end53-_ZL24rocblas_dot_kernel_magsqIlLb1ELi1024ELi32ELb0EfPKffEviT5_lT_liPT6_PT4_
                                        ; -- End function
	.section	.AMDGPU.csdata,"",@progbits
; Kernel info:
; codeLenInByte = 852
; NumSgprs: 24
; NumVgprs: 10
; NumAgprs: 0
; TotalNumVgprs: 10
; ScratchSize: 0
; MemoryBound: 0
; FloatMode: 240
; IeeeMode: 1
; LDSByteSize: 256 bytes/workgroup (compile time only)
; SGPRBlocks: 2
; VGPRBlocks: 1
; NumSGPRsForWavesPerEU: 24
; NumVGPRsForWavesPerEU: 10
; AccumOffset: 12
; Occupancy: 8
; WaveLimiterHint : 0
; COMPUTE_PGM_RSRC2:SCRATCH_EN: 0
; COMPUTE_PGM_RSRC2:USER_SGPR: 6
; COMPUTE_PGM_RSRC2:TRAP_HANDLER: 0
; COMPUTE_PGM_RSRC2:TGID_X_EN: 1
; COMPUTE_PGM_RSRC2:TGID_Y_EN: 0
; COMPUTE_PGM_RSRC2:TGID_Z_EN: 1
; COMPUTE_PGM_RSRC2:TIDIG_COMP_CNT: 0
; COMPUTE_PGM_RSRC3_GFX90A:ACCUM_OFFSET: 2
; COMPUTE_PGM_RSRC3_GFX90A:TG_SPLIT: 0
	.section	.text._ZL38rocblas_dot_kernel_gfx942_float_doubleIlLi1024EfPKffEviT2_lT_lS2_lS3_lPT3_PT1_,"axG",@progbits,_ZL38rocblas_dot_kernel_gfx942_float_doubleIlLi1024EfPKffEviT2_lT_lS2_lS3_lPT3_PT1_,comdat
	.globl	_ZL38rocblas_dot_kernel_gfx942_float_doubleIlLi1024EfPKffEviT2_lT_lS2_lS3_lPT3_PT1_ ; -- Begin function _ZL38rocblas_dot_kernel_gfx942_float_doubleIlLi1024EfPKffEviT2_lT_lS2_lS3_lPT3_PT1_
	.p2align	8
	.type	_ZL38rocblas_dot_kernel_gfx942_float_doubleIlLi1024EfPKffEviT2_lT_lS2_lS3_lPT3_PT1_,@function
_ZL38rocblas_dot_kernel_gfx942_float_doubleIlLi1024EfPKffEviT2_lT_lS2_lS3_lPT3_PT1_: ; @_ZL38rocblas_dot_kernel_gfx942_float_doubleIlLi1024EfPKffEviT2_lT_lS2_lS3_lPT3_PT1_
; %bb.0:
	s_endpgm
	.section	.rodata,"a",@progbits
	.p2align	6, 0x0
	.amdhsa_kernel _ZL38rocblas_dot_kernel_gfx942_float_doubleIlLi1024EfPKffEviT2_lT_lS2_lS3_lPT3_PT1_
		.amdhsa_group_segment_fixed_size 0
		.amdhsa_private_segment_fixed_size 0
		.amdhsa_kernarg_size 88
		.amdhsa_user_sgpr_count 6
		.amdhsa_user_sgpr_private_segment_buffer 1
		.amdhsa_user_sgpr_dispatch_ptr 0
		.amdhsa_user_sgpr_queue_ptr 0
		.amdhsa_user_sgpr_kernarg_segment_ptr 1
		.amdhsa_user_sgpr_dispatch_id 0
		.amdhsa_user_sgpr_flat_scratch_init 0
		.amdhsa_user_sgpr_kernarg_preload_length 0
		.amdhsa_user_sgpr_kernarg_preload_offset 0
		.amdhsa_user_sgpr_private_segment_size 0
		.amdhsa_uses_dynamic_stack 0
		.amdhsa_system_sgpr_private_segment_wavefront_offset 0
		.amdhsa_system_sgpr_workgroup_id_x 1
		.amdhsa_system_sgpr_workgroup_id_y 0
		.amdhsa_system_sgpr_workgroup_id_z 0
		.amdhsa_system_sgpr_workgroup_info 0
		.amdhsa_system_vgpr_workitem_id 0
		.amdhsa_next_free_vgpr 1
		.amdhsa_next_free_sgpr 0
		.amdhsa_accum_offset 4
		.amdhsa_reserve_vcc 0
		.amdhsa_reserve_flat_scratch 0
		.amdhsa_float_round_mode_32 0
		.amdhsa_float_round_mode_16_64 0
		.amdhsa_float_denorm_mode_32 3
		.amdhsa_float_denorm_mode_16_64 3
		.amdhsa_dx10_clamp 1
		.amdhsa_ieee_mode 1
		.amdhsa_fp16_overflow 0
		.amdhsa_tg_split 0
		.amdhsa_exception_fp_ieee_invalid_op 0
		.amdhsa_exception_fp_denorm_src 0
		.amdhsa_exception_fp_ieee_div_zero 0
		.amdhsa_exception_fp_ieee_overflow 0
		.amdhsa_exception_fp_ieee_underflow 0
		.amdhsa_exception_fp_ieee_inexact 0
		.amdhsa_exception_int_div_zero 0
	.end_amdhsa_kernel
	.section	.text._ZL38rocblas_dot_kernel_gfx942_float_doubleIlLi1024EfPKffEviT2_lT_lS2_lS3_lPT3_PT1_,"axG",@progbits,_ZL38rocblas_dot_kernel_gfx942_float_doubleIlLi1024EfPKffEviT2_lT_lS2_lS3_lPT3_PT1_,comdat
.Lfunc_end54:
	.size	_ZL38rocblas_dot_kernel_gfx942_float_doubleIlLi1024EfPKffEviT2_lT_lS2_lS3_lPT3_PT1_, .Lfunc_end54-_ZL38rocblas_dot_kernel_gfx942_float_doubleIlLi1024EfPKffEviT2_lT_lS2_lS3_lPT3_PT1_
                                        ; -- End function
	.section	.AMDGPU.csdata,"",@progbits
; Kernel info:
; codeLenInByte = 4
; NumSgprs: 4
; NumVgprs: 0
; NumAgprs: 0
; TotalNumVgprs: 0
; ScratchSize: 0
; MemoryBound: 0
; FloatMode: 240
; IeeeMode: 1
; LDSByteSize: 0 bytes/workgroup (compile time only)
; SGPRBlocks: 0
; VGPRBlocks: 0
; NumSGPRsForWavesPerEU: 4
; NumVGPRsForWavesPerEU: 1
; AccumOffset: 4
; Occupancy: 8
; WaveLimiterHint : 0
; COMPUTE_PGM_RSRC2:SCRATCH_EN: 0
; COMPUTE_PGM_RSRC2:USER_SGPR: 6
; COMPUTE_PGM_RSRC2:TRAP_HANDLER: 0
; COMPUTE_PGM_RSRC2:TGID_X_EN: 1
; COMPUTE_PGM_RSRC2:TGID_Y_EN: 0
; COMPUTE_PGM_RSRC2:TGID_Z_EN: 0
; COMPUTE_PGM_RSRC2:TIDIG_COMP_CNT: 0
; COMPUTE_PGM_RSRC3_GFX90A:ACCUM_OFFSET: 0
; COMPUTE_PGM_RSRC3_GFX90A:TG_SPLIT: 0
	.section	.text._ZL18rocblas_dot_kernelIlLb0ELi512ELi4ELb0EfPKffEviT5_lT_lS2_lS3_liPT6_PT4_,"axG",@progbits,_ZL18rocblas_dot_kernelIlLb0ELi512ELi4ELb0EfPKffEviT5_lT_lS2_lS3_liPT6_PT4_,comdat
	.globl	_ZL18rocblas_dot_kernelIlLb0ELi512ELi4ELb0EfPKffEviT5_lT_lS2_lS3_liPT6_PT4_ ; -- Begin function _ZL18rocblas_dot_kernelIlLb0ELi512ELi4ELb0EfPKffEviT5_lT_lS2_lS3_liPT6_PT4_
	.p2align	8
	.type	_ZL18rocblas_dot_kernelIlLb0ELi512ELi4ELb0EfPKffEviT5_lT_lS2_lS3_liPT6_PT4_,@function
_ZL18rocblas_dot_kernelIlLb0ELi512ELi4ELb0EfPKffEviT5_lT_lS2_lS3_liPT6_PT4_: ; @_ZL18rocblas_dot_kernelIlLb0ELi512ELi4ELb0EfPKffEviT5_lT_lS2_lS3_liPT6_PT4_
; %bb.0:
	s_mov_b32 s2, s7
	s_load_dword s22, s[4:5], 0x60
	s_load_dword s7, s[4:5], 0x0
	s_load_dwordx4 s[16:19], s[4:5], 0x50
	v_lshl_or_b32 v4, s6, 9, v0
	s_mov_b32 s3, 0
	v_mov_b32_e32 v6, 0
	s_waitcnt lgkmcnt(0)
	v_cmp_gt_i32_e32 vcc, s7, v4
	s_and_saveexec_b64 s[20:21], vcc
	s_cbranch_execz .LBB55_4
; %bb.1:
	s_load_dwordx8 s[8:15], s[4:5], 0x20
	s_load_dwordx2 s[0:1], s[4:5], 0x8
	s_load_dwordx4 s[24:27], s[4:5], 0x10
	s_load_dwordx2 s[28:29], s[4:5], 0x40
	s_lshl_b32 s23, s22, 9
	v_ashrrev_i32_e32 v5, 31, v4
	v_add_u32_e32 v1, s23, v4
	s_waitcnt lgkmcnt(0)
	v_mad_u64_u32 v[2:3], s[4:5], s26, v4, 0
	s_mul_i32 s4, s9, s2
	s_mul_hi_u32 s5, s8, s2
	s_add_i32 s5, s5, s4
	s_mul_i32 s4, s8, s2
	s_lshl_b64 s[4:5], s[4:5], 2
	s_lshl_b64 s[8:9], s[24:25], 2
	s_add_u32 s0, s0, s8
	v_mul_lo_u32 v6, s27, v4
	v_mul_lo_u32 v7, s26, v5
	s_addc_u32 s1, s1, s9
	v_add3_u32 v3, v3, v7, v6
	s_add_u32 s0, s0, s4
	v_lshlrev_b64 v[2:3], 2, v[2:3]
	s_addc_u32 s1, s1, s5
	s_ashr_i32 s24, s23, 31
	v_mov_b32_e32 v6, s1
	v_add_co_u32_e32 v2, vcc, s0, v2
	s_mul_i32 s0, s26, s24
	s_mul_hi_u32 s1, s26, s23
	s_add_i32 s0, s1, s0
	s_mul_i32 s1, s27, s23
	s_add_i32 s1, s0, s1
	s_mul_i32 s0, s26, s23
	v_addc_co_u32_e32 v3, vcc, v6, v3, vcc
	s_lshl_b64 s[4:5], s[0:1], 2
	v_mul_lo_u32 v6, s15, v4
	v_mul_lo_u32 v7, s14, v5
	v_mad_u64_u32 v[4:5], s[0:1], s14, v4, 0
	s_mul_i32 s0, s29, s2
	s_mul_hi_u32 s1, s28, s2
	s_add_i32 s1, s1, s0
	s_mul_i32 s0, s28, s2
	s_lshl_b64 s[0:1], s[0:1], 2
	s_lshl_b64 s[8:9], s[12:13], 2
	s_add_u32 s8, s10, s8
	s_addc_u32 s9, s11, s9
	v_add3_u32 v5, v5, v7, v6
	s_add_u32 s0, s8, s0
	v_lshlrev_b64 v[4:5], 2, v[4:5]
	s_addc_u32 s1, s9, s1
	v_mov_b32_e32 v6, s1
	v_add_co_u32_e32 v4, vcc, s0, v4
	s_mul_i32 s0, s14, s24
	s_mul_hi_u32 s1, s14, s23
	s_add_i32 s0, s1, s0
	s_mul_i32 s1, s15, s23
	s_add_i32 s1, s0, s1
	s_mul_i32 s0, s14, s23
	s_lshl_b64 s[10:11], s[0:1], 2
	v_addc_co_u32_e32 v5, vcc, v6, v5, vcc
	s_mov_b64 s[8:9], 0
	v_mov_b32_e32 v6, 0
	v_mov_b32_e32 v7, s5
	;; [unrolled: 1-line block ×3, first 2 shown]
	s_mov_b32 s5, s3
.LBB55_2:                               ; =>This Inner Loop Header: Depth=1
	global_load_dword v9, v[4:5], off
	global_load_dword v10, v[2:3], off
	v_add_co_u32_e64 v2, s[0:1], s4, v2
	v_addc_co_u32_e64 v3, s[0:1], v3, v7, s[0:1]
	s_add_i32 s11, s5, 1
	v_add_co_u32_e64 v4, s[0:1], s10, v4
	v_addc_co_u32_e64 v5, s[0:1], v5, v8, s[0:1]
	s_cmp_gt_u32 s5, 2
	v_cmp_le_i32_e32 vcc, s7, v1
	s_cselect_b64 s[0:1], -1, 0
	s_or_b64 s[0:1], s[0:1], vcc
	s_and_b64 s[0:1], exec, s[0:1]
	v_add_u32_e32 v1, s23, v1
	s_mov_b32 s5, s11
	s_or_b64 s[8:9], s[0:1], s[8:9]
	s_waitcnt vmcnt(0)
	v_fmac_f32_e32 v6, v9, v10
	s_andn2_b64 exec, exec, s[8:9]
	s_cbranch_execnz .LBB55_2
; %bb.3:
	s_or_b64 exec, exec, s[8:9]
.LBB55_4:
	s_or_b64 exec, exec, s[20:21]
	v_and_b32_e32 v2, 63, v0
	v_cmp_gt_u32_e32 vcc, 64, v0
	v_lshlrev_b32_e32 v1, 2, v2
	s_and_saveexec_b64 s[0:1], vcc
	s_cbranch_execz .LBB55_6
; %bb.5:
	v_mov_b32_e32 v3, 0
	ds_write_b32 v1, v3
.LBB55_6:
	s_or_b64 exec, exec, s[0:1]
	v_mbcnt_lo_u32_b32 v3, -1, 0
	v_mbcnt_hi_u32_b32 v5, -1, v3
	v_and_b32_e32 v7, 63, v5
	v_cmp_gt_u32_e64 s[0:1], 32, v7
	v_cndmask_b32_e64 v3, 0, 1, s[0:1]
	v_lshlrev_b32_e32 v3, 5, v3
	v_add_lshl_u32 v3, v3, v5, 2
	ds_bpermute_b32 v3, v3, v6
	v_cmp_gt_u32_e64 s[0:1], 48, v7
	v_cndmask_b32_e64 v4, 0, 1, s[0:1]
	v_lshlrev_b32_e32 v4, 4, v4
	v_add_lshl_u32 v4, v4, v5, 2
	s_waitcnt lgkmcnt(0)
	v_add_f32_e32 v3, v6, v3
	ds_bpermute_b32 v4, v4, v3
	v_cmp_gt_u32_e64 s[0:1], 56, v7
	v_cndmask_b32_e64 v6, 0, 1, s[0:1]
	v_lshlrev_b32_e32 v6, 3, v6
	v_cmp_gt_u32_e64 s[0:1], 60, v7
	s_waitcnt lgkmcnt(0)
	v_add_f32_e32 v3, v3, v4
	v_add_lshl_u32 v4, v6, v5, 2
	ds_bpermute_b32 v4, v4, v3
	v_cndmask_b32_e64 v6, 0, 1, s[0:1]
	v_lshlrev_b32_e32 v6, 2, v6
	v_cmp_gt_u32_e64 s[0:1], 62, v7
	v_cndmask_b32_e64 v8, 0, 1, s[0:1]
	s_waitcnt lgkmcnt(0)
	v_add_f32_e32 v4, v3, v4
	v_add_lshl_u32 v3, v6, v5, 2
	ds_bpermute_b32 v6, v3, v4
	v_lshlrev_b32_e32 v8, 1, v8
	v_cmp_ne_u32_e64 s[0:1], 63, v7
	s_waitcnt lgkmcnt(0)
	s_barrier
	v_add_f32_e32 v6, v4, v6
	v_add_lshl_u32 v4, v8, v5, 2
	ds_bpermute_b32 v8, v4, v6
	v_addc_co_u32_e64 v5, s[0:1], 0, v5, s[0:1]
	v_lshlrev_b32_e32 v5, 2, v5
	v_cmp_eq_u32_e64 s[0:1], 0, v2
	s_waitcnt lgkmcnt(0)
	v_add_f32_e32 v6, v6, v8
	ds_bpermute_b32 v7, v5, v6
	s_waitcnt lgkmcnt(0)
	s_and_saveexec_b64 s[4:5], s[0:1]
	s_cbranch_execz .LBB55_8
; %bb.7:
	v_add_f32_e32 v2, v6, v7
	v_lshrrev_b32_e32 v6, 4, v0
	v_and_b32_e32 v6, 28, v6
	ds_write_b32 v6, v2
.LBB55_8:
	s_or_b64 exec, exec, s[4:5]
	v_cmp_gt_u32_e64 s[0:1], 8, v0
	v_mov_b32_e32 v2, 0
	s_waitcnt lgkmcnt(0)
	s_barrier
	s_and_saveexec_b64 s[4:5], s[0:1]
	s_cbranch_execnz .LBB55_12
; %bb.9:
	s_or_b64 exec, exec, s[4:5]
	s_and_saveexec_b64 s[0:1], vcc
	s_cbranch_execnz .LBB55_13
.LBB55_10:
	s_or_b64 exec, exec, s[0:1]
	v_cmp_eq_u32_e32 vcc, 0, v0
	s_and_saveexec_b64 s[0:1], vcc
	s_cbranch_execnz .LBB55_14
.LBB55_11:
	s_endpgm
.LBB55_12:
	ds_read_b32 v2, v1
	s_or_b64 exec, exec, s[4:5]
	s_and_saveexec_b64 s[0:1], vcc
	s_cbranch_execz .LBB55_10
.LBB55_13:
	s_waitcnt lgkmcnt(0)
	ds_bpermute_b32 v1, v3, v2
	s_waitcnt lgkmcnt(0)
	v_add_f32_e32 v1, v2, v1
	ds_bpermute_b32 v2, v4, v1
	s_waitcnt lgkmcnt(0)
	v_add_f32_e32 v1, v1, v2
	;; [unrolled: 3-line block ×3, first 2 shown]
	s_or_b64 exec, exec, s[0:1]
	v_cmp_eq_u32_e32 vcc, 0, v0
	s_and_saveexec_b64 s[0:1], vcc
	s_cbranch_execz .LBB55_11
.LBB55_14:
	s_cmp_lg_u32 s22, 1
	s_cbranch_scc0 .LBB55_16
; %bb.15:
	s_mul_hi_u32 s1, s22, s2
	s_mul_i32 s0, s22, s2
	s_lshl_b64 s[0:1], s[0:1], 2
	s_mov_b32 s7, 0
	s_add_u32 s4, s16, s0
	s_addc_u32 s5, s17, s1
	s_lshl_b64 s[0:1], s[6:7], 2
	s_add_u32 s0, s4, s0
	s_addc_u32 s1, s5, s1
	s_cbranch_execz .LBB55_17
	s_branch .LBB55_18
.LBB55_16:
                                        ; implicit-def: $sgpr0_sgpr1
.LBB55_17:
	s_lshl_b64 s[0:1], s[2:3], 2
	s_add_u32 s0, s18, s0
	s_addc_u32 s1, s19, s1
.LBB55_18:
	v_mov_b32_e32 v0, 0
	s_waitcnt lgkmcnt(0)
	global_store_dword v0, v2, s[0:1]
	s_endpgm
	.section	.rodata,"a",@progbits
	.p2align	6, 0x0
	.amdhsa_kernel _ZL18rocblas_dot_kernelIlLb0ELi512ELi4ELb0EfPKffEviT5_lT_lS2_lS3_liPT6_PT4_
		.amdhsa_group_segment_fixed_size 256
		.amdhsa_private_segment_fixed_size 0
		.amdhsa_kernarg_size 352
		.amdhsa_user_sgpr_count 6
		.amdhsa_user_sgpr_private_segment_buffer 1
		.amdhsa_user_sgpr_dispatch_ptr 0
		.amdhsa_user_sgpr_queue_ptr 0
		.amdhsa_user_sgpr_kernarg_segment_ptr 1
		.amdhsa_user_sgpr_dispatch_id 0
		.amdhsa_user_sgpr_flat_scratch_init 0
		.amdhsa_user_sgpr_kernarg_preload_length 0
		.amdhsa_user_sgpr_kernarg_preload_offset 0
		.amdhsa_user_sgpr_private_segment_size 0
		.amdhsa_uses_dynamic_stack 0
		.amdhsa_system_sgpr_private_segment_wavefront_offset 0
		.amdhsa_system_sgpr_workgroup_id_x 1
		.amdhsa_system_sgpr_workgroup_id_y 0
		.amdhsa_system_sgpr_workgroup_id_z 1
		.amdhsa_system_sgpr_workgroup_info 0
		.amdhsa_system_vgpr_workitem_id 0
		.amdhsa_next_free_vgpr 11
		.amdhsa_next_free_sgpr 30
		.amdhsa_accum_offset 12
		.amdhsa_reserve_vcc 1
		.amdhsa_reserve_flat_scratch 0
		.amdhsa_float_round_mode_32 0
		.amdhsa_float_round_mode_16_64 0
		.amdhsa_float_denorm_mode_32 3
		.amdhsa_float_denorm_mode_16_64 3
		.amdhsa_dx10_clamp 1
		.amdhsa_ieee_mode 1
		.amdhsa_fp16_overflow 0
		.amdhsa_tg_split 0
		.amdhsa_exception_fp_ieee_invalid_op 0
		.amdhsa_exception_fp_denorm_src 0
		.amdhsa_exception_fp_ieee_div_zero 0
		.amdhsa_exception_fp_ieee_overflow 0
		.amdhsa_exception_fp_ieee_underflow 0
		.amdhsa_exception_fp_ieee_inexact 0
		.amdhsa_exception_int_div_zero 0
	.end_amdhsa_kernel
	.section	.text._ZL18rocblas_dot_kernelIlLb0ELi512ELi4ELb0EfPKffEviT5_lT_lS2_lS3_liPT6_PT4_,"axG",@progbits,_ZL18rocblas_dot_kernelIlLb0ELi512ELi4ELb0EfPKffEviT5_lT_lS2_lS3_liPT6_PT4_,comdat
.Lfunc_end55:
	.size	_ZL18rocblas_dot_kernelIlLb0ELi512ELi4ELb0EfPKffEviT5_lT_lS2_lS3_liPT6_PT4_, .Lfunc_end55-_ZL18rocblas_dot_kernelIlLb0ELi512ELi4ELb0EfPKffEviT5_lT_lS2_lS3_liPT6_PT4_
                                        ; -- End function
	.section	.AMDGPU.csdata,"",@progbits
; Kernel info:
; codeLenInByte = 1064
; NumSgprs: 34
; NumVgprs: 11
; NumAgprs: 0
; TotalNumVgprs: 11
; ScratchSize: 0
; MemoryBound: 0
; FloatMode: 240
; IeeeMode: 1
; LDSByteSize: 256 bytes/workgroup (compile time only)
; SGPRBlocks: 4
; VGPRBlocks: 1
; NumSGPRsForWavesPerEU: 34
; NumVGPRsForWavesPerEU: 11
; AccumOffset: 12
; Occupancy: 8
; WaveLimiterHint : 0
; COMPUTE_PGM_RSRC2:SCRATCH_EN: 0
; COMPUTE_PGM_RSRC2:USER_SGPR: 6
; COMPUTE_PGM_RSRC2:TRAP_HANDLER: 0
; COMPUTE_PGM_RSRC2:TGID_X_EN: 1
; COMPUTE_PGM_RSRC2:TGID_Y_EN: 0
; COMPUTE_PGM_RSRC2:TGID_Z_EN: 1
; COMPUTE_PGM_RSRC2:TIDIG_COMP_CNT: 0
; COMPUTE_PGM_RSRC3_GFX90A:ACCUM_OFFSET: 2
; COMPUTE_PGM_RSRC3_GFX90A:TG_SPLIT: 0
	.section	.text._ZL24rocblas_dot_kernel_magsqIlLb0ELi512ELi4ELb0EfPKffEviT5_lT_liPT6_PT4_,"axG",@progbits,_ZL24rocblas_dot_kernel_magsqIlLb0ELi512ELi4ELb0EfPKffEviT5_lT_liPT6_PT4_,comdat
	.globl	_ZL24rocblas_dot_kernel_magsqIlLb0ELi512ELi4ELb0EfPKffEviT5_lT_liPT6_PT4_ ; -- Begin function _ZL24rocblas_dot_kernel_magsqIlLb0ELi512ELi4ELb0EfPKffEviT5_lT_liPT6_PT4_
	.p2align	8
	.type	_ZL24rocblas_dot_kernel_magsqIlLb0ELi512ELi4ELb0EfPKffEviT5_lT_liPT6_PT4_,@function
_ZL24rocblas_dot_kernel_magsqIlLb0ELi512ELi4ELb0EfPKffEviT5_lT_liPT6_PT4_: ; @_ZL24rocblas_dot_kernel_magsqIlLb0ELi512ELi4ELb0EfPKffEviT5_lT_liPT6_PT4_
; %bb.0:
	s_mov_b32 s2, s7
	s_load_dword s7, s[4:5], 0x0
	s_load_dwordx4 s[8:11], s[4:5], 0x30
	s_load_dword s16, s[4:5], 0x40
	v_lshl_or_b32 v2, s6, 9, v0
	s_mov_b32 s3, 0
	s_waitcnt lgkmcnt(0)
	v_cmp_gt_i32_e32 vcc, s7, v2
	v_mov_b32_e32 v1, 0
	s_and_saveexec_b64 s[12:13], vcc
	s_cbranch_execz .LBB56_4
; %bb.1:
	s_load_dwordx2 s[0:1], s[4:5], 0x8
	s_load_dwordx4 s[20:23], s[4:5], 0x10
	s_load_dwordx2 s[14:15], s[4:5], 0x20
	s_lshl_b32 s17, s16, 9
	v_add_u32_e32 v4, s17, v2
	v_ashrrev_i32_e32 v1, 31, v2
	s_waitcnt lgkmcnt(0)
	v_mul_lo_u32 v5, s23, v2
	v_mad_u64_u32 v[2:3], s[4:5], s22, v2, 0
	s_mul_i32 s4, s15, s2
	s_mul_hi_u32 s5, s14, s2
	s_add_i32 s5, s5, s4
	s_mul_i32 s4, s14, s2
	s_lshl_b64 s[4:5], s[4:5], 2
	s_lshl_b64 s[14:15], s[20:21], 2
	v_mul_lo_u32 v1, s22, v1
	s_add_u32 s0, s0, s14
	v_add3_u32 v3, v3, v1, v5
	s_addc_u32 s1, s1, s15
	v_lshlrev_b64 v[2:3], 2, v[2:3]
	s_add_u32 s0, s0, s4
	s_addc_u32 s1, s1, s5
	v_add_co_u32_e32 v2, vcc, s0, v2
	s_ashr_i32 s0, s17, 31
	v_mov_b32_e32 v1, s1
	s_mul_i32 s0, s22, s0
	s_mul_hi_u32 s1, s22, s17
	s_add_i32 s0, s1, s0
	s_mul_i32 s1, s23, s17
	s_add_i32 s1, s0, s1
	s_mul_i32 s0, s22, s17
	s_lshl_b64 s[14:15], s[0:1], 2
	v_addc_co_u32_e32 v3, vcc, v1, v3, vcc
	s_mov_b64 s[4:5], 0
	v_mov_b32_e32 v1, 0
	v_mov_b32_e32 v5, s15
	s_mov_b32 s15, s3
.LBB56_2:                               ; =>This Inner Loop Header: Depth=1
	global_load_dword v6, v[2:3], off
	s_add_i32 s18, s15, 1
	v_add_co_u32_e64 v2, s[0:1], s14, v2
	v_addc_co_u32_e64 v3, s[0:1], v3, v5, s[0:1]
	s_cmp_gt_u32 s15, 2
	v_cmp_le_i32_e32 vcc, s7, v4
	s_cselect_b64 s[0:1], -1, 0
	s_or_b64 s[0:1], s[0:1], vcc
	s_and_b64 s[0:1], exec, s[0:1]
	v_add_u32_e32 v4, s17, v4
	s_mov_b32 s15, s18
	s_or_b64 s[4:5], s[0:1], s[4:5]
	s_waitcnt vmcnt(0)
	v_fmac_f32_e32 v1, v6, v6
	s_andn2_b64 exec, exec, s[4:5]
	s_cbranch_execnz .LBB56_2
; %bb.3:
	s_or_b64 exec, exec, s[4:5]
.LBB56_4:
	s_or_b64 exec, exec, s[12:13]
	v_and_b32_e32 v3, 63, v0
	v_cmp_gt_u32_e32 vcc, 64, v0
	v_lshlrev_b32_e32 v2, 2, v3
	s_and_saveexec_b64 s[0:1], vcc
	s_cbranch_execz .LBB56_6
; %bb.5:
	v_mov_b32_e32 v4, 0
	ds_write_b32 v2, v4
.LBB56_6:
	s_or_b64 exec, exec, s[0:1]
	v_mbcnt_lo_u32_b32 v4, -1, 0
	v_mbcnt_hi_u32_b32 v6, -1, v4
	v_and_b32_e32 v7, 63, v6
	v_cmp_gt_u32_e64 s[0:1], 32, v7
	v_cndmask_b32_e64 v4, 0, 1, s[0:1]
	v_lshlrev_b32_e32 v4, 5, v4
	v_add_lshl_u32 v4, v4, v6, 2
	ds_bpermute_b32 v4, v4, v1
	v_cmp_gt_u32_e64 s[0:1], 48, v7
	v_cndmask_b32_e64 v5, 0, 1, s[0:1]
	v_lshlrev_b32_e32 v5, 4, v5
	v_cmp_gt_u32_e64 s[0:1], 56, v7
	s_waitcnt lgkmcnt(0)
	v_add_f32_e32 v1, v1, v4
	v_add_lshl_u32 v4, v5, v6, 2
	ds_bpermute_b32 v4, v4, v1
	v_cndmask_b32_e64 v5, 0, 1, s[0:1]
	v_lshlrev_b32_e32 v5, 3, v5
	v_cmp_gt_u32_e64 s[0:1], 60, v7
	s_waitcnt lgkmcnt(0)
	v_add_f32_e32 v1, v1, v4
	v_add_lshl_u32 v4, v5, v6, 2
	ds_bpermute_b32 v4, v4, v1
	v_cndmask_b32_e64 v5, 0, 1, s[0:1]
	v_lshlrev_b32_e32 v5, 2, v5
	v_cmp_gt_u32_e64 s[0:1], 62, v7
	v_cndmask_b32_e64 v8, 0, 1, s[0:1]
	s_waitcnt lgkmcnt(0)
	v_add_f32_e32 v1, v1, v4
	v_add_lshl_u32 v4, v5, v6, 2
	ds_bpermute_b32 v5, v4, v1
	v_lshlrev_b32_e32 v8, 1, v8
	v_cmp_ne_u32_e64 s[0:1], 63, v7
	s_barrier
	s_waitcnt lgkmcnt(0)
	v_add_f32_e32 v1, v1, v5
	v_add_lshl_u32 v5, v8, v6, 2
	ds_bpermute_b32 v8, v5, v1
	v_addc_co_u32_e64 v6, s[0:1], 0, v6, s[0:1]
	v_lshlrev_b32_e32 v6, 2, v6
	v_cmp_eq_u32_e64 s[0:1], 0, v3
	s_waitcnt lgkmcnt(0)
	v_add_f32_e32 v1, v1, v8
	ds_bpermute_b32 v7, v6, v1
	s_and_saveexec_b64 s[4:5], s[0:1]
	s_cbranch_execz .LBB56_8
; %bb.7:
	v_lshrrev_b32_e32 v3, 4, v0
	s_waitcnt lgkmcnt(0)
	v_add_f32_e32 v1, v1, v7
	v_and_b32_e32 v3, 28, v3
	ds_write_b32 v3, v1
.LBB56_8:
	s_or_b64 exec, exec, s[4:5]
	v_cmp_gt_u32_e64 s[0:1], 8, v0
	v_mov_b32_e32 v1, 0
	s_waitcnt lgkmcnt(0)
	s_barrier
	s_and_saveexec_b64 s[4:5], s[0:1]
	s_cbranch_execnz .LBB56_12
; %bb.9:
	s_or_b64 exec, exec, s[4:5]
	s_and_saveexec_b64 s[0:1], vcc
	s_cbranch_execnz .LBB56_13
.LBB56_10:
	s_or_b64 exec, exec, s[0:1]
	v_cmp_eq_u32_e32 vcc, 0, v0
	s_and_saveexec_b64 s[0:1], vcc
	s_cbranch_execnz .LBB56_14
.LBB56_11:
	s_endpgm
.LBB56_12:
	ds_read_b32 v1, v2
	s_or_b64 exec, exec, s[4:5]
	s_and_saveexec_b64 s[0:1], vcc
	s_cbranch_execz .LBB56_10
.LBB56_13:
	s_waitcnt lgkmcnt(0)
	ds_bpermute_b32 v2, v4, v1
	s_waitcnt lgkmcnt(0)
	v_add_f32_e32 v1, v1, v2
	ds_bpermute_b32 v2, v5, v1
	s_waitcnt lgkmcnt(0)
	v_add_f32_e32 v1, v1, v2
	;; [unrolled: 3-line block ×3, first 2 shown]
	s_or_b64 exec, exec, s[0:1]
	v_cmp_eq_u32_e32 vcc, 0, v0
	s_and_saveexec_b64 s[0:1], vcc
	s_cbranch_execz .LBB56_11
.LBB56_14:
	s_cmp_lg_u32 s16, 1
	s_cbranch_scc0 .LBB56_16
; %bb.15:
	s_mul_hi_u32 s1, s16, s2
	s_mul_i32 s0, s16, s2
	s_lshl_b64 s[0:1], s[0:1], 2
	s_mov_b32 s7, 0
	s_add_u32 s4, s8, s0
	s_addc_u32 s5, s9, s1
	s_lshl_b64 s[0:1], s[6:7], 2
	s_add_u32 s0, s4, s0
	s_addc_u32 s1, s5, s1
	s_cbranch_execz .LBB56_17
	s_branch .LBB56_18
.LBB56_16:
                                        ; implicit-def: $sgpr0_sgpr1
.LBB56_17:
	s_lshl_b64 s[0:1], s[2:3], 2
	s_add_u32 s0, s10, s0
	s_addc_u32 s1, s11, s1
.LBB56_18:
	v_mov_b32_e32 v0, 0
	s_waitcnt lgkmcnt(0)
	global_store_dword v0, v1, s[0:1]
	s_endpgm
	.section	.rodata,"a",@progbits
	.p2align	6, 0x0
	.amdhsa_kernel _ZL24rocblas_dot_kernel_magsqIlLb0ELi512ELi4ELb0EfPKffEviT5_lT_liPT6_PT4_
		.amdhsa_group_segment_fixed_size 256
		.amdhsa_private_segment_fixed_size 0
		.amdhsa_kernarg_size 320
		.amdhsa_user_sgpr_count 6
		.amdhsa_user_sgpr_private_segment_buffer 1
		.amdhsa_user_sgpr_dispatch_ptr 0
		.amdhsa_user_sgpr_queue_ptr 0
		.amdhsa_user_sgpr_kernarg_segment_ptr 1
		.amdhsa_user_sgpr_dispatch_id 0
		.amdhsa_user_sgpr_flat_scratch_init 0
		.amdhsa_user_sgpr_kernarg_preload_length 0
		.amdhsa_user_sgpr_kernarg_preload_offset 0
		.amdhsa_user_sgpr_private_segment_size 0
		.amdhsa_uses_dynamic_stack 0
		.amdhsa_system_sgpr_private_segment_wavefront_offset 0
		.amdhsa_system_sgpr_workgroup_id_x 1
		.amdhsa_system_sgpr_workgroup_id_y 0
		.amdhsa_system_sgpr_workgroup_id_z 1
		.amdhsa_system_sgpr_workgroup_info 0
		.amdhsa_system_vgpr_workitem_id 0
		.amdhsa_next_free_vgpr 9
		.amdhsa_next_free_sgpr 24
		.amdhsa_accum_offset 12
		.amdhsa_reserve_vcc 1
		.amdhsa_reserve_flat_scratch 0
		.amdhsa_float_round_mode_32 0
		.amdhsa_float_round_mode_16_64 0
		.amdhsa_float_denorm_mode_32 3
		.amdhsa_float_denorm_mode_16_64 3
		.amdhsa_dx10_clamp 1
		.amdhsa_ieee_mode 1
		.amdhsa_fp16_overflow 0
		.amdhsa_tg_split 0
		.amdhsa_exception_fp_ieee_invalid_op 0
		.amdhsa_exception_fp_denorm_src 0
		.amdhsa_exception_fp_ieee_div_zero 0
		.amdhsa_exception_fp_ieee_overflow 0
		.amdhsa_exception_fp_ieee_underflow 0
		.amdhsa_exception_fp_ieee_inexact 0
		.amdhsa_exception_int_div_zero 0
	.end_amdhsa_kernel
	.section	.text._ZL24rocblas_dot_kernel_magsqIlLb0ELi512ELi4ELb0EfPKffEviT5_lT_liPT6_PT4_,"axG",@progbits,_ZL24rocblas_dot_kernel_magsqIlLb0ELi512ELi4ELb0EfPKffEviT5_lT_liPT6_PT4_,comdat
.Lfunc_end56:
	.size	_ZL24rocblas_dot_kernel_magsqIlLb0ELi512ELi4ELb0EfPKffEviT5_lT_liPT6_PT4_, .Lfunc_end56-_ZL24rocblas_dot_kernel_magsqIlLb0ELi512ELi4ELb0EfPKffEviT5_lT_liPT6_PT4_
                                        ; -- End function
	.section	.AMDGPU.csdata,"",@progbits
; Kernel info:
; codeLenInByte = 908
; NumSgprs: 28
; NumVgprs: 9
; NumAgprs: 0
; TotalNumVgprs: 9
; ScratchSize: 0
; MemoryBound: 0
; FloatMode: 240
; IeeeMode: 1
; LDSByteSize: 256 bytes/workgroup (compile time only)
; SGPRBlocks: 3
; VGPRBlocks: 1
; NumSGPRsForWavesPerEU: 28
; NumVGPRsForWavesPerEU: 9
; AccumOffset: 12
; Occupancy: 8
; WaveLimiterHint : 0
; COMPUTE_PGM_RSRC2:SCRATCH_EN: 0
; COMPUTE_PGM_RSRC2:USER_SGPR: 6
; COMPUTE_PGM_RSRC2:TRAP_HANDLER: 0
; COMPUTE_PGM_RSRC2:TGID_X_EN: 1
; COMPUTE_PGM_RSRC2:TGID_Y_EN: 0
; COMPUTE_PGM_RSRC2:TGID_Z_EN: 1
; COMPUTE_PGM_RSRC2:TIDIG_COMP_CNT: 0
; COMPUTE_PGM_RSRC3_GFX90A:ACCUM_OFFSET: 2
; COMPUTE_PGM_RSRC3_GFX90A:TG_SPLIT: 0
	.section	.text._ZL28rocblas_dot_batched_4_kernelIiLi32ELi4ELb0EddPKdEviT5_lT_lS2_lS3_liPT4_,"axG",@progbits,_ZL28rocblas_dot_batched_4_kernelIiLi32ELi4ELb0EddPKdEviT5_lT_lS2_lS3_liPT4_,comdat
	.globl	_ZL28rocblas_dot_batched_4_kernelIiLi32ELi4ELb0EddPKdEviT5_lT_lS2_lS3_liPT4_ ; -- Begin function _ZL28rocblas_dot_batched_4_kernelIiLi32ELi4ELb0EddPKdEviT5_lT_lS2_lS3_liPT4_
	.p2align	8
	.type	_ZL28rocblas_dot_batched_4_kernelIiLi32ELi4ELb0EddPKdEviT5_lT_lS2_lS3_liPT4_,@function
_ZL28rocblas_dot_batched_4_kernelIiLi32ELi4ELb0EddPKdEviT5_lT_lS2_lS3_liPT4_: ; @_ZL28rocblas_dot_batched_4_kernelIiLi32ELi4ELb0EddPKdEviT5_lT_lS2_lS3_liPT4_
; %bb.0:
	s_load_dword s0, s[4:5], 0x48
	v_bfe_u32 v1, v0, 10, 10
	v_lshl_add_u32 v2, s6, 2, v1
	s_waitcnt lgkmcnt(0)
	v_cmp_gt_u32_e32 vcc, s0, v2
	s_and_saveexec_b64 s[0:1], vcc
	s_cbranch_execz .LBB57_7
; %bb.1:
	s_load_dword s10, s[4:5], 0x0
	s_load_dwordx2 s[0:1], s[4:5], 0x50
	v_and_b32_e32 v8, 0x3ff, v0
	v_mov_b32_e32 v3, 0
	v_pk_mov_b32 v[0:1], 0, 0
	s_waitcnt lgkmcnt(0)
	v_cmp_gt_i32_e32 vcc, s10, v8
	s_and_saveexec_b64 s[2:3], vcc
	s_cbranch_execz .LBB57_5
; %bb.2:
	s_load_dwordx4 s[12:15], s[4:5], 0x8
	s_load_dword s6, s[4:5], 0x18
	s_load_dword s8, s[4:5], 0x38
	s_load_dwordx4 s[16:19], s[4:5], 0x20
	s_load_dwordx2 s[20:21], s[4:5], 0x30
	s_load_dwordx2 s[22:23], s[4:5], 0x40
	s_waitcnt lgkmcnt(0)
	v_mad_i64_i32 v[0:1], s[4:5], s6, v8, 0
	v_mad_u64_u32 v[4:5], s[4:5], s16, v2, 0
	v_mov_b32_e32 v6, v5
	v_mad_u64_u32 v[6:7], s[4:5], s17, v2, v[6:7]
	v_mov_b32_e32 v5, v6
	s_ashr_i32 s7, s6, 31
	s_ashr_i32 s9, s8, 31
	v_lshlrev_b64 v[0:1], 3, v[0:1]
	v_lshlrev_b64 v[4:5], 3, v[4:5]
	s_lshl_b64 s[4:5], s[14:15], 3
	v_add_co_u32_e32 v0, vcc, v0, v4
	s_add_u32 s4, s12, s4
	v_addc_co_u32_e32 v1, vcc, v1, v5, vcc
	s_addc_u32 s5, s13, s5
	v_mov_b32_e32 v5, s5
	v_add_co_u32_e32 v4, vcc, s4, v0
	s_lshl_b64 s[4:5], s[6:7], 8
	v_mad_u64_u32 v[6:7], s[6:7], s22, v2, 0
	v_mov_b32_e32 v10, v7
	v_mad_u64_u32 v[10:11], s[6:7], s23, v2, v[10:11]
	v_addc_co_u32_e32 v5, vcc, v5, v1, vcc
	v_mad_i64_i32 v[0:1], s[6:7], s8, v8, 0
	v_mov_b32_e32 v7, v10
	v_lshlrev_b64 v[0:1], 3, v[0:1]
	v_lshlrev_b64 v[6:7], 3, v[6:7]
	s_lshl_b64 s[6:7], s[20:21], 3
	v_add_co_u32_e32 v0, vcc, v0, v6
	s_add_u32 s6, s18, s6
	v_addc_co_u32_e32 v1, vcc, v1, v7, vcc
	s_addc_u32 s7, s19, s7
	v_mov_b32_e32 v7, s7
	v_add_co_u32_e32 v6, vcc, s6, v0
	s_lshl_b64 s[8:9], s[8:9], 8
	v_addc_co_u32_e32 v7, vcc, v7, v1, vcc
	s_mov_b64 s[6:7], 0
	v_pk_mov_b32 v[0:1], 0, 0
	v_mov_b32_e32 v9, s5
	v_mov_b32_e32 v10, s9
	;; [unrolled: 1-line block ×3, first 2 shown]
.LBB57_3:                               ; =>This Inner Loop Header: Depth=1
	global_load_dwordx2 v[12:13], v[4:5], off
	global_load_dwordx2 v[14:15], v[6:7], off
	v_add_co_u32_e32 v4, vcc, s4, v4
	v_addc_co_u32_e32 v5, vcc, v5, v9, vcc
	v_add_co_u32_e32 v6, vcc, s8, v6
	v_add_u32_e32 v11, 32, v11
	v_addc_co_u32_e32 v7, vcc, v7, v10, vcc
	v_cmp_le_i32_e32 vcc, s10, v11
	s_or_b64 s[6:7], vcc, s[6:7]
	s_waitcnt vmcnt(0)
	v_fmac_f64_e32 v[0:1], v[12:13], v[14:15]
	s_andn2_b64 exec, exec, s[6:7]
	s_cbranch_execnz .LBB57_3
; %bb.4:
	s_or_b64 exec, exec, s[6:7]
.LBB57_5:
	s_or_b64 exec, exec, s[2:3]
	v_mbcnt_lo_u32_b32 v4, -1, 0
	v_mbcnt_hi_u32_b32 v6, -1, v4
	v_and_b32_e32 v7, 63, v6
	v_cmp_gt_u32_e32 vcc, 48, v7
	v_cndmask_b32_e64 v4, 0, 1, vcc
	v_lshlrev_b32_e32 v4, 4, v4
	v_add_lshl_u32 v5, v4, v6, 2
	ds_bpermute_b32 v4, v5, v0
	ds_bpermute_b32 v5, v5, v1
	v_cmp_gt_u32_e32 vcc, 56, v7
	v_cndmask_b32_e64 v9, 0, 1, vcc
	v_cmp_gt_u32_e32 vcc, 60, v7
	s_waitcnt lgkmcnt(0)
	v_add_f64 v[0:1], v[0:1], v[4:5]
	v_lshlrev_b32_e32 v4, 3, v9
	v_add_lshl_u32 v5, v4, v6, 2
	ds_bpermute_b32 v4, v5, v0
	ds_bpermute_b32 v5, v5, v1
	s_barrier
	s_waitcnt lgkmcnt(0)
	v_add_f64 v[0:1], v[0:1], v[4:5]
	v_cndmask_b32_e64 v4, 0, 1, vcc
	v_lshlrev_b32_e32 v4, 2, v4
	v_add_lshl_u32 v5, v4, v6, 2
	ds_bpermute_b32 v4, v5, v0
	ds_bpermute_b32 v5, v5, v1
	v_cmp_gt_u32_e32 vcc, 62, v7
	s_waitcnt lgkmcnt(0)
	v_add_f64 v[0:1], v[0:1], v[4:5]
	v_cndmask_b32_e64 v4, 0, 1, vcc
	v_lshlrev_b32_e32 v4, 1, v4
	v_add_lshl_u32 v5, v4, v6, 2
	ds_bpermute_b32 v4, v5, v0
	ds_bpermute_b32 v5, v5, v1
	v_cmp_ne_u32_e32 vcc, 63, v7
	s_waitcnt lgkmcnt(0)
	v_add_f64 v[0:1], v[0:1], v[4:5]
	v_addc_co_u32_e32 v4, vcc, 0, v6, vcc
	v_lshlrev_b32_e32 v5, 2, v4
	ds_bpermute_b32 v4, v5, v0
	ds_bpermute_b32 v5, v5, v1
	v_cmp_eq_u32_e32 vcc, 0, v8
	s_and_b64 exec, exec, vcc
	s_cbranch_execz .LBB57_7
; %bb.6:
	v_lshlrev_b64 v[2:3], 3, v[2:3]
	v_mov_b32_e32 v6, s1
	v_add_co_u32_e32 v2, vcc, s0, v2
	v_addc_co_u32_e32 v3, vcc, v6, v3, vcc
	s_waitcnt lgkmcnt(0)
	v_add_f64 v[0:1], v[0:1], v[4:5]
	global_store_dwordx2 v[2:3], v[0:1], off
.LBB57_7:
	s_endpgm
	.section	.rodata,"a",@progbits
	.p2align	6, 0x0
	.amdhsa_kernel _ZL28rocblas_dot_batched_4_kernelIiLi32ELi4ELb0EddPKdEviT5_lT_lS2_lS3_liPT4_
		.amdhsa_group_segment_fixed_size 0
		.amdhsa_private_segment_fixed_size 0
		.amdhsa_kernarg_size 88
		.amdhsa_user_sgpr_count 6
		.amdhsa_user_sgpr_private_segment_buffer 1
		.amdhsa_user_sgpr_dispatch_ptr 0
		.amdhsa_user_sgpr_queue_ptr 0
		.amdhsa_user_sgpr_kernarg_segment_ptr 1
		.amdhsa_user_sgpr_dispatch_id 0
		.amdhsa_user_sgpr_flat_scratch_init 0
		.amdhsa_user_sgpr_kernarg_preload_length 0
		.amdhsa_user_sgpr_kernarg_preload_offset 0
		.amdhsa_user_sgpr_private_segment_size 0
		.amdhsa_uses_dynamic_stack 0
		.amdhsa_system_sgpr_private_segment_wavefront_offset 0
		.amdhsa_system_sgpr_workgroup_id_x 1
		.amdhsa_system_sgpr_workgroup_id_y 0
		.amdhsa_system_sgpr_workgroup_id_z 0
		.amdhsa_system_sgpr_workgroup_info 0
		.amdhsa_system_vgpr_workitem_id 1
		.amdhsa_next_free_vgpr 16
		.amdhsa_next_free_sgpr 24
		.amdhsa_accum_offset 16
		.amdhsa_reserve_vcc 1
		.amdhsa_reserve_flat_scratch 0
		.amdhsa_float_round_mode_32 0
		.amdhsa_float_round_mode_16_64 0
		.amdhsa_float_denorm_mode_32 3
		.amdhsa_float_denorm_mode_16_64 3
		.amdhsa_dx10_clamp 1
		.amdhsa_ieee_mode 1
		.amdhsa_fp16_overflow 0
		.amdhsa_tg_split 0
		.amdhsa_exception_fp_ieee_invalid_op 0
		.amdhsa_exception_fp_denorm_src 0
		.amdhsa_exception_fp_ieee_div_zero 0
		.amdhsa_exception_fp_ieee_overflow 0
		.amdhsa_exception_fp_ieee_underflow 0
		.amdhsa_exception_fp_ieee_inexact 0
		.amdhsa_exception_int_div_zero 0
	.end_amdhsa_kernel
	.section	.text._ZL28rocblas_dot_batched_4_kernelIiLi32ELi4ELb0EddPKdEviT5_lT_lS2_lS3_liPT4_,"axG",@progbits,_ZL28rocblas_dot_batched_4_kernelIiLi32ELi4ELb0EddPKdEviT5_lT_lS2_lS3_liPT4_,comdat
.Lfunc_end57:
	.size	_ZL28rocblas_dot_batched_4_kernelIiLi32ELi4ELb0EddPKdEviT5_lT_lS2_lS3_liPT4_, .Lfunc_end57-_ZL28rocblas_dot_batched_4_kernelIiLi32ELi4ELb0EddPKdEviT5_lT_lS2_lS3_liPT4_
                                        ; -- End function
	.section	.AMDGPU.csdata,"",@progbits
; Kernel info:
; codeLenInByte = 728
; NumSgprs: 28
; NumVgprs: 16
; NumAgprs: 0
; TotalNumVgprs: 16
; ScratchSize: 0
; MemoryBound: 0
; FloatMode: 240
; IeeeMode: 1
; LDSByteSize: 0 bytes/workgroup (compile time only)
; SGPRBlocks: 3
; VGPRBlocks: 1
; NumSGPRsForWavesPerEU: 28
; NumVGPRsForWavesPerEU: 16
; AccumOffset: 16
; Occupancy: 8
; WaveLimiterHint : 0
; COMPUTE_PGM_RSRC2:SCRATCH_EN: 0
; COMPUTE_PGM_RSRC2:USER_SGPR: 6
; COMPUTE_PGM_RSRC2:TRAP_HANDLER: 0
; COMPUTE_PGM_RSRC2:TGID_X_EN: 1
; COMPUTE_PGM_RSRC2:TGID_Y_EN: 0
; COMPUTE_PGM_RSRC2:TGID_Z_EN: 0
; COMPUTE_PGM_RSRC2:TIDIG_COMP_CNT: 1
; COMPUTE_PGM_RSRC3_GFX90A:ACCUM_OFFSET: 3
; COMPUTE_PGM_RSRC3_GFX90A:TG_SPLIT: 0
	.section	.text._ZL28rocblas_dot_batched_4_kernelIiLi64ELi4ELb0EddPKdEviT5_lT_lS2_lS3_liPT4_,"axG",@progbits,_ZL28rocblas_dot_batched_4_kernelIiLi64ELi4ELb0EddPKdEviT5_lT_lS2_lS3_liPT4_,comdat
	.globl	_ZL28rocblas_dot_batched_4_kernelIiLi64ELi4ELb0EddPKdEviT5_lT_lS2_lS3_liPT4_ ; -- Begin function _ZL28rocblas_dot_batched_4_kernelIiLi64ELi4ELb0EddPKdEviT5_lT_lS2_lS3_liPT4_
	.p2align	8
	.type	_ZL28rocblas_dot_batched_4_kernelIiLi64ELi4ELb0EddPKdEviT5_lT_lS2_lS3_liPT4_,@function
_ZL28rocblas_dot_batched_4_kernelIiLi64ELi4ELb0EddPKdEviT5_lT_lS2_lS3_liPT4_: ; @_ZL28rocblas_dot_batched_4_kernelIiLi64ELi4ELb0EddPKdEviT5_lT_lS2_lS3_liPT4_
; %bb.0:
	s_load_dword s0, s[4:5], 0x48
	v_bfe_u32 v1, v0, 10, 10
	v_lshl_add_u32 v2, s6, 2, v1
	s_waitcnt lgkmcnt(0)
	v_cmp_gt_u32_e32 vcc, s0, v2
	s_and_saveexec_b64 s[0:1], vcc
	s_cbranch_execz .LBB58_7
; %bb.1:
	s_load_dword s10, s[4:5], 0x0
	s_load_dwordx2 s[0:1], s[4:5], 0x50
	v_and_b32_e32 v8, 0x3ff, v0
	v_mov_b32_e32 v3, 0
	v_pk_mov_b32 v[0:1], 0, 0
	s_waitcnt lgkmcnt(0)
	v_cmp_gt_i32_e32 vcc, s10, v8
	s_and_saveexec_b64 s[2:3], vcc
	s_cbranch_execz .LBB58_5
; %bb.2:
	s_load_dwordx4 s[12:15], s[4:5], 0x8
	s_load_dword s6, s[4:5], 0x18
	s_load_dword s8, s[4:5], 0x38
	s_load_dwordx4 s[16:19], s[4:5], 0x20
	s_load_dwordx2 s[20:21], s[4:5], 0x30
	s_load_dwordx2 s[22:23], s[4:5], 0x40
	s_waitcnt lgkmcnt(0)
	v_mad_i64_i32 v[0:1], s[4:5], s6, v8, 0
	v_mad_u64_u32 v[4:5], s[4:5], s16, v2, 0
	v_mov_b32_e32 v6, v5
	v_mad_u64_u32 v[6:7], s[4:5], s17, v2, v[6:7]
	v_mov_b32_e32 v5, v6
	s_ashr_i32 s7, s6, 31
	s_ashr_i32 s9, s8, 31
	v_lshlrev_b64 v[0:1], 3, v[0:1]
	v_lshlrev_b64 v[4:5], 3, v[4:5]
	s_lshl_b64 s[4:5], s[14:15], 3
	v_add_co_u32_e32 v0, vcc, v0, v4
	s_add_u32 s4, s12, s4
	v_addc_co_u32_e32 v1, vcc, v1, v5, vcc
	s_addc_u32 s5, s13, s5
	v_mov_b32_e32 v5, s5
	v_add_co_u32_e32 v4, vcc, s4, v0
	s_lshl_b64 s[4:5], s[6:7], 9
	v_mad_u64_u32 v[6:7], s[6:7], s22, v2, 0
	v_mov_b32_e32 v10, v7
	v_mad_u64_u32 v[10:11], s[6:7], s23, v2, v[10:11]
	v_addc_co_u32_e32 v5, vcc, v5, v1, vcc
	v_mad_i64_i32 v[0:1], s[6:7], s8, v8, 0
	v_mov_b32_e32 v7, v10
	v_lshlrev_b64 v[0:1], 3, v[0:1]
	v_lshlrev_b64 v[6:7], 3, v[6:7]
	s_lshl_b64 s[6:7], s[20:21], 3
	v_add_co_u32_e32 v0, vcc, v0, v6
	s_add_u32 s6, s18, s6
	v_addc_co_u32_e32 v1, vcc, v1, v7, vcc
	s_addc_u32 s7, s19, s7
	v_mov_b32_e32 v7, s7
	v_add_co_u32_e32 v6, vcc, s6, v0
	s_lshl_b64 s[8:9], s[8:9], 9
	v_addc_co_u32_e32 v7, vcc, v7, v1, vcc
	s_mov_b64 s[6:7], 0
	v_pk_mov_b32 v[0:1], 0, 0
	v_mov_b32_e32 v9, s5
	v_mov_b32_e32 v10, s9
	;; [unrolled: 1-line block ×3, first 2 shown]
.LBB58_3:                               ; =>This Inner Loop Header: Depth=1
	global_load_dwordx2 v[12:13], v[4:5], off
	global_load_dwordx2 v[14:15], v[6:7], off
	v_add_co_u32_e32 v4, vcc, s4, v4
	v_addc_co_u32_e32 v5, vcc, v5, v9, vcc
	v_add_co_u32_e32 v6, vcc, s8, v6
	v_add_u32_e32 v11, 64, v11
	v_addc_co_u32_e32 v7, vcc, v7, v10, vcc
	v_cmp_le_i32_e32 vcc, s10, v11
	s_or_b64 s[6:7], vcc, s[6:7]
	s_waitcnt vmcnt(0)
	v_fmac_f64_e32 v[0:1], v[12:13], v[14:15]
	s_andn2_b64 exec, exec, s[6:7]
	s_cbranch_execnz .LBB58_3
; %bb.4:
	s_or_b64 exec, exec, s[6:7]
.LBB58_5:
	s_or_b64 exec, exec, s[2:3]
	v_mbcnt_lo_u32_b32 v4, -1, 0
	v_mbcnt_hi_u32_b32 v6, -1, v4
	v_and_b32_e32 v7, 63, v6
	v_cmp_gt_u32_e32 vcc, 32, v7
	v_cndmask_b32_e64 v4, 0, 1, vcc
	v_lshlrev_b32_e32 v4, 5, v4
	v_add_lshl_u32 v5, v4, v6, 2
	ds_bpermute_b32 v4, v5, v0
	ds_bpermute_b32 v5, v5, v1
	v_cmp_gt_u32_e32 vcc, 48, v7
	v_cndmask_b32_e64 v9, 0, 1, vcc
	v_cmp_gt_u32_e32 vcc, 56, v7
	s_waitcnt lgkmcnt(0)
	v_add_f64 v[0:1], v[0:1], v[4:5]
	v_lshlrev_b32_e32 v4, 4, v9
	v_add_lshl_u32 v5, v4, v6, 2
	ds_bpermute_b32 v4, v5, v0
	ds_bpermute_b32 v5, v5, v1
	s_barrier
	s_waitcnt lgkmcnt(0)
	v_add_f64 v[0:1], v[0:1], v[4:5]
	v_cndmask_b32_e64 v4, 0, 1, vcc
	v_lshlrev_b32_e32 v4, 3, v4
	v_add_lshl_u32 v5, v4, v6, 2
	ds_bpermute_b32 v4, v5, v0
	ds_bpermute_b32 v5, v5, v1
	v_cmp_gt_u32_e32 vcc, 60, v7
	s_waitcnt lgkmcnt(0)
	v_add_f64 v[0:1], v[0:1], v[4:5]
	v_cndmask_b32_e64 v4, 0, 1, vcc
	v_lshlrev_b32_e32 v4, 2, v4
	v_add_lshl_u32 v5, v4, v6, 2
	ds_bpermute_b32 v4, v5, v0
	ds_bpermute_b32 v5, v5, v1
	v_cmp_gt_u32_e32 vcc, 62, v7
	s_waitcnt lgkmcnt(0)
	v_add_f64 v[0:1], v[0:1], v[4:5]
	v_cndmask_b32_e64 v4, 0, 1, vcc
	v_lshlrev_b32_e32 v4, 1, v4
	v_add_lshl_u32 v5, v4, v6, 2
	ds_bpermute_b32 v4, v5, v0
	ds_bpermute_b32 v5, v5, v1
	v_cmp_ne_u32_e32 vcc, 63, v7
	s_waitcnt lgkmcnt(0)
	v_add_f64 v[0:1], v[0:1], v[4:5]
	v_addc_co_u32_e32 v4, vcc, 0, v6, vcc
	v_lshlrev_b32_e32 v5, 2, v4
	ds_bpermute_b32 v4, v5, v0
	ds_bpermute_b32 v5, v5, v1
	v_cmp_eq_u32_e32 vcc, 0, v8
	s_and_b64 exec, exec, vcc
	s_cbranch_execz .LBB58_7
; %bb.6:
	v_lshlrev_b64 v[2:3], 3, v[2:3]
	v_mov_b32_e32 v6, s1
	v_add_co_u32_e32 v2, vcc, s0, v2
	v_addc_co_u32_e32 v3, vcc, v6, v3, vcc
	s_waitcnt lgkmcnt(0)
	v_add_f64 v[0:1], v[0:1], v[4:5]
	global_store_dwordx2 v[2:3], v[0:1], off
.LBB58_7:
	s_endpgm
	.section	.rodata,"a",@progbits
	.p2align	6, 0x0
	.amdhsa_kernel _ZL28rocblas_dot_batched_4_kernelIiLi64ELi4ELb0EddPKdEviT5_lT_lS2_lS3_liPT4_
		.amdhsa_group_segment_fixed_size 0
		.amdhsa_private_segment_fixed_size 0
		.amdhsa_kernarg_size 88
		.amdhsa_user_sgpr_count 6
		.amdhsa_user_sgpr_private_segment_buffer 1
		.amdhsa_user_sgpr_dispatch_ptr 0
		.amdhsa_user_sgpr_queue_ptr 0
		.amdhsa_user_sgpr_kernarg_segment_ptr 1
		.amdhsa_user_sgpr_dispatch_id 0
		.amdhsa_user_sgpr_flat_scratch_init 0
		.amdhsa_user_sgpr_kernarg_preload_length 0
		.amdhsa_user_sgpr_kernarg_preload_offset 0
		.amdhsa_user_sgpr_private_segment_size 0
		.amdhsa_uses_dynamic_stack 0
		.amdhsa_system_sgpr_private_segment_wavefront_offset 0
		.amdhsa_system_sgpr_workgroup_id_x 1
		.amdhsa_system_sgpr_workgroup_id_y 0
		.amdhsa_system_sgpr_workgroup_id_z 0
		.amdhsa_system_sgpr_workgroup_info 0
		.amdhsa_system_vgpr_workitem_id 1
		.amdhsa_next_free_vgpr 16
		.amdhsa_next_free_sgpr 24
		.amdhsa_accum_offset 16
		.amdhsa_reserve_vcc 1
		.amdhsa_reserve_flat_scratch 0
		.amdhsa_float_round_mode_32 0
		.amdhsa_float_round_mode_16_64 0
		.amdhsa_float_denorm_mode_32 3
		.amdhsa_float_denorm_mode_16_64 3
		.amdhsa_dx10_clamp 1
		.amdhsa_ieee_mode 1
		.amdhsa_fp16_overflow 0
		.amdhsa_tg_split 0
		.amdhsa_exception_fp_ieee_invalid_op 0
		.amdhsa_exception_fp_denorm_src 0
		.amdhsa_exception_fp_ieee_div_zero 0
		.amdhsa_exception_fp_ieee_overflow 0
		.amdhsa_exception_fp_ieee_underflow 0
		.amdhsa_exception_fp_ieee_inexact 0
		.amdhsa_exception_int_div_zero 0
	.end_amdhsa_kernel
	.section	.text._ZL28rocblas_dot_batched_4_kernelIiLi64ELi4ELb0EddPKdEviT5_lT_lS2_lS3_liPT4_,"axG",@progbits,_ZL28rocblas_dot_batched_4_kernelIiLi64ELi4ELb0EddPKdEviT5_lT_lS2_lS3_liPT4_,comdat
.Lfunc_end58:
	.size	_ZL28rocblas_dot_batched_4_kernelIiLi64ELi4ELb0EddPKdEviT5_lT_lS2_lS3_liPT4_, .Lfunc_end58-_ZL28rocblas_dot_batched_4_kernelIiLi64ELi4ELb0EddPKdEviT5_lT_lS2_lS3_liPT4_
                                        ; -- End function
	.section	.AMDGPU.csdata,"",@progbits
; Kernel info:
; codeLenInByte = 780
; NumSgprs: 28
; NumVgprs: 16
; NumAgprs: 0
; TotalNumVgprs: 16
; ScratchSize: 0
; MemoryBound: 0
; FloatMode: 240
; IeeeMode: 1
; LDSByteSize: 0 bytes/workgroup (compile time only)
; SGPRBlocks: 3
; VGPRBlocks: 1
; NumSGPRsForWavesPerEU: 28
; NumVGPRsForWavesPerEU: 16
; AccumOffset: 16
; Occupancy: 8
; WaveLimiterHint : 0
; COMPUTE_PGM_RSRC2:SCRATCH_EN: 0
; COMPUTE_PGM_RSRC2:USER_SGPR: 6
; COMPUTE_PGM_RSRC2:TRAP_HANDLER: 0
; COMPUTE_PGM_RSRC2:TGID_X_EN: 1
; COMPUTE_PGM_RSRC2:TGID_Y_EN: 0
; COMPUTE_PGM_RSRC2:TGID_Z_EN: 0
; COMPUTE_PGM_RSRC2:TIDIG_COMP_CNT: 1
; COMPUTE_PGM_RSRC3_GFX90A:ACCUM_OFFSET: 3
; COMPUTE_PGM_RSRC3_GFX90A:TG_SPLIT: 0
	.section	.text._ZL26rocblas_dot_kernel_inc1by2ILb1ELi1024ELi32ELb0EdPKddEviT4_llS2_lliPT5_PT3_,"axG",@progbits,_ZL26rocblas_dot_kernel_inc1by2ILb1ELi1024ELi32ELb0EdPKddEviT4_llS2_lliPT5_PT3_,comdat
	.globl	_ZL26rocblas_dot_kernel_inc1by2ILb1ELi1024ELi32ELb0EdPKddEviT4_llS2_lliPT5_PT3_ ; -- Begin function _ZL26rocblas_dot_kernel_inc1by2ILb1ELi1024ELi32ELb0EdPKddEviT4_llS2_lliPT5_PT3_
	.p2align	8
	.type	_ZL26rocblas_dot_kernel_inc1by2ILb1ELi1024ELi32ELb0EdPKddEviT4_llS2_lliPT5_PT3_,@function
_ZL26rocblas_dot_kernel_inc1by2ILb1ELi1024ELi32ELb0EdPKddEviT4_llS2_lliPT5_PT3_: ; @_ZL26rocblas_dot_kernel_inc1by2ILb1ELi1024ELi32ELb0EdPKddEviT4_llS2_lliPT5_PT3_
; %bb.0:
	s_mov_b32 s2, s7
	s_load_dword s10, s[4:5], 0x0
	s_load_dwordx2 s[6:7], s[4:5], 0x48
	s_mov_b32 s3, 0
	v_pk_mov_b32 v[2:3], 0, 0
	s_waitcnt lgkmcnt(0)
	v_cmp_gt_i32_e32 vcc, s10, v0
	s_and_saveexec_b64 s[8:9], vcc
	s_cbranch_execz .LBB59_4
; %bb.1:
	s_load_dwordx4 s[12:15], s[4:5], 0x28
	s_load_dwordx2 s[0:1], s[4:5], 0x20
	s_load_dwordx2 s[20:21], s[4:5], 0x8
	s_load_dwordx4 s[16:19], s[4:5], 0x10
	v_lshlrev_b32_e32 v2, 3, v0
	s_waitcnt lgkmcnt(0)
	s_mul_i32 s4, s15, s2
	s_mul_hi_u32 s5, s14, s2
	s_add_i32 s5, s5, s4
	s_mul_i32 s4, s14, s2
	s_lshl_b64 s[4:5], s[4:5], 3
	s_lshl_b64 s[12:13], s[12:13], 3
	s_add_u32 s4, s4, s12
	s_addc_u32 s5, s5, s13
	s_add_u32 s0, s0, s4
	s_addc_u32 s1, s1, s5
	v_mov_b32_e32 v3, s1
	v_add_co_u32_e32 v4, vcc, s0, v2
	s_mul_i32 s0, s19, s2
	s_mul_hi_u32 s1, s18, s2
	s_add_i32 s1, s1, s0
	s_mul_i32 s0, s18, s2
	s_lshl_b64 s[0:1], s[0:1], 3
	s_lshl_b64 s[4:5], s[16:17], 3
	s_add_u32 s0, s0, s4
	s_addc_u32 s1, s1, s5
	s_add_u32 s0, s20, s0
	v_addc_co_u32_e32 v5, vcc, 0, v3, vcc
	s_addc_u32 s1, s21, s1
	v_mov_b32_e32 v3, s1
	v_add_co_u32_e32 v6, vcc, s0, v2
	v_or_b32_e32 v1, 0x400, v0
	v_addc_co_u32_e32 v7, vcc, 0, v3, vcc
	s_mov_b64 s[4:5], 0
	v_pk_mov_b32 v[2:3], 0, 0
	s_mov_b32 s11, s3
.LBB59_2:                               ; =>This Inner Loop Header: Depth=1
	global_load_dwordx2 v[8:9], v[4:5], off
	global_load_dwordx2 v[10:11], v[6:7], off
	s_add_i32 s12, s11, 1
	s_cmp_gt_u32 s11, 30
	v_cmp_le_i32_e64 s[0:1], s10, v1
	v_add_co_u32_e32 v4, vcc, 0x2000, v4
	s_mov_b32 s11, s12
	s_cselect_b64 s[12:13], -1, 0
	v_addc_co_u32_e32 v5, vcc, 0, v5, vcc
	s_or_b64 s[0:1], s[12:13], s[0:1]
	v_add_co_u32_e32 v6, vcc, 0x2000, v6
	s_and_b64 s[0:1], exec, s[0:1]
	v_add_u32_e32 v1, 0x400, v1
	v_addc_co_u32_e32 v7, vcc, 0, v7, vcc
	s_or_b64 s[4:5], s[0:1], s[4:5]
	s_waitcnt vmcnt(0)
	v_fmac_f64_e32 v[2:3], v[8:9], v[10:11]
	s_andn2_b64 exec, exec, s[4:5]
	s_cbranch_execnz .LBB59_2
; %bb.3:
	s_or_b64 exec, exec, s[4:5]
.LBB59_4:
	s_or_b64 exec, exec, s[8:9]
	v_and_b32_e32 v6, 63, v0
	v_cmp_gt_u32_e32 vcc, 64, v0
	v_lshlrev_b32_e32 v1, 3, v6
	s_and_saveexec_b64 s[0:1], vcc
	s_cbranch_execz .LBB59_6
; %bb.5:
	v_mov_b32_e32 v4, 0
	v_mov_b32_e32 v5, v4
	ds_write_b64 v1, v[4:5]
.LBB59_6:
	s_or_b64 exec, exec, s[0:1]
	v_mbcnt_lo_u32_b32 v4, -1, 0
	v_mbcnt_hi_u32_b32 v10, -1, v4
	v_and_b32_e32 v11, 63, v10
	v_cmp_gt_u32_e64 s[0:1], 32, v11
	v_cndmask_b32_e64 v4, 0, 1, s[0:1]
	v_lshlrev_b32_e32 v4, 5, v4
	v_add_lshl_u32 v5, v4, v10, 2
	ds_bpermute_b32 v4, v5, v2
	ds_bpermute_b32 v5, v5, v3
	v_cmp_gt_u32_e64 s[0:1], 48, v11
	v_cndmask_b32_e64 v7, 0, 1, s[0:1]
	v_cmp_gt_u32_e64 s[0:1], 56, v11
	s_waitcnt lgkmcnt(0)
	v_add_f64 v[2:3], v[2:3], v[4:5]
	v_lshlrev_b32_e32 v4, 4, v7
	v_add_lshl_u32 v5, v4, v10, 2
	ds_bpermute_b32 v4, v5, v2
	ds_bpermute_b32 v5, v5, v3
	s_barrier
	s_waitcnt lgkmcnt(0)
	v_add_f64 v[2:3], v[2:3], v[4:5]
	v_cndmask_b32_e64 v4, 0, 1, s[0:1]
	v_lshlrev_b32_e32 v4, 3, v4
	v_add_lshl_u32 v7, v4, v10, 2
	ds_bpermute_b32 v4, v7, v2
	ds_bpermute_b32 v5, v7, v3
	v_cmp_gt_u32_e64 s[0:1], 60, v11
	s_waitcnt lgkmcnt(0)
	v_add_f64 v[2:3], v[2:3], v[4:5]
	v_cndmask_b32_e64 v4, 0, 1, s[0:1]
	v_lshlrev_b32_e32 v4, 2, v4
	v_add_lshl_u32 v8, v4, v10, 2
	ds_bpermute_b32 v4, v8, v2
	ds_bpermute_b32 v5, v8, v3
	v_cmp_gt_u32_e64 s[0:1], 62, v11
	s_waitcnt lgkmcnt(0)
	v_add_f64 v[2:3], v[2:3], v[4:5]
	v_cndmask_b32_e64 v4, 0, 1, s[0:1]
	v_lshlrev_b32_e32 v4, 1, v4
	v_add_lshl_u32 v9, v4, v10, 2
	ds_bpermute_b32 v4, v9, v2
	ds_bpermute_b32 v5, v9, v3
	v_cmp_ne_u32_e64 s[0:1], 63, v11
	s_waitcnt lgkmcnt(0)
	v_add_f64 v[2:3], v[2:3], v[4:5]
	v_addc_co_u32_e64 v4, s[0:1], 0, v10, s[0:1]
	v_lshlrev_b32_e32 v10, 2, v4
	ds_bpermute_b32 v4, v10, v2
	ds_bpermute_b32 v5, v10, v3
	v_cmp_eq_u32_e64 s[0:1], 0, v6
	s_and_saveexec_b64 s[4:5], s[0:1]
	s_cbranch_execz .LBB59_8
; %bb.7:
	s_waitcnt lgkmcnt(0)
	v_add_f64 v[2:3], v[2:3], v[4:5]
	v_lshrrev_b32_e32 v4, 3, v0
	v_and_b32_e32 v4, 0x78, v4
	ds_write_b64 v4, v[2:3]
.LBB59_8:
	s_or_b64 exec, exec, s[4:5]
	v_cmp_gt_u32_e64 s[0:1], 16, v0
	v_pk_mov_b32 v[2:3], 0, 0
	s_waitcnt lgkmcnt(0)
	s_barrier
	s_and_saveexec_b64 s[4:5], s[0:1]
	s_cbranch_execnz .LBB59_12
; %bb.9:
	s_or_b64 exec, exec, s[4:5]
	s_and_saveexec_b64 s[0:1], vcc
	s_cbranch_execnz .LBB59_13
.LBB59_10:
	s_or_b64 exec, exec, s[0:1]
	v_cmp_eq_u32_e32 vcc, 0, v0
	s_and_saveexec_b64 s[0:1], vcc
	s_cbranch_execnz .LBB59_14
.LBB59_11:
	s_endpgm
.LBB59_12:
	ds_read_b64 v[2:3], v1
	s_or_b64 exec, exec, s[4:5]
	s_and_saveexec_b64 s[0:1], vcc
	s_cbranch_execz .LBB59_10
.LBB59_13:
	s_waitcnt lgkmcnt(0)
	ds_bpermute_b32 v4, v7, v2
	ds_bpermute_b32 v5, v7, v3
	s_waitcnt lgkmcnt(0)
	v_add_f64 v[2:3], v[2:3], v[4:5]
	ds_bpermute_b32 v4, v8, v2
	ds_bpermute_b32 v5, v8, v3
	s_waitcnt lgkmcnt(0)
	v_add_f64 v[2:3], v[2:3], v[4:5]
	;; [unrolled: 4-line block ×4, first 2 shown]
	s_or_b64 exec, exec, s[0:1]
	v_cmp_eq_u32_e32 vcc, 0, v0
	s_and_saveexec_b64 s[0:1], vcc
	s_cbranch_execz .LBB59_11
.LBB59_14:
	s_lshl_b64 s[0:1], s[2:3], 3
	s_add_u32 s0, s6, s0
	s_addc_u32 s1, s7, s1
	v_mov_b32_e32 v0, 0
	s_waitcnt lgkmcnt(0)
	global_store_dwordx2 v0, v[2:3], s[0:1]
	s_endpgm
	.section	.rodata,"a",@progbits
	.p2align	6, 0x0
	.amdhsa_kernel _ZL26rocblas_dot_kernel_inc1by2ILb1ELi1024ELi32ELb0EdPKddEviT4_llS2_lliPT5_PT3_
		.amdhsa_group_segment_fixed_size 512
		.amdhsa_private_segment_fixed_size 0
		.amdhsa_kernarg_size 80
		.amdhsa_user_sgpr_count 6
		.amdhsa_user_sgpr_private_segment_buffer 1
		.amdhsa_user_sgpr_dispatch_ptr 0
		.amdhsa_user_sgpr_queue_ptr 0
		.amdhsa_user_sgpr_kernarg_segment_ptr 1
		.amdhsa_user_sgpr_dispatch_id 0
		.amdhsa_user_sgpr_flat_scratch_init 0
		.amdhsa_user_sgpr_kernarg_preload_length 0
		.amdhsa_user_sgpr_kernarg_preload_offset 0
		.amdhsa_user_sgpr_private_segment_size 0
		.amdhsa_uses_dynamic_stack 0
		.amdhsa_system_sgpr_private_segment_wavefront_offset 0
		.amdhsa_system_sgpr_workgroup_id_x 1
		.amdhsa_system_sgpr_workgroup_id_y 0
		.amdhsa_system_sgpr_workgroup_id_z 1
		.amdhsa_system_sgpr_workgroup_info 0
		.amdhsa_system_vgpr_workitem_id 0
		.amdhsa_next_free_vgpr 12
		.amdhsa_next_free_sgpr 22
		.amdhsa_accum_offset 12
		.amdhsa_reserve_vcc 1
		.amdhsa_reserve_flat_scratch 0
		.amdhsa_float_round_mode_32 0
		.amdhsa_float_round_mode_16_64 0
		.amdhsa_float_denorm_mode_32 3
		.amdhsa_float_denorm_mode_16_64 3
		.amdhsa_dx10_clamp 1
		.amdhsa_ieee_mode 1
		.amdhsa_fp16_overflow 0
		.amdhsa_tg_split 0
		.amdhsa_exception_fp_ieee_invalid_op 0
		.amdhsa_exception_fp_denorm_src 0
		.amdhsa_exception_fp_ieee_div_zero 0
		.amdhsa_exception_fp_ieee_overflow 0
		.amdhsa_exception_fp_ieee_underflow 0
		.amdhsa_exception_fp_ieee_inexact 0
		.amdhsa_exception_int_div_zero 0
	.end_amdhsa_kernel
	.section	.text._ZL26rocblas_dot_kernel_inc1by2ILb1ELi1024ELi32ELb0EdPKddEviT4_llS2_lliPT5_PT3_,"axG",@progbits,_ZL26rocblas_dot_kernel_inc1by2ILb1ELi1024ELi32ELb0EdPKddEviT4_llS2_lliPT5_PT3_,comdat
.Lfunc_end59:
	.size	_ZL26rocblas_dot_kernel_inc1by2ILb1ELi1024ELi32ELb0EdPKddEviT4_llS2_lliPT5_PT3_, .Lfunc_end59-_ZL26rocblas_dot_kernel_inc1by2ILb1ELi1024ELi32ELb0EdPKddEviT4_llS2_lliPT5_PT3_
                                        ; -- End function
	.section	.AMDGPU.csdata,"",@progbits
; Kernel info:
; codeLenInByte = 1004
; NumSgprs: 26
; NumVgprs: 12
; NumAgprs: 0
; TotalNumVgprs: 12
; ScratchSize: 0
; MemoryBound: 0
; FloatMode: 240
; IeeeMode: 1
; LDSByteSize: 512 bytes/workgroup (compile time only)
; SGPRBlocks: 3
; VGPRBlocks: 1
; NumSGPRsForWavesPerEU: 26
; NumVGPRsForWavesPerEU: 12
; AccumOffset: 12
; Occupancy: 8
; WaveLimiterHint : 0
; COMPUTE_PGM_RSRC2:SCRATCH_EN: 0
; COMPUTE_PGM_RSRC2:USER_SGPR: 6
; COMPUTE_PGM_RSRC2:TRAP_HANDLER: 0
; COMPUTE_PGM_RSRC2:TGID_X_EN: 1
; COMPUTE_PGM_RSRC2:TGID_Y_EN: 0
; COMPUTE_PGM_RSRC2:TGID_Z_EN: 1
; COMPUTE_PGM_RSRC2:TIDIG_COMP_CNT: 0
; COMPUTE_PGM_RSRC3_GFX90A:ACCUM_OFFSET: 2
; COMPUTE_PGM_RSRC3_GFX90A:TG_SPLIT: 0
	.section	.text._ZL18rocblas_dot_kernelIiLb1ELi1024ELi32ELb0EdPKddEviT5_lT_lS2_lS3_liPT6_PT4_,"axG",@progbits,_ZL18rocblas_dot_kernelIiLb1ELi1024ELi32ELb0EdPKddEviT5_lT_lS2_lS3_liPT6_PT4_,comdat
	.globl	_ZL18rocblas_dot_kernelIiLb1ELi1024ELi32ELb0EdPKddEviT5_lT_lS2_lS3_liPT6_PT4_ ; -- Begin function _ZL18rocblas_dot_kernelIiLb1ELi1024ELi32ELb0EdPKddEviT5_lT_lS2_lS3_liPT6_PT4_
	.p2align	8
	.type	_ZL18rocblas_dot_kernelIiLb1ELi1024ELi32ELb0EdPKddEviT5_lT_lS2_lS3_liPT6_PT4_,@function
_ZL18rocblas_dot_kernelIiLb1ELi1024ELi32ELb0EdPKddEviT5_lT_lS2_lS3_liPT6_PT4_: ; @_ZL18rocblas_dot_kernelIiLb1ELi1024ELi32ELb0EdPKddEviT5_lT_lS2_lS3_liPT6_PT4_
; %bb.0:
	s_load_dword s14, s[4:5], 0x0
	s_load_dwordx2 s[8:9], s[4:5], 0x58
	s_mov_b32 s6, s7
	s_mov_b32 s7, 0
	v_pk_mov_b32 v[2:3], 0, 0
	s_waitcnt lgkmcnt(0)
	v_cmp_gt_i32_e32 vcc, s14, v0
	s_and_saveexec_b64 s[10:11], vcc
	s_cbranch_execz .LBB60_4
; %bb.1:
	s_load_dword s22, s[4:5], 0x38
	s_load_dwordx2 s[12:13], s[4:5], 0x40
	s_load_dword s15, s[4:5], 0x60
	s_load_dwordx4 s[0:3], s[4:5], 0x20
	s_load_dwordx4 s[16:19], s[4:5], 0x8
	s_load_dword s23, s[4:5], 0x18
	s_load_dwordx2 s[20:21], s[4:5], 0x30
	s_waitcnt lgkmcnt(0)
	s_lshl_b32 s15, s15, 10
	s_mul_i32 s1, s1, s6
	s_mul_hi_u32 s4, s0, s6
	s_add_i32 s1, s4, s1
	s_mul_i32 s0, s0, s6
	v_mad_i64_i32 v[2:3], s[4:5], s23, v0, 0
	s_lshl_b64 s[0:1], s[0:1], 3
	s_lshl_b64 s[4:5], s[18:19], 3
	s_add_u32 s4, s16, s4
	s_addc_u32 s5, s17, s5
	s_add_u32 s0, s4, s0
	v_lshlrev_b64 v[2:3], 3, v[2:3]
	s_addc_u32 s1, s5, s1
	v_mov_b32_e32 v5, s1
	v_add_co_u32_e32 v4, vcc, s0, v2
	s_mul_hi_i32 s1, s23, s15
	s_mul_i32 s0, s23, s15
	s_lshl_b64 s[4:5], s[0:1], 3
	s_mul_i32 s0, s13, s6
	s_mul_hi_u32 s1, s12, s6
	v_addc_co_u32_e32 v5, vcc, v5, v3, vcc
	s_add_i32 s1, s1, s0
	s_mul_i32 s0, s12, s6
	v_mad_i64_i32 v[2:3], s[12:13], s22, v0, 0
	s_lshl_b64 s[0:1], s[0:1], 3
	s_lshl_b64 s[12:13], s[20:21], 3
	s_add_u32 s2, s2, s12
	s_addc_u32 s3, s3, s13
	s_add_u32 s0, s2, s0
	v_lshlrev_b64 v[2:3], 3, v[2:3]
	s_addc_u32 s1, s3, s1
	v_mov_b32_e32 v7, s1
	v_add_co_u32_e32 v6, vcc, s0, v2
	s_mul_hi_i32 s1, s22, s15
	s_mul_i32 s0, s22, s15
	s_lshl_b64 s[12:13], s[0:1], 3
	v_or_b32_e32 v1, s15, v0
	v_addc_co_u32_e32 v7, vcc, v7, v3, vcc
	s_mov_b64 s[2:3], 0
	v_pk_mov_b32 v[2:3], 0, 0
	v_mov_b32_e32 v8, s5
	v_mov_b32_e32 v9, s13
	s_mov_b32 s5, s7
.LBB60_2:                               ; =>This Inner Loop Header: Depth=1
	global_load_dwordx2 v[10:11], v[6:7], off
	global_load_dwordx2 v[12:13], v[4:5], off
	v_add_co_u32_e64 v4, s[0:1], s4, v4
	v_addc_co_u32_e64 v5, s[0:1], v5, v8, s[0:1]
	s_add_i32 s13, s5, 1
	v_add_co_u32_e64 v6, s[0:1], s12, v6
	v_addc_co_u32_e64 v7, s[0:1], v7, v9, s[0:1]
	s_cmp_gt_u32 s5, 30
	v_cmp_le_i32_e32 vcc, s14, v1
	s_cselect_b64 s[0:1], -1, 0
	s_or_b64 s[0:1], s[0:1], vcc
	s_and_b64 s[0:1], exec, s[0:1]
	v_add_u32_e32 v1, s15, v1
	s_mov_b32 s5, s13
	s_or_b64 s[2:3], s[0:1], s[2:3]
	s_waitcnt vmcnt(0)
	v_fmac_f64_e32 v[2:3], v[10:11], v[12:13]
	s_andn2_b64 exec, exec, s[2:3]
	s_cbranch_execnz .LBB60_2
; %bb.3:
	s_or_b64 exec, exec, s[2:3]
.LBB60_4:
	s_or_b64 exec, exec, s[10:11]
	v_and_b32_e32 v6, 63, v0
	v_cmp_gt_u32_e32 vcc, 64, v0
	v_lshlrev_b32_e32 v1, 3, v6
	s_and_saveexec_b64 s[0:1], vcc
	s_cbranch_execz .LBB60_6
; %bb.5:
	v_mov_b32_e32 v4, 0
	v_mov_b32_e32 v5, v4
	ds_write_b64 v1, v[4:5]
.LBB60_6:
	s_or_b64 exec, exec, s[0:1]
	v_mbcnt_lo_u32_b32 v4, -1, 0
	v_mbcnt_hi_u32_b32 v10, -1, v4
	v_and_b32_e32 v11, 63, v10
	v_cmp_gt_u32_e64 s[0:1], 32, v11
	v_cndmask_b32_e64 v4, 0, 1, s[0:1]
	v_lshlrev_b32_e32 v4, 5, v4
	v_add_lshl_u32 v5, v4, v10, 2
	ds_bpermute_b32 v4, v5, v2
	ds_bpermute_b32 v5, v5, v3
	v_cmp_gt_u32_e64 s[0:1], 48, v11
	v_cndmask_b32_e64 v7, 0, 1, s[0:1]
	v_cmp_gt_u32_e64 s[0:1], 56, v11
	s_waitcnt lgkmcnt(0)
	v_add_f64 v[2:3], v[2:3], v[4:5]
	v_lshlrev_b32_e32 v4, 4, v7
	v_add_lshl_u32 v5, v4, v10, 2
	ds_bpermute_b32 v4, v5, v2
	ds_bpermute_b32 v5, v5, v3
	s_barrier
	s_waitcnt lgkmcnt(0)
	v_add_f64 v[2:3], v[2:3], v[4:5]
	v_cndmask_b32_e64 v4, 0, 1, s[0:1]
	v_lshlrev_b32_e32 v4, 3, v4
	v_add_lshl_u32 v7, v4, v10, 2
	ds_bpermute_b32 v4, v7, v2
	ds_bpermute_b32 v5, v7, v3
	v_cmp_gt_u32_e64 s[0:1], 60, v11
	s_waitcnt lgkmcnt(0)
	v_add_f64 v[2:3], v[2:3], v[4:5]
	v_cndmask_b32_e64 v4, 0, 1, s[0:1]
	v_lshlrev_b32_e32 v4, 2, v4
	v_add_lshl_u32 v8, v4, v10, 2
	ds_bpermute_b32 v4, v8, v2
	ds_bpermute_b32 v5, v8, v3
	v_cmp_gt_u32_e64 s[0:1], 62, v11
	s_waitcnt lgkmcnt(0)
	v_add_f64 v[2:3], v[2:3], v[4:5]
	v_cndmask_b32_e64 v4, 0, 1, s[0:1]
	v_lshlrev_b32_e32 v4, 1, v4
	v_add_lshl_u32 v9, v4, v10, 2
	ds_bpermute_b32 v4, v9, v2
	ds_bpermute_b32 v5, v9, v3
	v_cmp_ne_u32_e64 s[0:1], 63, v11
	s_waitcnt lgkmcnt(0)
	v_add_f64 v[2:3], v[2:3], v[4:5]
	v_addc_co_u32_e64 v4, s[0:1], 0, v10, s[0:1]
	v_lshlrev_b32_e32 v10, 2, v4
	ds_bpermute_b32 v4, v10, v2
	ds_bpermute_b32 v5, v10, v3
	v_cmp_eq_u32_e64 s[0:1], 0, v6
	s_and_saveexec_b64 s[2:3], s[0:1]
	s_cbranch_execz .LBB60_8
; %bb.7:
	s_waitcnt lgkmcnt(0)
	v_add_f64 v[2:3], v[2:3], v[4:5]
	v_lshrrev_b32_e32 v4, 3, v0
	v_and_b32_e32 v4, 0x78, v4
	ds_write_b64 v4, v[2:3]
.LBB60_8:
	s_or_b64 exec, exec, s[2:3]
	v_cmp_gt_u32_e64 s[0:1], 16, v0
	v_pk_mov_b32 v[2:3], 0, 0
	s_waitcnt lgkmcnt(0)
	s_barrier
	s_and_saveexec_b64 s[2:3], s[0:1]
	s_cbranch_execnz .LBB60_12
; %bb.9:
	s_or_b64 exec, exec, s[2:3]
	s_and_saveexec_b64 s[0:1], vcc
	s_cbranch_execnz .LBB60_13
.LBB60_10:
	s_or_b64 exec, exec, s[0:1]
	v_cmp_eq_u32_e32 vcc, 0, v0
	s_and_saveexec_b64 s[0:1], vcc
	s_cbranch_execnz .LBB60_14
.LBB60_11:
	s_endpgm
.LBB60_12:
	ds_read_b64 v[2:3], v1
	s_or_b64 exec, exec, s[2:3]
	s_and_saveexec_b64 s[0:1], vcc
	s_cbranch_execz .LBB60_10
.LBB60_13:
	s_waitcnt lgkmcnt(0)
	ds_bpermute_b32 v4, v7, v2
	ds_bpermute_b32 v5, v7, v3
	s_waitcnt lgkmcnt(0)
	v_add_f64 v[2:3], v[2:3], v[4:5]
	ds_bpermute_b32 v4, v8, v2
	ds_bpermute_b32 v5, v8, v3
	s_waitcnt lgkmcnt(0)
	v_add_f64 v[2:3], v[2:3], v[4:5]
	;; [unrolled: 4-line block ×4, first 2 shown]
	s_or_b64 exec, exec, s[0:1]
	v_cmp_eq_u32_e32 vcc, 0, v0
	s_and_saveexec_b64 s[0:1], vcc
	s_cbranch_execz .LBB60_11
.LBB60_14:
	s_lshl_b64 s[0:1], s[6:7], 3
	s_add_u32 s0, s8, s0
	s_addc_u32 s1, s9, s1
	v_mov_b32_e32 v0, 0
	s_waitcnt lgkmcnt(0)
	global_store_dwordx2 v0, v[2:3], s[0:1]
	s_endpgm
	.section	.rodata,"a",@progbits
	.p2align	6, 0x0
	.amdhsa_kernel _ZL18rocblas_dot_kernelIiLb1ELi1024ELi32ELb0EdPKddEviT5_lT_lS2_lS3_liPT6_PT4_
		.amdhsa_group_segment_fixed_size 512
		.amdhsa_private_segment_fixed_size 0
		.amdhsa_kernarg_size 352
		.amdhsa_user_sgpr_count 6
		.amdhsa_user_sgpr_private_segment_buffer 1
		.amdhsa_user_sgpr_dispatch_ptr 0
		.amdhsa_user_sgpr_queue_ptr 0
		.amdhsa_user_sgpr_kernarg_segment_ptr 1
		.amdhsa_user_sgpr_dispatch_id 0
		.amdhsa_user_sgpr_flat_scratch_init 0
		.amdhsa_user_sgpr_kernarg_preload_length 0
		.amdhsa_user_sgpr_kernarg_preload_offset 0
		.amdhsa_user_sgpr_private_segment_size 0
		.amdhsa_uses_dynamic_stack 0
		.amdhsa_system_sgpr_private_segment_wavefront_offset 0
		.amdhsa_system_sgpr_workgroup_id_x 1
		.amdhsa_system_sgpr_workgroup_id_y 0
		.amdhsa_system_sgpr_workgroup_id_z 1
		.amdhsa_system_sgpr_workgroup_info 0
		.amdhsa_system_vgpr_workitem_id 0
		.amdhsa_next_free_vgpr 14
		.amdhsa_next_free_sgpr 24
		.amdhsa_accum_offset 16
		.amdhsa_reserve_vcc 1
		.amdhsa_reserve_flat_scratch 0
		.amdhsa_float_round_mode_32 0
		.amdhsa_float_round_mode_16_64 0
		.amdhsa_float_denorm_mode_32 3
		.amdhsa_float_denorm_mode_16_64 3
		.amdhsa_dx10_clamp 1
		.amdhsa_ieee_mode 1
		.amdhsa_fp16_overflow 0
		.amdhsa_tg_split 0
		.amdhsa_exception_fp_ieee_invalid_op 0
		.amdhsa_exception_fp_denorm_src 0
		.amdhsa_exception_fp_ieee_div_zero 0
		.amdhsa_exception_fp_ieee_overflow 0
		.amdhsa_exception_fp_ieee_underflow 0
		.amdhsa_exception_fp_ieee_inexact 0
		.amdhsa_exception_int_div_zero 0
	.end_amdhsa_kernel
	.section	.text._ZL18rocblas_dot_kernelIiLb1ELi1024ELi32ELb0EdPKddEviT5_lT_lS2_lS3_liPT6_PT4_,"axG",@progbits,_ZL18rocblas_dot_kernelIiLb1ELi1024ELi32ELb0EdPKddEviT5_lT_lS2_lS3_liPT6_PT4_,comdat
.Lfunc_end60:
	.size	_ZL18rocblas_dot_kernelIiLb1ELi1024ELi32ELb0EdPKddEviT5_lT_lS2_lS3_liPT6_PT4_, .Lfunc_end60-_ZL18rocblas_dot_kernelIiLb1ELi1024ELi32ELb0EdPKddEviT5_lT_lS2_lS3_liPT6_PT4_
                                        ; -- End function
	.section	.AMDGPU.csdata,"",@progbits
; Kernel info:
; codeLenInByte = 1088
; NumSgprs: 28
; NumVgprs: 14
; NumAgprs: 0
; TotalNumVgprs: 14
; ScratchSize: 0
; MemoryBound: 0
; FloatMode: 240
; IeeeMode: 1
; LDSByteSize: 512 bytes/workgroup (compile time only)
; SGPRBlocks: 3
; VGPRBlocks: 1
; NumSGPRsForWavesPerEU: 28
; NumVGPRsForWavesPerEU: 14
; AccumOffset: 16
; Occupancy: 8
; WaveLimiterHint : 0
; COMPUTE_PGM_RSRC2:SCRATCH_EN: 0
; COMPUTE_PGM_RSRC2:USER_SGPR: 6
; COMPUTE_PGM_RSRC2:TRAP_HANDLER: 0
; COMPUTE_PGM_RSRC2:TGID_X_EN: 1
; COMPUTE_PGM_RSRC2:TGID_Y_EN: 0
; COMPUTE_PGM_RSRC2:TGID_Z_EN: 1
; COMPUTE_PGM_RSRC2:TIDIG_COMP_CNT: 0
; COMPUTE_PGM_RSRC3_GFX90A:ACCUM_OFFSET: 3
; COMPUTE_PGM_RSRC3_GFX90A:TG_SPLIT: 0
	.section	.text._ZL24rocblas_dot_kernel_magsqIiLb1ELi1024ELi32ELb0EdPKddEviT5_lT_liPT6_PT4_,"axG",@progbits,_ZL24rocblas_dot_kernel_magsqIiLb1ELi1024ELi32ELb0EdPKddEviT5_lT_liPT6_PT4_,comdat
	.globl	_ZL24rocblas_dot_kernel_magsqIiLb1ELi1024ELi32ELb0EdPKddEviT5_lT_liPT6_PT4_ ; -- Begin function _ZL24rocblas_dot_kernel_magsqIiLb1ELi1024ELi32ELb0EdPKddEviT5_lT_liPT6_PT4_
	.p2align	8
	.type	_ZL24rocblas_dot_kernel_magsqIiLb1ELi1024ELi32ELb0EdPKddEviT5_lT_liPT6_PT4_,@function
_ZL24rocblas_dot_kernel_magsqIiLb1ELi1024ELi32ELb0EdPKddEviT5_lT_liPT6_PT4_: ; @_ZL24rocblas_dot_kernel_magsqIiLb1ELi1024ELi32ELb0EdPKddEviT5_lT_liPT6_PT4_
; %bb.0:
	s_mov_b32 s2, s7
	s_load_dword s12, s[4:5], 0x0
	s_load_dwordx2 s[6:7], s[4:5], 0x38
	s_mov_b32 s3, 0
	v_pk_mov_b32 v[2:3], 0, 0
	s_waitcnt lgkmcnt(0)
	v_cmp_gt_i32_e32 vcc, s12, v0
	s_and_saveexec_b64 s[8:9], vcc
	s_cbranch_execz .LBB61_4
; %bb.1:
	s_load_dword s10, s[4:5], 0x40
	s_load_dwordx2 s[0:1], s[4:5], 0x20
	s_load_dwordx4 s[16:19], s[4:5], 0x8
	s_load_dword s11, s[4:5], 0x18
	s_waitcnt lgkmcnt(0)
	s_lshl_b32 s13, s10, 10
	s_mul_i32 s1, s1, s2
	s_mul_hi_u32 s4, s0, s2
	s_add_i32 s1, s4, s1
	s_mul_i32 s0, s0, s2
	v_mad_i64_i32 v[2:3], s[4:5], s11, v0, 0
	s_lshl_b64 s[0:1], s[0:1], 3
	s_lshl_b64 s[4:5], s[18:19], 3
	s_add_u32 s4, s16, s4
	s_addc_u32 s5, s17, s5
	s_add_u32 s0, s4, s0
	v_lshlrev_b64 v[2:3], 3, v[2:3]
	s_addc_u32 s1, s5, s1
	v_mov_b32_e32 v5, s1
	v_add_co_u32_e32 v4, vcc, s0, v2
	s_mul_hi_i32 s1, s11, s13
	s_mul_i32 s0, s11, s13
	s_lshl_b64 s[10:11], s[0:1], 3
	v_or_b32_e32 v1, s13, v0
	v_addc_co_u32_e32 v5, vcc, v5, v3, vcc
	s_mov_b64 s[4:5], 0
	v_pk_mov_b32 v[2:3], 0, 0
	v_mov_b32_e32 v6, s11
	s_mov_b32 s11, s3
.LBB61_2:                               ; =>This Inner Loop Header: Depth=1
	global_load_dwordx2 v[8:9], v[4:5], off
	s_add_i32 s14, s11, 1
	v_add_co_u32_e64 v4, s[0:1], s10, v4
	v_addc_co_u32_e64 v5, s[0:1], v5, v6, s[0:1]
	s_cmp_gt_u32 s11, 30
	v_cmp_le_i32_e32 vcc, s12, v1
	s_cselect_b64 s[0:1], -1, 0
	s_or_b64 s[0:1], s[0:1], vcc
	s_and_b64 s[0:1], exec, s[0:1]
	v_add_u32_e32 v1, s13, v1
	s_mov_b32 s11, s14
	s_or_b64 s[4:5], s[0:1], s[4:5]
	s_waitcnt vmcnt(0)
	v_fmac_f64_e32 v[2:3], v[8:9], v[8:9]
	s_andn2_b64 exec, exec, s[4:5]
	s_cbranch_execnz .LBB61_2
; %bb.3:
	s_or_b64 exec, exec, s[4:5]
.LBB61_4:
	s_or_b64 exec, exec, s[8:9]
	v_and_b32_e32 v6, 63, v0
	v_cmp_gt_u32_e32 vcc, 64, v0
	v_lshlrev_b32_e32 v1, 3, v6
	s_and_saveexec_b64 s[0:1], vcc
	s_cbranch_execz .LBB61_6
; %bb.5:
	v_mov_b32_e32 v4, 0
	v_mov_b32_e32 v5, v4
	ds_write_b64 v1, v[4:5]
.LBB61_6:
	s_or_b64 exec, exec, s[0:1]
	v_mbcnt_lo_u32_b32 v4, -1, 0
	v_mbcnt_hi_u32_b32 v10, -1, v4
	v_and_b32_e32 v11, 63, v10
	v_cmp_gt_u32_e64 s[0:1], 32, v11
	v_cndmask_b32_e64 v4, 0, 1, s[0:1]
	v_lshlrev_b32_e32 v4, 5, v4
	v_add_lshl_u32 v5, v4, v10, 2
	ds_bpermute_b32 v4, v5, v2
	ds_bpermute_b32 v5, v5, v3
	v_cmp_gt_u32_e64 s[0:1], 48, v11
	v_cndmask_b32_e64 v7, 0, 1, s[0:1]
	v_cmp_gt_u32_e64 s[0:1], 56, v11
	s_waitcnt lgkmcnt(0)
	v_add_f64 v[2:3], v[2:3], v[4:5]
	v_lshlrev_b32_e32 v4, 4, v7
	v_add_lshl_u32 v5, v4, v10, 2
	ds_bpermute_b32 v4, v5, v2
	ds_bpermute_b32 v5, v5, v3
	s_barrier
	s_waitcnt lgkmcnt(0)
	v_add_f64 v[2:3], v[2:3], v[4:5]
	v_cndmask_b32_e64 v4, 0, 1, s[0:1]
	v_lshlrev_b32_e32 v4, 3, v4
	v_add_lshl_u32 v7, v4, v10, 2
	ds_bpermute_b32 v4, v7, v2
	ds_bpermute_b32 v5, v7, v3
	v_cmp_gt_u32_e64 s[0:1], 60, v11
	s_waitcnt lgkmcnt(0)
	v_add_f64 v[2:3], v[2:3], v[4:5]
	v_cndmask_b32_e64 v4, 0, 1, s[0:1]
	v_lshlrev_b32_e32 v4, 2, v4
	v_add_lshl_u32 v8, v4, v10, 2
	ds_bpermute_b32 v4, v8, v2
	ds_bpermute_b32 v5, v8, v3
	v_cmp_gt_u32_e64 s[0:1], 62, v11
	s_waitcnt lgkmcnt(0)
	v_add_f64 v[2:3], v[2:3], v[4:5]
	v_cndmask_b32_e64 v4, 0, 1, s[0:1]
	v_lshlrev_b32_e32 v4, 1, v4
	v_add_lshl_u32 v9, v4, v10, 2
	ds_bpermute_b32 v4, v9, v2
	ds_bpermute_b32 v5, v9, v3
	v_cmp_ne_u32_e64 s[0:1], 63, v11
	s_waitcnt lgkmcnt(0)
	v_add_f64 v[2:3], v[2:3], v[4:5]
	v_addc_co_u32_e64 v4, s[0:1], 0, v10, s[0:1]
	v_lshlrev_b32_e32 v10, 2, v4
	ds_bpermute_b32 v4, v10, v2
	ds_bpermute_b32 v5, v10, v3
	v_cmp_eq_u32_e64 s[0:1], 0, v6
	s_and_saveexec_b64 s[4:5], s[0:1]
	s_cbranch_execz .LBB61_8
; %bb.7:
	s_waitcnt lgkmcnt(0)
	v_add_f64 v[2:3], v[2:3], v[4:5]
	v_lshrrev_b32_e32 v4, 3, v0
	v_and_b32_e32 v4, 0x78, v4
	ds_write_b64 v4, v[2:3]
.LBB61_8:
	s_or_b64 exec, exec, s[4:5]
	v_cmp_gt_u32_e64 s[0:1], 16, v0
	v_pk_mov_b32 v[2:3], 0, 0
	s_waitcnt lgkmcnt(0)
	s_barrier
	s_and_saveexec_b64 s[4:5], s[0:1]
	s_cbranch_execnz .LBB61_12
; %bb.9:
	s_or_b64 exec, exec, s[4:5]
	s_and_saveexec_b64 s[0:1], vcc
	s_cbranch_execnz .LBB61_13
.LBB61_10:
	s_or_b64 exec, exec, s[0:1]
	v_cmp_eq_u32_e32 vcc, 0, v0
	s_and_saveexec_b64 s[0:1], vcc
	s_cbranch_execnz .LBB61_14
.LBB61_11:
	s_endpgm
.LBB61_12:
	ds_read_b64 v[2:3], v1
	s_or_b64 exec, exec, s[4:5]
	s_and_saveexec_b64 s[0:1], vcc
	s_cbranch_execz .LBB61_10
.LBB61_13:
	s_waitcnt lgkmcnt(0)
	ds_bpermute_b32 v4, v7, v2
	ds_bpermute_b32 v5, v7, v3
	s_waitcnt lgkmcnt(0)
	v_add_f64 v[2:3], v[2:3], v[4:5]
	ds_bpermute_b32 v4, v8, v2
	ds_bpermute_b32 v5, v8, v3
	s_waitcnt lgkmcnt(0)
	v_add_f64 v[2:3], v[2:3], v[4:5]
	;; [unrolled: 4-line block ×4, first 2 shown]
	s_or_b64 exec, exec, s[0:1]
	v_cmp_eq_u32_e32 vcc, 0, v0
	s_and_saveexec_b64 s[0:1], vcc
	s_cbranch_execz .LBB61_11
.LBB61_14:
	s_lshl_b64 s[0:1], s[2:3], 3
	s_add_u32 s0, s6, s0
	s_addc_u32 s1, s7, s1
	v_mov_b32_e32 v0, 0
	s_waitcnt lgkmcnt(0)
	global_store_dwordx2 v0, v[2:3], s[0:1]
	s_endpgm
	.section	.rodata,"a",@progbits
	.p2align	6, 0x0
	.amdhsa_kernel _ZL24rocblas_dot_kernel_magsqIiLb1ELi1024ELi32ELb0EdPKddEviT5_lT_liPT6_PT4_
		.amdhsa_group_segment_fixed_size 512
		.amdhsa_private_segment_fixed_size 0
		.amdhsa_kernarg_size 320
		.amdhsa_user_sgpr_count 6
		.amdhsa_user_sgpr_private_segment_buffer 1
		.amdhsa_user_sgpr_dispatch_ptr 0
		.amdhsa_user_sgpr_queue_ptr 0
		.amdhsa_user_sgpr_kernarg_segment_ptr 1
		.amdhsa_user_sgpr_dispatch_id 0
		.amdhsa_user_sgpr_flat_scratch_init 0
		.amdhsa_user_sgpr_kernarg_preload_length 0
		.amdhsa_user_sgpr_kernarg_preload_offset 0
		.amdhsa_user_sgpr_private_segment_size 0
		.amdhsa_uses_dynamic_stack 0
		.amdhsa_system_sgpr_private_segment_wavefront_offset 0
		.amdhsa_system_sgpr_workgroup_id_x 1
		.amdhsa_system_sgpr_workgroup_id_y 0
		.amdhsa_system_sgpr_workgroup_id_z 1
		.amdhsa_system_sgpr_workgroup_info 0
		.amdhsa_system_vgpr_workitem_id 0
		.amdhsa_next_free_vgpr 12
		.amdhsa_next_free_sgpr 20
		.amdhsa_accum_offset 12
		.amdhsa_reserve_vcc 1
		.amdhsa_reserve_flat_scratch 0
		.amdhsa_float_round_mode_32 0
		.amdhsa_float_round_mode_16_64 0
		.amdhsa_float_denorm_mode_32 3
		.amdhsa_float_denorm_mode_16_64 3
		.amdhsa_dx10_clamp 1
		.amdhsa_ieee_mode 1
		.amdhsa_fp16_overflow 0
		.amdhsa_tg_split 0
		.amdhsa_exception_fp_ieee_invalid_op 0
		.amdhsa_exception_fp_denorm_src 0
		.amdhsa_exception_fp_ieee_div_zero 0
		.amdhsa_exception_fp_ieee_overflow 0
		.amdhsa_exception_fp_ieee_underflow 0
		.amdhsa_exception_fp_ieee_inexact 0
		.amdhsa_exception_int_div_zero 0
	.end_amdhsa_kernel
	.section	.text._ZL24rocblas_dot_kernel_magsqIiLb1ELi1024ELi32ELb0EdPKddEviT5_lT_liPT6_PT4_,"axG",@progbits,_ZL24rocblas_dot_kernel_magsqIiLb1ELi1024ELi32ELb0EdPKddEviT5_lT_liPT6_PT4_,comdat
.Lfunc_end61:
	.size	_ZL24rocblas_dot_kernel_magsqIiLb1ELi1024ELi32ELb0EdPKddEviT5_lT_liPT6_PT4_, .Lfunc_end61-_ZL24rocblas_dot_kernel_magsqIiLb1ELi1024ELi32ELb0EdPKddEviT5_lT_liPT6_PT4_
                                        ; -- End function
	.section	.AMDGPU.csdata,"",@progbits
; Kernel info:
; codeLenInByte = 956
; NumSgprs: 24
; NumVgprs: 12
; NumAgprs: 0
; TotalNumVgprs: 12
; ScratchSize: 0
; MemoryBound: 0
; FloatMode: 240
; IeeeMode: 1
; LDSByteSize: 512 bytes/workgroup (compile time only)
; SGPRBlocks: 2
; VGPRBlocks: 1
; NumSGPRsForWavesPerEU: 24
; NumVGPRsForWavesPerEU: 12
; AccumOffset: 12
; Occupancy: 8
; WaveLimiterHint : 0
; COMPUTE_PGM_RSRC2:SCRATCH_EN: 0
; COMPUTE_PGM_RSRC2:USER_SGPR: 6
; COMPUTE_PGM_RSRC2:TRAP_HANDLER: 0
; COMPUTE_PGM_RSRC2:TGID_X_EN: 1
; COMPUTE_PGM_RSRC2:TGID_Y_EN: 0
; COMPUTE_PGM_RSRC2:TGID_Z_EN: 1
; COMPUTE_PGM_RSRC2:TIDIG_COMP_CNT: 0
; COMPUTE_PGM_RSRC3_GFX90A:ACCUM_OFFSET: 2
; COMPUTE_PGM_RSRC3_GFX90A:TG_SPLIT: 0
	.section	.text._ZL38rocblas_dot_kernel_gfx942_float_doubleIiLi1024EdPKddEviT2_lT_lS2_lS3_lPT3_PT1_,"axG",@progbits,_ZL38rocblas_dot_kernel_gfx942_float_doubleIiLi1024EdPKddEviT2_lT_lS2_lS3_lPT3_PT1_,comdat
	.globl	_ZL38rocblas_dot_kernel_gfx942_float_doubleIiLi1024EdPKddEviT2_lT_lS2_lS3_lPT3_PT1_ ; -- Begin function _ZL38rocblas_dot_kernel_gfx942_float_doubleIiLi1024EdPKddEviT2_lT_lS2_lS3_lPT3_PT1_
	.p2align	8
	.type	_ZL38rocblas_dot_kernel_gfx942_float_doubleIiLi1024EdPKddEviT2_lT_lS2_lS3_lPT3_PT1_,@function
_ZL38rocblas_dot_kernel_gfx942_float_doubleIiLi1024EdPKddEviT2_lT_lS2_lS3_lPT3_PT1_: ; @_ZL38rocblas_dot_kernel_gfx942_float_doubleIiLi1024EdPKddEviT2_lT_lS2_lS3_lPT3_PT1_
; %bb.0:
	s_endpgm
	.section	.rodata,"a",@progbits
	.p2align	6, 0x0
	.amdhsa_kernel _ZL38rocblas_dot_kernel_gfx942_float_doubleIiLi1024EdPKddEviT2_lT_lS2_lS3_lPT3_PT1_
		.amdhsa_group_segment_fixed_size 0
		.amdhsa_private_segment_fixed_size 0
		.amdhsa_kernarg_size 88
		.amdhsa_user_sgpr_count 6
		.amdhsa_user_sgpr_private_segment_buffer 1
		.amdhsa_user_sgpr_dispatch_ptr 0
		.amdhsa_user_sgpr_queue_ptr 0
		.amdhsa_user_sgpr_kernarg_segment_ptr 1
		.amdhsa_user_sgpr_dispatch_id 0
		.amdhsa_user_sgpr_flat_scratch_init 0
		.amdhsa_user_sgpr_kernarg_preload_length 0
		.amdhsa_user_sgpr_kernarg_preload_offset 0
		.amdhsa_user_sgpr_private_segment_size 0
		.amdhsa_uses_dynamic_stack 0
		.amdhsa_system_sgpr_private_segment_wavefront_offset 0
		.amdhsa_system_sgpr_workgroup_id_x 1
		.amdhsa_system_sgpr_workgroup_id_y 0
		.amdhsa_system_sgpr_workgroup_id_z 0
		.amdhsa_system_sgpr_workgroup_info 0
		.amdhsa_system_vgpr_workitem_id 0
		.amdhsa_next_free_vgpr 1
		.amdhsa_next_free_sgpr 0
		.amdhsa_accum_offset 4
		.amdhsa_reserve_vcc 0
		.amdhsa_reserve_flat_scratch 0
		.amdhsa_float_round_mode_32 0
		.amdhsa_float_round_mode_16_64 0
		.amdhsa_float_denorm_mode_32 3
		.amdhsa_float_denorm_mode_16_64 3
		.amdhsa_dx10_clamp 1
		.amdhsa_ieee_mode 1
		.amdhsa_fp16_overflow 0
		.amdhsa_tg_split 0
		.amdhsa_exception_fp_ieee_invalid_op 0
		.amdhsa_exception_fp_denorm_src 0
		.amdhsa_exception_fp_ieee_div_zero 0
		.amdhsa_exception_fp_ieee_overflow 0
		.amdhsa_exception_fp_ieee_underflow 0
		.amdhsa_exception_fp_ieee_inexact 0
		.amdhsa_exception_int_div_zero 0
	.end_amdhsa_kernel
	.section	.text._ZL38rocblas_dot_kernel_gfx942_float_doubleIiLi1024EdPKddEviT2_lT_lS2_lS3_lPT3_PT1_,"axG",@progbits,_ZL38rocblas_dot_kernel_gfx942_float_doubleIiLi1024EdPKddEviT2_lT_lS2_lS3_lPT3_PT1_,comdat
.Lfunc_end62:
	.size	_ZL38rocblas_dot_kernel_gfx942_float_doubleIiLi1024EdPKddEviT2_lT_lS2_lS3_lPT3_PT1_, .Lfunc_end62-_ZL38rocblas_dot_kernel_gfx942_float_doubleIiLi1024EdPKddEviT2_lT_lS2_lS3_lPT3_PT1_
                                        ; -- End function
	.section	.AMDGPU.csdata,"",@progbits
; Kernel info:
; codeLenInByte = 4
; NumSgprs: 4
; NumVgprs: 0
; NumAgprs: 0
; TotalNumVgprs: 0
; ScratchSize: 0
; MemoryBound: 0
; FloatMode: 240
; IeeeMode: 1
; LDSByteSize: 0 bytes/workgroup (compile time only)
; SGPRBlocks: 0
; VGPRBlocks: 0
; NumSGPRsForWavesPerEU: 4
; NumVGPRsForWavesPerEU: 1
; AccumOffset: 4
; Occupancy: 8
; WaveLimiterHint : 0
; COMPUTE_PGM_RSRC2:SCRATCH_EN: 0
; COMPUTE_PGM_RSRC2:USER_SGPR: 6
; COMPUTE_PGM_RSRC2:TRAP_HANDLER: 0
; COMPUTE_PGM_RSRC2:TGID_X_EN: 1
; COMPUTE_PGM_RSRC2:TGID_Y_EN: 0
; COMPUTE_PGM_RSRC2:TGID_Z_EN: 0
; COMPUTE_PGM_RSRC2:TIDIG_COMP_CNT: 0
; COMPUTE_PGM_RSRC3_GFX90A:ACCUM_OFFSET: 0
; COMPUTE_PGM_RSRC3_GFX90A:TG_SPLIT: 0
	.section	.text._ZL30rocblas_reduction_kernel_part2ILi1024ELi4E25rocblas_finalize_identityddEviPT2_PT3_,"axG",@progbits,_ZL30rocblas_reduction_kernel_part2ILi1024ELi4E25rocblas_finalize_identityddEviPT2_PT3_,comdat
	.globl	_ZL30rocblas_reduction_kernel_part2ILi1024ELi4E25rocblas_finalize_identityddEviPT2_PT3_ ; -- Begin function _ZL30rocblas_reduction_kernel_part2ILi1024ELi4E25rocblas_finalize_identityddEviPT2_PT3_
	.p2align	8
	.type	_ZL30rocblas_reduction_kernel_part2ILi1024ELi4E25rocblas_finalize_identityddEviPT2_PT3_,@function
_ZL30rocblas_reduction_kernel_part2ILi1024ELi4E25rocblas_finalize_identityddEviPT2_PT3_: ; @_ZL30rocblas_reduction_kernel_part2ILi1024ELi4E25rocblas_finalize_identityddEviPT2_PT3_
; %bb.0:
	s_load_dword s12, s[4:5], 0x0
	s_load_dwordx4 s[0:3], s[4:5], 0x8
	v_lshlrev_b32_e32 v1, 2, v0
	s_mov_b32 s7, 0
	v_pk_mov_b32 v[2:3], 0, 0
	s_waitcnt lgkmcnt(0)
	s_ashr_i32 s8, s12, 31
	s_mul_i32 s5, s8, s6
	s_lshr_b32 s8, s8, 30
	s_add_i32 s8, s12, s8
	s_mul_hi_u32 s4, s12, s6
	s_and_b32 s13, s8, -4
	s_add_i32 s5, s4, s5
	s_mul_i32 s4, s12, s6
	v_cmp_gt_i32_e32 vcc, s13, v1
	s_and_saveexec_b64 s[8:9], vcc
	s_cbranch_execz .LBB63_4
; %bb.1:
	s_lshl_b64 s[10:11], s[4:5], 3
	s_add_u32 s10, s0, s10
	v_lshlrev_b32_e32 v2, 5, v0
	s_addc_u32 s11, s1, s11
	v_mov_b32_e32 v3, s11
	v_add_co_u32_e32 v2, vcc, s10, v2
	v_addc_co_u32_e32 v3, vcc, 0, v3, vcc
	v_add_co_u32_e32 v4, vcc, 16, v2
	v_addc_co_u32_e32 v5, vcc, 0, v3, vcc
	s_mov_b64 s[10:11], 0
	v_pk_mov_b32 v[2:3], 0, 0
.LBB63_2:                               ; =>This Inner Loop Header: Depth=1
	global_load_dwordx4 v[6:9], v[4:5], off offset:-16
	global_load_dwordx4 v[10:13], v[4:5], off
	v_add_co_u32_e32 v4, vcc, 0x8000, v4
	v_add_u32_e32 v1, 0x1000, v1
	v_addc_co_u32_e32 v5, vcc, 0, v5, vcc
	v_cmp_le_i32_e32 vcc, s13, v1
	s_or_b64 s[10:11], vcc, s[10:11]
	s_waitcnt vmcnt(1)
	v_add_f64 v[2:3], v[2:3], v[6:7]
	v_add_f64 v[2:3], v[2:3], v[8:9]
	s_waitcnt vmcnt(0)
	v_add_f64 v[2:3], v[2:3], v[10:11]
	v_add_f64 v[2:3], v[2:3], v[12:13]
	s_andn2_b64 exec, exec, s[10:11]
	s_cbranch_execnz .LBB63_2
; %bb.3:
	s_or_b64 exec, exec, s[10:11]
.LBB63_4:
	s_or_b64 exec, exec, s[8:9]
	s_sub_i32 s8, s12, s13
	v_cmp_gt_u32_e32 vcc, s8, v0
	s_and_saveexec_b64 s[8:9], vcc
	s_cbranch_execz .LBB63_6
; %bb.5:
	s_lshl_b64 s[4:5], s[4:5], 3
	s_add_u32 s0, s0, s4
	v_xad_u32 v4, v0, -1, s12
	v_mov_b32_e32 v5, 0
	s_addc_u32 s1, s1, s5
	v_lshlrev_b64 v[4:5], 3, v[4:5]
	v_mov_b32_e32 v1, s1
	v_add_co_u32_e32 v4, vcc, s0, v4
	v_addc_co_u32_e32 v5, vcc, v1, v5, vcc
	global_load_dwordx2 v[4:5], v[4:5], off
	s_waitcnt vmcnt(0)
	v_add_f64 v[2:3], v[2:3], v[4:5]
.LBB63_6:
	s_or_b64 exec, exec, s[8:9]
	v_and_b32_e32 v6, 63, v0
	v_cmp_gt_u32_e32 vcc, 64, v0
	v_lshlrev_b32_e32 v1, 3, v6
	s_and_saveexec_b64 s[0:1], vcc
	s_cbranch_execz .LBB63_8
; %bb.7:
	v_mov_b32_e32 v4, 0
	v_mov_b32_e32 v5, v4
	ds_write_b64 v1, v[4:5]
.LBB63_8:
	s_or_b64 exec, exec, s[0:1]
	v_mbcnt_lo_u32_b32 v4, -1, 0
	v_mbcnt_hi_u32_b32 v10, -1, v4
	v_and_b32_e32 v11, 63, v10
	v_cmp_gt_u32_e64 s[0:1], 32, v11
	v_cndmask_b32_e64 v4, 0, 1, s[0:1]
	v_lshlrev_b32_e32 v4, 5, v4
	v_add_lshl_u32 v5, v4, v10, 2
	ds_bpermute_b32 v4, v5, v2
	ds_bpermute_b32 v5, v5, v3
	v_cmp_gt_u32_e64 s[0:1], 48, v11
	v_cndmask_b32_e64 v7, 0, 1, s[0:1]
	v_cmp_gt_u32_e64 s[0:1], 56, v11
	s_waitcnt lgkmcnt(0)
	v_add_f64 v[2:3], v[2:3], v[4:5]
	v_lshlrev_b32_e32 v4, 4, v7
	v_add_lshl_u32 v5, v4, v10, 2
	ds_bpermute_b32 v4, v5, v2
	ds_bpermute_b32 v5, v5, v3
	s_barrier
	s_waitcnt lgkmcnt(0)
	v_add_f64 v[2:3], v[2:3], v[4:5]
	v_cndmask_b32_e64 v4, 0, 1, s[0:1]
	v_lshlrev_b32_e32 v4, 3, v4
	v_add_lshl_u32 v7, v4, v10, 2
	ds_bpermute_b32 v4, v7, v2
	ds_bpermute_b32 v5, v7, v3
	v_cmp_gt_u32_e64 s[0:1], 60, v11
	s_waitcnt lgkmcnt(0)
	v_add_f64 v[2:3], v[2:3], v[4:5]
	v_cndmask_b32_e64 v4, 0, 1, s[0:1]
	v_lshlrev_b32_e32 v4, 2, v4
	v_add_lshl_u32 v8, v4, v10, 2
	ds_bpermute_b32 v4, v8, v2
	ds_bpermute_b32 v5, v8, v3
	v_cmp_gt_u32_e64 s[0:1], 62, v11
	s_waitcnt lgkmcnt(0)
	v_add_f64 v[2:3], v[2:3], v[4:5]
	v_cndmask_b32_e64 v4, 0, 1, s[0:1]
	v_lshlrev_b32_e32 v4, 1, v4
	v_add_lshl_u32 v9, v4, v10, 2
	ds_bpermute_b32 v4, v9, v2
	ds_bpermute_b32 v5, v9, v3
	v_cmp_ne_u32_e64 s[0:1], 63, v11
	s_waitcnt lgkmcnt(0)
	v_add_f64 v[2:3], v[2:3], v[4:5]
	v_addc_co_u32_e64 v4, s[0:1], 0, v10, s[0:1]
	v_lshlrev_b32_e32 v10, 2, v4
	ds_bpermute_b32 v4, v10, v2
	ds_bpermute_b32 v5, v10, v3
	v_cmp_eq_u32_e64 s[0:1], 0, v6
	s_and_saveexec_b64 s[4:5], s[0:1]
	s_cbranch_execz .LBB63_10
; %bb.9:
	s_waitcnt lgkmcnt(0)
	v_add_f64 v[2:3], v[2:3], v[4:5]
	v_lshrrev_b32_e32 v4, 3, v0
	v_and_b32_e32 v4, 0x78, v4
	ds_write_b64 v4, v[2:3]
.LBB63_10:
	s_or_b64 exec, exec, s[4:5]
	v_cmp_gt_u32_e64 s[0:1], 16, v0
	v_pk_mov_b32 v[2:3], 0, 0
	s_waitcnt lgkmcnt(0)
	s_barrier
	s_and_saveexec_b64 s[4:5], s[0:1]
	s_cbranch_execnz .LBB63_14
; %bb.11:
	s_or_b64 exec, exec, s[4:5]
	s_and_saveexec_b64 s[0:1], vcc
	s_cbranch_execnz .LBB63_15
.LBB63_12:
	s_or_b64 exec, exec, s[0:1]
	v_cmp_eq_u32_e32 vcc, 0, v0
	s_and_saveexec_b64 s[0:1], vcc
	s_cbranch_execnz .LBB63_16
.LBB63_13:
	s_endpgm
.LBB63_14:
	ds_read_b64 v[2:3], v1
	s_or_b64 exec, exec, s[4:5]
	s_and_saveexec_b64 s[0:1], vcc
	s_cbranch_execz .LBB63_12
.LBB63_15:
	s_waitcnt lgkmcnt(0)
	ds_bpermute_b32 v4, v7, v2
	ds_bpermute_b32 v5, v7, v3
	s_waitcnt lgkmcnt(0)
	v_add_f64 v[2:3], v[2:3], v[4:5]
	ds_bpermute_b32 v4, v8, v2
	ds_bpermute_b32 v5, v8, v3
	s_waitcnt lgkmcnt(0)
	v_add_f64 v[2:3], v[2:3], v[4:5]
	;; [unrolled: 4-line block ×4, first 2 shown]
	s_or_b64 exec, exec, s[0:1]
	v_cmp_eq_u32_e32 vcc, 0, v0
	s_and_saveexec_b64 s[0:1], vcc
	s_cbranch_execz .LBB63_13
.LBB63_16:
	s_lshl_b64 s[0:1], s[6:7], 3
	s_add_u32 s0, s2, s0
	s_addc_u32 s1, s3, s1
	v_mov_b32_e32 v0, 0
	s_waitcnt lgkmcnt(0)
	global_store_dwordx2 v0, v[2:3], s[0:1]
	s_endpgm
	.section	.rodata,"a",@progbits
	.p2align	6, 0x0
	.amdhsa_kernel _ZL30rocblas_reduction_kernel_part2ILi1024ELi4E25rocblas_finalize_identityddEviPT2_PT3_
		.amdhsa_group_segment_fixed_size 512
		.amdhsa_private_segment_fixed_size 0
		.amdhsa_kernarg_size 24
		.amdhsa_user_sgpr_count 6
		.amdhsa_user_sgpr_private_segment_buffer 1
		.amdhsa_user_sgpr_dispatch_ptr 0
		.amdhsa_user_sgpr_queue_ptr 0
		.amdhsa_user_sgpr_kernarg_segment_ptr 1
		.amdhsa_user_sgpr_dispatch_id 0
		.amdhsa_user_sgpr_flat_scratch_init 0
		.amdhsa_user_sgpr_kernarg_preload_length 0
		.amdhsa_user_sgpr_kernarg_preload_offset 0
		.amdhsa_user_sgpr_private_segment_size 0
		.amdhsa_uses_dynamic_stack 0
		.amdhsa_system_sgpr_private_segment_wavefront_offset 0
		.amdhsa_system_sgpr_workgroup_id_x 1
		.amdhsa_system_sgpr_workgroup_id_y 0
		.amdhsa_system_sgpr_workgroup_id_z 0
		.amdhsa_system_sgpr_workgroup_info 0
		.amdhsa_system_vgpr_workitem_id 0
		.amdhsa_next_free_vgpr 14
		.amdhsa_next_free_sgpr 14
		.amdhsa_accum_offset 16
		.amdhsa_reserve_vcc 1
		.amdhsa_reserve_flat_scratch 0
		.amdhsa_float_round_mode_32 0
		.amdhsa_float_round_mode_16_64 0
		.amdhsa_float_denorm_mode_32 3
		.amdhsa_float_denorm_mode_16_64 3
		.amdhsa_dx10_clamp 1
		.amdhsa_ieee_mode 1
		.amdhsa_fp16_overflow 0
		.amdhsa_tg_split 0
		.amdhsa_exception_fp_ieee_invalid_op 0
		.amdhsa_exception_fp_denorm_src 0
		.amdhsa_exception_fp_ieee_div_zero 0
		.amdhsa_exception_fp_ieee_overflow 0
		.amdhsa_exception_fp_ieee_underflow 0
		.amdhsa_exception_fp_ieee_inexact 0
		.amdhsa_exception_int_div_zero 0
	.end_amdhsa_kernel
	.section	.text._ZL30rocblas_reduction_kernel_part2ILi1024ELi4E25rocblas_finalize_identityddEviPT2_PT3_,"axG",@progbits,_ZL30rocblas_reduction_kernel_part2ILi1024ELi4E25rocblas_finalize_identityddEviPT2_PT3_,comdat
.Lfunc_end63:
	.size	_ZL30rocblas_reduction_kernel_part2ILi1024ELi4E25rocblas_finalize_identityddEviPT2_PT3_, .Lfunc_end63-_ZL30rocblas_reduction_kernel_part2ILi1024ELi4E25rocblas_finalize_identityddEviPT2_PT3_
                                        ; -- End function
	.section	.AMDGPU.csdata,"",@progbits
; Kernel info:
; codeLenInByte = 992
; NumSgprs: 18
; NumVgprs: 14
; NumAgprs: 0
; TotalNumVgprs: 14
; ScratchSize: 0
; MemoryBound: 0
; FloatMode: 240
; IeeeMode: 1
; LDSByteSize: 512 bytes/workgroup (compile time only)
; SGPRBlocks: 2
; VGPRBlocks: 1
; NumSGPRsForWavesPerEU: 18
; NumVGPRsForWavesPerEU: 14
; AccumOffset: 16
; Occupancy: 8
; WaveLimiterHint : 0
; COMPUTE_PGM_RSRC2:SCRATCH_EN: 0
; COMPUTE_PGM_RSRC2:USER_SGPR: 6
; COMPUTE_PGM_RSRC2:TRAP_HANDLER: 0
; COMPUTE_PGM_RSRC2:TGID_X_EN: 1
; COMPUTE_PGM_RSRC2:TGID_Y_EN: 0
; COMPUTE_PGM_RSRC2:TGID_Z_EN: 0
; COMPUTE_PGM_RSRC2:TIDIG_COMP_CNT: 0
; COMPUTE_PGM_RSRC3_GFX90A:ACCUM_OFFSET: 3
; COMPUTE_PGM_RSRC3_GFX90A:TG_SPLIT: 0
	.section	.text._ZL23rocblas_dot_kernel_inc1ILb0ELi512ELi2ELb0EdPKddEviT4_llS2_lliPT5_PT3_,"axG",@progbits,_ZL23rocblas_dot_kernel_inc1ILb0ELi512ELi2ELb0EdPKddEviT4_llS2_lliPT5_PT3_,comdat
	.globl	_ZL23rocblas_dot_kernel_inc1ILb0ELi512ELi2ELb0EdPKddEviT4_llS2_lliPT5_PT3_ ; -- Begin function _ZL23rocblas_dot_kernel_inc1ILb0ELi512ELi2ELb0EdPKddEviT4_llS2_lliPT5_PT3_
	.p2align	8
	.type	_ZL23rocblas_dot_kernel_inc1ILb0ELi512ELi2ELb0EdPKddEviT4_llS2_lliPT5_PT3_,@function
_ZL23rocblas_dot_kernel_inc1ILb0ELi512ELi2ELb0EdPKddEviT4_llS2_lliPT5_PT3_: ; @_ZL23rocblas_dot_kernel_inc1ILb0ELi512ELi2ELb0EdPKddEviT4_llS2_lliPT5_PT3_
; %bb.0:
	s_mov_b32 s2, s7
	s_load_dword s7, s[4:5], 0x0
	s_load_dword s10, s[4:5], 0x50
	v_lshl_or_b32 v4, s6, 9, v0
	s_mov_b32 s3, 0
	v_pk_mov_b32 v[2:3], 0, 0
	s_waitcnt lgkmcnt(0)
	v_cmp_gt_i32_e32 vcc, s7, v4
	s_and_saveexec_b64 s[0:1], vcc
	s_cbranch_execz .LBB64_4
; %bb.1:
	s_load_dwordx4 s[12:15], s[4:5], 0x10
	s_load_dwordx2 s[8:9], s[4:5], 0x8
	s_load_dwordx2 s[20:21], s[4:5], 0x20
	s_load_dwordx4 s[16:19], s[4:5], 0x28
	v_ashrrev_i32_e32 v5, 31, v4
	s_waitcnt lgkmcnt(0)
	s_mul_i32 s11, s2, s15
	s_mul_hi_u32 s15, s2, s14
	s_add_i32 s15, s15, s11
	s_mul_i32 s14, s2, s14
	s_lshl_b64 s[14:15], s[14:15], 3
	s_add_u32 s11, s8, s14
	s_addc_u32 s14, s9, s15
	s_lshl_b64 s[8:9], s[12:13], 3
	s_add_u32 s11, s11, s8
	s_addc_u32 s12, s14, s9
	s_mul_i32 s8, s2, s19
	s_mul_hi_u32 s9, s2, s18
	s_add_i32 s9, s9, s8
	s_mul_i32 s8, s2, s18
	s_lshl_b64 s[8:9], s[8:9], 3
	s_add_u32 s13, s20, s8
	s_addc_u32 s14, s21, s9
	s_lshl_b64 s[8:9], s[16:17], 3
	s_add_u32 s13, s13, s8
	s_addc_u32 s14, s14, s9
	v_lshlrev_b64 v[2:3], 3, v[4:5]
	v_mov_b32_e32 v1, s14
	v_add_co_u32_e32 v4, vcc, s13, v2
	v_addc_co_u32_e32 v5, vcc, v1, v3, vcc
	v_mov_b32_e32 v1, s12
	v_add_co_u32_e32 v2, vcc, s11, v2
	v_addc_co_u32_e32 v3, vcc, v1, v3, vcc
	global_load_dwordx2 v[6:7], v[2:3], off
	global_load_dwordx2 v[8:9], v[4:5], off
	s_add_i32 s8, s6, s10
	v_lshl_or_b32 v4, s8, 9, v0
	v_cmp_gt_i32_e32 vcc, s7, v4
	s_waitcnt vmcnt(0)
	v_fma_f64 v[2:3], v[8:9], v[6:7], 0
	s_and_saveexec_b64 s[8:9], vcc
	s_cbranch_execz .LBB64_3
; %bb.2:
	v_ashrrev_i32_e32 v5, 31, v4
	v_lshlrev_b64 v[4:5], 3, v[4:5]
	v_mov_b32_e32 v1, s14
	v_add_co_u32_e32 v6, vcc, s13, v4
	v_addc_co_u32_e32 v7, vcc, v1, v5, vcc
	v_mov_b32_e32 v1, s12
	v_add_co_u32_e32 v4, vcc, s11, v4
	v_addc_co_u32_e32 v5, vcc, v1, v5, vcc
	global_load_dwordx2 v[6:7], v[6:7], off
	s_nop 0
	global_load_dwordx2 v[4:5], v[4:5], off
	s_waitcnt vmcnt(0)
	v_fmac_f64_e32 v[2:3], v[6:7], v[4:5]
.LBB64_3:
	s_or_b64 exec, exec, s[8:9]
.LBB64_4:
	s_or_b64 exec, exec, s[0:1]
	v_and_b32_e32 v6, 63, v0
	v_cmp_gt_u32_e32 vcc, 64, v0
	v_lshlrev_b32_e32 v1, 3, v6
	s_and_saveexec_b64 s[0:1], vcc
	s_cbranch_execz .LBB64_6
; %bb.5:
	v_mov_b32_e32 v4, 0
	v_mov_b32_e32 v5, v4
	ds_write_b64 v1, v[4:5]
.LBB64_6:
	s_or_b64 exec, exec, s[0:1]
	v_mbcnt_lo_u32_b32 v4, -1, 0
	v_mbcnt_hi_u32_b32 v9, -1, v4
	v_and_b32_e32 v10, 63, v9
	v_cmp_gt_u32_e64 s[0:1], 32, v10
	v_cndmask_b32_e64 v4, 0, 1, s[0:1]
	v_lshlrev_b32_e32 v4, 5, v4
	v_add_lshl_u32 v5, v4, v9, 2
	ds_bpermute_b32 v4, v5, v2
	ds_bpermute_b32 v5, v5, v3
	v_cmp_gt_u32_e64 s[0:1], 48, v10
	v_cndmask_b32_e64 v7, 0, 1, s[0:1]
	v_cmp_gt_u32_e64 s[0:1], 56, v10
	s_waitcnt lgkmcnt(0)
	v_add_f64 v[2:3], v[2:3], v[4:5]
	v_lshlrev_b32_e32 v4, 4, v7
	v_add_lshl_u32 v5, v4, v9, 2
	ds_bpermute_b32 v4, v5, v2
	ds_bpermute_b32 v5, v5, v3
	s_barrier
	s_waitcnt lgkmcnt(0)
	v_add_f64 v[2:3], v[2:3], v[4:5]
	v_cndmask_b32_e64 v4, 0, 1, s[0:1]
	v_lshlrev_b32_e32 v4, 3, v4
	v_add_lshl_u32 v5, v4, v9, 2
	ds_bpermute_b32 v4, v5, v2
	ds_bpermute_b32 v5, v5, v3
	v_cmp_gt_u32_e64 s[0:1], 60, v10
	s_waitcnt lgkmcnt(0)
	v_add_f64 v[2:3], v[2:3], v[4:5]
	v_cndmask_b32_e64 v4, 0, 1, s[0:1]
	v_lshlrev_b32_e32 v4, 2, v4
	v_add_lshl_u32 v7, v4, v9, 2
	ds_bpermute_b32 v4, v7, v2
	ds_bpermute_b32 v5, v7, v3
	v_cmp_gt_u32_e64 s[0:1], 62, v10
	s_waitcnt lgkmcnt(0)
	v_add_f64 v[2:3], v[2:3], v[4:5]
	v_cndmask_b32_e64 v4, 0, 1, s[0:1]
	v_lshlrev_b32_e32 v4, 1, v4
	v_add_lshl_u32 v8, v4, v9, 2
	ds_bpermute_b32 v4, v8, v2
	ds_bpermute_b32 v5, v8, v3
	v_cmp_ne_u32_e64 s[0:1], 63, v10
	s_waitcnt lgkmcnt(0)
	v_add_f64 v[2:3], v[2:3], v[4:5]
	v_addc_co_u32_e64 v4, s[0:1], 0, v9, s[0:1]
	v_lshlrev_b32_e32 v9, 2, v4
	ds_bpermute_b32 v4, v9, v2
	ds_bpermute_b32 v5, v9, v3
	v_cmp_eq_u32_e64 s[0:1], 0, v6
	s_and_saveexec_b64 s[8:9], s[0:1]
	s_cbranch_execz .LBB64_8
; %bb.7:
	s_waitcnt lgkmcnt(0)
	v_add_f64 v[2:3], v[2:3], v[4:5]
	v_lshrrev_b32_e32 v4, 3, v0
	v_and_b32_e32 v4, 56, v4
	ds_write_b64 v4, v[2:3]
.LBB64_8:
	s_or_b64 exec, exec, s[8:9]
	v_cmp_gt_u32_e64 s[0:1], 8, v0
	v_pk_mov_b32 v[2:3], 0, 0
	s_waitcnt lgkmcnt(0)
	s_barrier
	s_and_saveexec_b64 s[8:9], s[0:1]
	s_cbranch_execnz .LBB64_12
; %bb.9:
	s_or_b64 exec, exec, s[8:9]
	s_and_saveexec_b64 s[0:1], vcc
	s_cbranch_execnz .LBB64_13
.LBB64_10:
	s_or_b64 exec, exec, s[0:1]
	v_cmp_eq_u32_e32 vcc, 0, v0
	s_and_saveexec_b64 s[0:1], vcc
	s_cbranch_execnz .LBB64_14
.LBB64_11:
	s_endpgm
.LBB64_12:
	ds_read_b64 v[2:3], v1
	s_or_b64 exec, exec, s[8:9]
	s_and_saveexec_b64 s[0:1], vcc
	s_cbranch_execz .LBB64_10
.LBB64_13:
	s_waitcnt lgkmcnt(0)
	ds_bpermute_b32 v4, v7, v2
	ds_bpermute_b32 v5, v7, v3
	s_waitcnt lgkmcnt(0)
	v_add_f64 v[2:3], v[2:3], v[4:5]
	ds_bpermute_b32 v4, v8, v2
	ds_bpermute_b32 v5, v8, v3
	s_waitcnt lgkmcnt(0)
	v_add_f64 v[2:3], v[2:3], v[4:5]
	;; [unrolled: 4-line block ×3, first 2 shown]
	s_or_b64 exec, exec, s[0:1]
	v_cmp_eq_u32_e32 vcc, 0, v0
	s_and_saveexec_b64 s[0:1], vcc
	s_cbranch_execz .LBB64_11
.LBB64_14:
	s_cmp_lg_u32 s10, 1
	s_cbranch_scc0 .LBB64_16
; %bb.15:
	s_load_dwordx2 s[0:1], s[4:5], 0x40
	s_mul_hi_u32 s9, s10, s2
	s_mul_i32 s8, s10, s2
	s_lshl_b64 s[8:9], s[8:9], 3
	s_mov_b32 s7, 0
	s_waitcnt lgkmcnt(0)
	s_add_u32 s8, s0, s8
	s_addc_u32 s9, s1, s9
	s_lshl_b64 s[0:1], s[6:7], 3
	s_add_u32 s0, s8, s0
	s_addc_u32 s1, s9, s1
	s_cbranch_execz .LBB64_17
	s_branch .LBB64_18
.LBB64_16:
                                        ; implicit-def: $sgpr0_sgpr1
.LBB64_17:
	s_load_dwordx2 s[0:1], s[4:5], 0x48
	s_lshl_b64 s[2:3], s[2:3], 3
	s_waitcnt lgkmcnt(0)
	s_add_u32 s0, s0, s2
	s_addc_u32 s1, s1, s3
.LBB64_18:
	v_mov_b32_e32 v0, 0
	s_waitcnt lgkmcnt(0)
	global_store_dwordx2 v0, v[2:3], s[0:1]
	s_endpgm
	.section	.rodata,"a",@progbits
	.p2align	6, 0x0
	.amdhsa_kernel _ZL23rocblas_dot_kernel_inc1ILb0ELi512ELi2ELb0EdPKddEviT4_llS2_lliPT5_PT3_
		.amdhsa_group_segment_fixed_size 512
		.amdhsa_private_segment_fixed_size 0
		.amdhsa_kernarg_size 336
		.amdhsa_user_sgpr_count 6
		.amdhsa_user_sgpr_private_segment_buffer 1
		.amdhsa_user_sgpr_dispatch_ptr 0
		.amdhsa_user_sgpr_queue_ptr 0
		.amdhsa_user_sgpr_kernarg_segment_ptr 1
		.amdhsa_user_sgpr_dispatch_id 0
		.amdhsa_user_sgpr_flat_scratch_init 0
		.amdhsa_user_sgpr_kernarg_preload_length 0
		.amdhsa_user_sgpr_kernarg_preload_offset 0
		.amdhsa_user_sgpr_private_segment_size 0
		.amdhsa_uses_dynamic_stack 0
		.amdhsa_system_sgpr_private_segment_wavefront_offset 0
		.amdhsa_system_sgpr_workgroup_id_x 1
		.amdhsa_system_sgpr_workgroup_id_y 0
		.amdhsa_system_sgpr_workgroup_id_z 1
		.amdhsa_system_sgpr_workgroup_info 0
		.amdhsa_system_vgpr_workitem_id 0
		.amdhsa_next_free_vgpr 11
		.amdhsa_next_free_sgpr 22
		.amdhsa_accum_offset 12
		.amdhsa_reserve_vcc 1
		.amdhsa_reserve_flat_scratch 0
		.amdhsa_float_round_mode_32 0
		.amdhsa_float_round_mode_16_64 0
		.amdhsa_float_denorm_mode_32 3
		.amdhsa_float_denorm_mode_16_64 3
		.amdhsa_dx10_clamp 1
		.amdhsa_ieee_mode 1
		.amdhsa_fp16_overflow 0
		.amdhsa_tg_split 0
		.amdhsa_exception_fp_ieee_invalid_op 0
		.amdhsa_exception_fp_denorm_src 0
		.amdhsa_exception_fp_ieee_div_zero 0
		.amdhsa_exception_fp_ieee_overflow 0
		.amdhsa_exception_fp_ieee_underflow 0
		.amdhsa_exception_fp_ieee_inexact 0
		.amdhsa_exception_int_div_zero 0
	.end_amdhsa_kernel
	.section	.text._ZL23rocblas_dot_kernel_inc1ILb0ELi512ELi2ELb0EdPKddEviT4_llS2_lliPT5_PT3_,"axG",@progbits,_ZL23rocblas_dot_kernel_inc1ILb0ELi512ELi2ELb0EdPKddEviT4_llS2_lliPT5_PT3_,comdat
.Lfunc_end64:
	.size	_ZL23rocblas_dot_kernel_inc1ILb0ELi512ELi2ELb0EdPKddEviT4_llS2_lliPT5_PT3_, .Lfunc_end64-_ZL23rocblas_dot_kernel_inc1ILb0ELi512ELi2ELb0EdPKddEviT4_llS2_lliPT5_PT3_
                                        ; -- End function
	.section	.AMDGPU.csdata,"",@progbits
; Kernel info:
; codeLenInByte = 1056
; NumSgprs: 26
; NumVgprs: 11
; NumAgprs: 0
; TotalNumVgprs: 11
; ScratchSize: 0
; MemoryBound: 0
; FloatMode: 240
; IeeeMode: 1
; LDSByteSize: 512 bytes/workgroup (compile time only)
; SGPRBlocks: 3
; VGPRBlocks: 1
; NumSGPRsForWavesPerEU: 26
; NumVGPRsForWavesPerEU: 11
; AccumOffset: 12
; Occupancy: 8
; WaveLimiterHint : 0
; COMPUTE_PGM_RSRC2:SCRATCH_EN: 0
; COMPUTE_PGM_RSRC2:USER_SGPR: 6
; COMPUTE_PGM_RSRC2:TRAP_HANDLER: 0
; COMPUTE_PGM_RSRC2:TGID_X_EN: 1
; COMPUTE_PGM_RSRC2:TGID_Y_EN: 0
; COMPUTE_PGM_RSRC2:TGID_Z_EN: 1
; COMPUTE_PGM_RSRC2:TIDIG_COMP_CNT: 0
; COMPUTE_PGM_RSRC3_GFX90A:ACCUM_OFFSET: 2
; COMPUTE_PGM_RSRC3_GFX90A:TG_SPLIT: 0
	.section	.text._ZL18rocblas_dot_kernelIiLb0ELi512ELi2ELb0EdPKddEviT5_lT_lS2_lS3_liPT6_PT4_,"axG",@progbits,_ZL18rocblas_dot_kernelIiLb0ELi512ELi2ELb0EdPKddEviT5_lT_lS2_lS3_liPT6_PT4_,comdat
	.globl	_ZL18rocblas_dot_kernelIiLb0ELi512ELi2ELb0EdPKddEviT5_lT_lS2_lS3_liPT6_PT4_ ; -- Begin function _ZL18rocblas_dot_kernelIiLb0ELi512ELi2ELb0EdPKddEviT5_lT_lS2_lS3_liPT6_PT4_
	.p2align	8
	.type	_ZL18rocblas_dot_kernelIiLb0ELi512ELi2ELb0EdPKddEviT5_lT_lS2_lS3_liPT6_PT4_,@function
_ZL18rocblas_dot_kernelIiLb0ELi512ELi2ELb0EdPKddEviT5_lT_lS2_lS3_liPT6_PT4_: ; @_ZL18rocblas_dot_kernelIiLb0ELi512ELi2ELb0EdPKddEviT5_lT_lS2_lS3_liPT6_PT4_
; %bb.0:
	s_mov_b32 s2, s7
	s_load_dword s7, s[4:5], 0x0
	s_load_dword s10, s[4:5], 0x60
	v_lshl_or_b32 v1, s6, 9, v0
	s_mov_b32 s3, 0
	v_pk_mov_b32 v[2:3], 0, 0
	s_waitcnt lgkmcnt(0)
	v_cmp_gt_i32_e32 vcc, s7, v1
	s_and_saveexec_b64 s[0:1], vcc
	s_cbranch_execz .LBB65_4
; %bb.1:
	s_load_dwordx4 s[16:19], s[4:5], 0x20
	s_load_dwordx4 s[20:23], s[4:5], 0x8
	s_load_dword s11, s[4:5], 0x18
	s_load_dwordx2 s[8:9], s[4:5], 0x30
	s_load_dword s14, s[4:5], 0x38
	s_load_dwordx2 s[24:25], s[4:5], 0x40
	s_waitcnt lgkmcnt(0)
	s_mul_i32 s12, s2, s17
	s_mul_hi_u32 s13, s2, s16
	s_add_i32 s13, s13, s12
	s_mul_i32 s12, s2, s16
	s_lshl_b64 s[12:13], s[12:13], 3
	s_add_u32 s15, s20, s12
	s_addc_u32 s16, s21, s13
	s_lshl_b64 s[12:13], s[22:23], 3
	s_add_u32 s12, s15, s12
	s_addc_u32 s13, s16, s13
	s_mul_i32 s15, s2, s25
	s_mul_hi_u32 s16, s2, s24
	s_add_i32 s17, s16, s15
	s_mul_i32 s16, s2, s24
	s_lshl_b64 s[16:17], s[16:17], 3
	s_add_u32 s15, s18, s16
	s_addc_u32 s16, s19, s17
	s_lshl_b64 s[8:9], s[8:9], 3
	s_add_u32 s15, s15, s8
	s_addc_u32 s16, s16, s9
	v_mad_i64_i32 v[2:3], s[8:9], v1, s14, 0
	v_lshlrev_b64 v[2:3], 3, v[2:3]
	v_mov_b32_e32 v4, s16
	v_add_co_u32_e32 v2, vcc, s15, v2
	v_addc_co_u32_e32 v3, vcc, v4, v3, vcc
	v_mad_i64_i32 v[4:5], s[8:9], v1, s11, 0
	v_lshlrev_b64 v[4:5], 3, v[4:5]
	v_mov_b32_e32 v1, s13
	v_add_co_u32_e32 v4, vcc, s12, v4
	v_addc_co_u32_e32 v5, vcc, v1, v5, vcc
	global_load_dwordx2 v[6:7], v[4:5], off
	global_load_dwordx2 v[8:9], v[2:3], off
	s_add_i32 s8, s6, s10
	v_lshl_or_b32 v1, s8, 9, v0
	v_cmp_gt_i32_e32 vcc, s7, v1
	s_waitcnt vmcnt(0)
	v_fma_f64 v[2:3], v[8:9], v[6:7], 0
	s_and_saveexec_b64 s[8:9], vcc
	s_cbranch_execz .LBB65_3
; %bb.2:
	v_mad_i64_i32 v[4:5], s[18:19], v1, s14, 0
	v_lshlrev_b64 v[4:5], 3, v[4:5]
	v_mov_b32_e32 v6, s16
	v_add_co_u32_e32 v4, vcc, s15, v4
	v_addc_co_u32_e32 v5, vcc, v6, v5, vcc
	v_mad_i64_i32 v[6:7], s[14:15], v1, s11, 0
	v_lshlrev_b64 v[6:7], 3, v[6:7]
	v_mov_b32_e32 v1, s13
	v_add_co_u32_e32 v6, vcc, s12, v6
	v_addc_co_u32_e32 v7, vcc, v1, v7, vcc
	global_load_dwordx2 v[4:5], v[4:5], off
	s_nop 0
	global_load_dwordx2 v[6:7], v[6:7], off
	s_waitcnt vmcnt(0)
	v_fmac_f64_e32 v[2:3], v[4:5], v[6:7]
.LBB65_3:
	s_or_b64 exec, exec, s[8:9]
.LBB65_4:
	s_or_b64 exec, exec, s[0:1]
	v_and_b32_e32 v6, 63, v0
	v_cmp_gt_u32_e32 vcc, 64, v0
	v_lshlrev_b32_e32 v1, 3, v6
	s_and_saveexec_b64 s[0:1], vcc
	s_cbranch_execz .LBB65_6
; %bb.5:
	v_mov_b32_e32 v4, 0
	v_mov_b32_e32 v5, v4
	ds_write_b64 v1, v[4:5]
.LBB65_6:
	s_or_b64 exec, exec, s[0:1]
	v_mbcnt_lo_u32_b32 v4, -1, 0
	v_mbcnt_hi_u32_b32 v9, -1, v4
	v_and_b32_e32 v10, 63, v9
	v_cmp_gt_u32_e64 s[0:1], 32, v10
	v_cndmask_b32_e64 v4, 0, 1, s[0:1]
	v_lshlrev_b32_e32 v4, 5, v4
	v_add_lshl_u32 v5, v4, v9, 2
	ds_bpermute_b32 v4, v5, v2
	ds_bpermute_b32 v5, v5, v3
	v_cmp_gt_u32_e64 s[0:1], 48, v10
	v_cndmask_b32_e64 v7, 0, 1, s[0:1]
	v_cmp_gt_u32_e64 s[0:1], 56, v10
	s_waitcnt lgkmcnt(0)
	v_add_f64 v[2:3], v[2:3], v[4:5]
	v_lshlrev_b32_e32 v4, 4, v7
	v_add_lshl_u32 v5, v4, v9, 2
	ds_bpermute_b32 v4, v5, v2
	ds_bpermute_b32 v5, v5, v3
	s_barrier
	s_waitcnt lgkmcnt(0)
	v_add_f64 v[2:3], v[2:3], v[4:5]
	v_cndmask_b32_e64 v4, 0, 1, s[0:1]
	v_lshlrev_b32_e32 v4, 3, v4
	v_add_lshl_u32 v5, v4, v9, 2
	ds_bpermute_b32 v4, v5, v2
	ds_bpermute_b32 v5, v5, v3
	v_cmp_gt_u32_e64 s[0:1], 60, v10
	s_waitcnt lgkmcnt(0)
	v_add_f64 v[2:3], v[2:3], v[4:5]
	v_cndmask_b32_e64 v4, 0, 1, s[0:1]
	v_lshlrev_b32_e32 v4, 2, v4
	v_add_lshl_u32 v7, v4, v9, 2
	ds_bpermute_b32 v4, v7, v2
	ds_bpermute_b32 v5, v7, v3
	v_cmp_gt_u32_e64 s[0:1], 62, v10
	s_waitcnt lgkmcnt(0)
	v_add_f64 v[2:3], v[2:3], v[4:5]
	v_cndmask_b32_e64 v4, 0, 1, s[0:1]
	v_lshlrev_b32_e32 v4, 1, v4
	v_add_lshl_u32 v8, v4, v9, 2
	ds_bpermute_b32 v4, v8, v2
	ds_bpermute_b32 v5, v8, v3
	v_cmp_ne_u32_e64 s[0:1], 63, v10
	s_waitcnt lgkmcnt(0)
	v_add_f64 v[2:3], v[2:3], v[4:5]
	v_addc_co_u32_e64 v4, s[0:1], 0, v9, s[0:1]
	v_lshlrev_b32_e32 v9, 2, v4
	ds_bpermute_b32 v4, v9, v2
	ds_bpermute_b32 v5, v9, v3
	v_cmp_eq_u32_e64 s[0:1], 0, v6
	s_and_saveexec_b64 s[8:9], s[0:1]
	s_cbranch_execz .LBB65_8
; %bb.7:
	s_waitcnt lgkmcnt(0)
	v_add_f64 v[2:3], v[2:3], v[4:5]
	v_lshrrev_b32_e32 v4, 3, v0
	v_and_b32_e32 v4, 56, v4
	ds_write_b64 v4, v[2:3]
.LBB65_8:
	s_or_b64 exec, exec, s[8:9]
	v_cmp_gt_u32_e64 s[0:1], 8, v0
	v_pk_mov_b32 v[2:3], 0, 0
	s_waitcnt lgkmcnt(0)
	s_barrier
	s_and_saveexec_b64 s[8:9], s[0:1]
	s_cbranch_execnz .LBB65_12
; %bb.9:
	s_or_b64 exec, exec, s[8:9]
	s_and_saveexec_b64 s[0:1], vcc
	s_cbranch_execnz .LBB65_13
.LBB65_10:
	s_or_b64 exec, exec, s[0:1]
	v_cmp_eq_u32_e32 vcc, 0, v0
	s_and_saveexec_b64 s[0:1], vcc
	s_cbranch_execnz .LBB65_14
.LBB65_11:
	s_endpgm
.LBB65_12:
	ds_read_b64 v[2:3], v1
	s_or_b64 exec, exec, s[8:9]
	s_and_saveexec_b64 s[0:1], vcc
	s_cbranch_execz .LBB65_10
.LBB65_13:
	s_waitcnt lgkmcnt(0)
	ds_bpermute_b32 v4, v7, v2
	ds_bpermute_b32 v5, v7, v3
	s_waitcnt lgkmcnt(0)
	v_add_f64 v[2:3], v[2:3], v[4:5]
	ds_bpermute_b32 v4, v8, v2
	ds_bpermute_b32 v5, v8, v3
	s_waitcnt lgkmcnt(0)
	v_add_f64 v[2:3], v[2:3], v[4:5]
	;; [unrolled: 4-line block ×3, first 2 shown]
	s_or_b64 exec, exec, s[0:1]
	v_cmp_eq_u32_e32 vcc, 0, v0
	s_and_saveexec_b64 s[0:1], vcc
	s_cbranch_execz .LBB65_11
.LBB65_14:
	s_cmp_lg_u32 s10, 1
	s_cbranch_scc0 .LBB65_16
; %bb.15:
	s_load_dwordx2 s[0:1], s[4:5], 0x50
	s_mul_hi_u32 s9, s10, s2
	s_mul_i32 s8, s10, s2
	s_lshl_b64 s[8:9], s[8:9], 3
	s_mov_b32 s7, 0
	s_waitcnt lgkmcnt(0)
	s_add_u32 s8, s0, s8
	s_addc_u32 s9, s1, s9
	s_lshl_b64 s[0:1], s[6:7], 3
	s_add_u32 s0, s8, s0
	s_addc_u32 s1, s9, s1
	s_cbranch_execz .LBB65_17
	s_branch .LBB65_18
.LBB65_16:
                                        ; implicit-def: $sgpr0_sgpr1
.LBB65_17:
	s_load_dwordx2 s[0:1], s[4:5], 0x58
	s_lshl_b64 s[2:3], s[2:3], 3
	s_waitcnt lgkmcnt(0)
	s_add_u32 s0, s0, s2
	s_addc_u32 s1, s1, s3
.LBB65_18:
	v_mov_b32_e32 v0, 0
	s_waitcnt lgkmcnt(0)
	global_store_dwordx2 v0, v[2:3], s[0:1]
	s_endpgm
	.section	.rodata,"a",@progbits
	.p2align	6, 0x0
	.amdhsa_kernel _ZL18rocblas_dot_kernelIiLb0ELi512ELi2ELb0EdPKddEviT5_lT_lS2_lS3_liPT6_PT4_
		.amdhsa_group_segment_fixed_size 512
		.amdhsa_private_segment_fixed_size 0
		.amdhsa_kernarg_size 352
		.amdhsa_user_sgpr_count 6
		.amdhsa_user_sgpr_private_segment_buffer 1
		.amdhsa_user_sgpr_dispatch_ptr 0
		.amdhsa_user_sgpr_queue_ptr 0
		.amdhsa_user_sgpr_kernarg_segment_ptr 1
		.amdhsa_user_sgpr_dispatch_id 0
		.amdhsa_user_sgpr_flat_scratch_init 0
		.amdhsa_user_sgpr_kernarg_preload_length 0
		.amdhsa_user_sgpr_kernarg_preload_offset 0
		.amdhsa_user_sgpr_private_segment_size 0
		.amdhsa_uses_dynamic_stack 0
		.amdhsa_system_sgpr_private_segment_wavefront_offset 0
		.amdhsa_system_sgpr_workgroup_id_x 1
		.amdhsa_system_sgpr_workgroup_id_y 0
		.amdhsa_system_sgpr_workgroup_id_z 1
		.amdhsa_system_sgpr_workgroup_info 0
		.amdhsa_system_vgpr_workitem_id 0
		.amdhsa_next_free_vgpr 11
		.amdhsa_next_free_sgpr 26
		.amdhsa_accum_offset 12
		.amdhsa_reserve_vcc 1
		.amdhsa_reserve_flat_scratch 0
		.amdhsa_float_round_mode_32 0
		.amdhsa_float_round_mode_16_64 0
		.amdhsa_float_denorm_mode_32 3
		.amdhsa_float_denorm_mode_16_64 3
		.amdhsa_dx10_clamp 1
		.amdhsa_ieee_mode 1
		.amdhsa_fp16_overflow 0
		.amdhsa_tg_split 0
		.amdhsa_exception_fp_ieee_invalid_op 0
		.amdhsa_exception_fp_denorm_src 0
		.amdhsa_exception_fp_ieee_div_zero 0
		.amdhsa_exception_fp_ieee_overflow 0
		.amdhsa_exception_fp_ieee_underflow 0
		.amdhsa_exception_fp_ieee_inexact 0
		.amdhsa_exception_int_div_zero 0
	.end_amdhsa_kernel
	.section	.text._ZL18rocblas_dot_kernelIiLb0ELi512ELi2ELb0EdPKddEviT5_lT_lS2_lS3_liPT6_PT4_,"axG",@progbits,_ZL18rocblas_dot_kernelIiLb0ELi512ELi2ELb0EdPKddEviT5_lT_lS2_lS3_liPT6_PT4_,comdat
.Lfunc_end65:
	.size	_ZL18rocblas_dot_kernelIiLb0ELi512ELi2ELb0EdPKddEviT5_lT_lS2_lS3_liPT6_PT4_, .Lfunc_end65-_ZL18rocblas_dot_kernelIiLb0ELi512ELi2ELb0EdPKddEviT5_lT_lS2_lS3_liPT6_PT4_
                                        ; -- End function
	.section	.AMDGPU.csdata,"",@progbits
; Kernel info:
; codeLenInByte = 1112
; NumSgprs: 30
; NumVgprs: 11
; NumAgprs: 0
; TotalNumVgprs: 11
; ScratchSize: 0
; MemoryBound: 0
; FloatMode: 240
; IeeeMode: 1
; LDSByteSize: 512 bytes/workgroup (compile time only)
; SGPRBlocks: 3
; VGPRBlocks: 1
; NumSGPRsForWavesPerEU: 30
; NumVGPRsForWavesPerEU: 11
; AccumOffset: 12
; Occupancy: 8
; WaveLimiterHint : 0
; COMPUTE_PGM_RSRC2:SCRATCH_EN: 0
; COMPUTE_PGM_RSRC2:USER_SGPR: 6
; COMPUTE_PGM_RSRC2:TRAP_HANDLER: 0
; COMPUTE_PGM_RSRC2:TGID_X_EN: 1
; COMPUTE_PGM_RSRC2:TGID_Y_EN: 0
; COMPUTE_PGM_RSRC2:TGID_Z_EN: 1
; COMPUTE_PGM_RSRC2:TIDIG_COMP_CNT: 0
; COMPUTE_PGM_RSRC3_GFX90A:ACCUM_OFFSET: 2
; COMPUTE_PGM_RSRC3_GFX90A:TG_SPLIT: 0
	.section	.text._ZL24rocblas_dot_kernel_magsqIiLb0ELi512ELi2ELb0EdPKddEviT5_lT_liPT6_PT4_,"axG",@progbits,_ZL24rocblas_dot_kernel_magsqIiLb0ELi512ELi2ELb0EdPKddEviT5_lT_liPT6_PT4_,comdat
	.globl	_ZL24rocblas_dot_kernel_magsqIiLb0ELi512ELi2ELb0EdPKddEviT5_lT_liPT6_PT4_ ; -- Begin function _ZL24rocblas_dot_kernel_magsqIiLb0ELi512ELi2ELb0EdPKddEviT5_lT_liPT6_PT4_
	.p2align	8
	.type	_ZL24rocblas_dot_kernel_magsqIiLb0ELi512ELi2ELb0EdPKddEviT5_lT_liPT6_PT4_,@function
_ZL24rocblas_dot_kernel_magsqIiLb0ELi512ELi2ELb0EdPKddEviT5_lT_liPT6_PT4_: ; @_ZL24rocblas_dot_kernel_magsqIiLb0ELi512ELi2ELb0EdPKddEviT5_lT_liPT6_PT4_
; %bb.0:
	s_mov_b32 s2, s7
	s_load_dword s7, s[4:5], 0x0
	s_load_dword s10, s[4:5], 0x40
	v_lshl_or_b32 v1, s6, 9, v0
	s_mov_b32 s3, 0
	v_pk_mov_b32 v[2:3], 0, 0
	s_waitcnt lgkmcnt(0)
	v_cmp_gt_i32_e32 vcc, s7, v1
	s_and_saveexec_b64 s[0:1], vcc
	s_cbranch_execz .LBB66_4
; %bb.1:
	s_load_dwordx2 s[8:9], s[4:5], 0x20
	s_load_dwordx4 s[12:15], s[4:5], 0x8
	s_load_dword s11, s[4:5], 0x18
	s_waitcnt lgkmcnt(0)
	s_mul_i32 s9, s2, s9
	s_mul_hi_u32 s16, s2, s8
	s_mul_i32 s8, s2, s8
	s_add_i32 s9, s16, s9
	s_lshl_b64 s[8:9], s[8:9], 3
	s_add_u32 s12, s12, s8
	s_addc_u32 s13, s13, s9
	s_lshl_b64 s[8:9], s[14:15], 3
	s_add_u32 s12, s12, s8
	s_addc_u32 s13, s13, s9
	v_mad_i64_i32 v[2:3], s[8:9], v1, s11, 0
	v_lshlrev_b64 v[2:3], 3, v[2:3]
	v_mov_b32_e32 v1, s13
	v_add_co_u32_e32 v2, vcc, s12, v2
	v_addc_co_u32_e32 v3, vcc, v1, v3, vcc
	global_load_dwordx2 v[2:3], v[2:3], off
	s_add_i32 s8, s6, s10
	v_lshl_or_b32 v1, s8, 9, v0
	v_cmp_gt_i32_e32 vcc, s7, v1
	s_waitcnt vmcnt(0)
	v_mul_f64 v[2:3], v[2:3], v[2:3]
	s_and_saveexec_b64 s[8:9], vcc
	s_cbranch_execz .LBB66_3
; %bb.2:
	v_mad_i64_i32 v[4:5], s[14:15], v1, s11, 0
	v_lshlrev_b64 v[4:5], 3, v[4:5]
	v_mov_b32_e32 v1, s13
	v_add_co_u32_e32 v4, vcc, s12, v4
	v_addc_co_u32_e32 v5, vcc, v1, v5, vcc
	global_load_dwordx2 v[4:5], v[4:5], off
	s_waitcnt vmcnt(0)
	v_fmac_f64_e32 v[2:3], v[4:5], v[4:5]
.LBB66_3:
	s_or_b64 exec, exec, s[8:9]
.LBB66_4:
	s_or_b64 exec, exec, s[0:1]
	v_and_b32_e32 v6, 63, v0
	v_cmp_gt_u32_e32 vcc, 64, v0
	v_lshlrev_b32_e32 v1, 3, v6
	s_and_saveexec_b64 s[0:1], vcc
	s_cbranch_execz .LBB66_6
; %bb.5:
	v_mov_b32_e32 v4, 0
	v_mov_b32_e32 v5, v4
	ds_write_b64 v1, v[4:5]
.LBB66_6:
	s_or_b64 exec, exec, s[0:1]
	v_mbcnt_lo_u32_b32 v4, -1, 0
	v_mbcnt_hi_u32_b32 v9, -1, v4
	v_and_b32_e32 v10, 63, v9
	v_cmp_gt_u32_e64 s[0:1], 32, v10
	v_cndmask_b32_e64 v4, 0, 1, s[0:1]
	v_lshlrev_b32_e32 v4, 5, v4
	v_add_lshl_u32 v5, v4, v9, 2
	ds_bpermute_b32 v4, v5, v2
	ds_bpermute_b32 v5, v5, v3
	v_cmp_gt_u32_e64 s[0:1], 48, v10
	v_cndmask_b32_e64 v7, 0, 1, s[0:1]
	v_cmp_gt_u32_e64 s[0:1], 56, v10
	s_waitcnt lgkmcnt(0)
	v_add_f64 v[2:3], v[2:3], v[4:5]
	v_lshlrev_b32_e32 v4, 4, v7
	v_add_lshl_u32 v5, v4, v9, 2
	ds_bpermute_b32 v4, v5, v2
	ds_bpermute_b32 v5, v5, v3
	s_barrier
	s_waitcnt lgkmcnt(0)
	v_add_f64 v[2:3], v[2:3], v[4:5]
	v_cndmask_b32_e64 v4, 0, 1, s[0:1]
	v_lshlrev_b32_e32 v4, 3, v4
	v_add_lshl_u32 v5, v4, v9, 2
	ds_bpermute_b32 v4, v5, v2
	ds_bpermute_b32 v5, v5, v3
	v_cmp_gt_u32_e64 s[0:1], 60, v10
	s_waitcnt lgkmcnt(0)
	v_add_f64 v[2:3], v[2:3], v[4:5]
	v_cndmask_b32_e64 v4, 0, 1, s[0:1]
	v_lshlrev_b32_e32 v4, 2, v4
	v_add_lshl_u32 v7, v4, v9, 2
	ds_bpermute_b32 v4, v7, v2
	ds_bpermute_b32 v5, v7, v3
	v_cmp_gt_u32_e64 s[0:1], 62, v10
	s_waitcnt lgkmcnt(0)
	v_add_f64 v[2:3], v[2:3], v[4:5]
	v_cndmask_b32_e64 v4, 0, 1, s[0:1]
	v_lshlrev_b32_e32 v4, 1, v4
	v_add_lshl_u32 v8, v4, v9, 2
	ds_bpermute_b32 v4, v8, v2
	ds_bpermute_b32 v5, v8, v3
	v_cmp_ne_u32_e64 s[0:1], 63, v10
	s_waitcnt lgkmcnt(0)
	v_add_f64 v[2:3], v[2:3], v[4:5]
	v_addc_co_u32_e64 v4, s[0:1], 0, v9, s[0:1]
	v_lshlrev_b32_e32 v9, 2, v4
	ds_bpermute_b32 v4, v9, v2
	ds_bpermute_b32 v5, v9, v3
	v_cmp_eq_u32_e64 s[0:1], 0, v6
	s_and_saveexec_b64 s[8:9], s[0:1]
	s_cbranch_execz .LBB66_8
; %bb.7:
	s_waitcnt lgkmcnt(0)
	v_add_f64 v[2:3], v[2:3], v[4:5]
	v_lshrrev_b32_e32 v4, 3, v0
	v_and_b32_e32 v4, 56, v4
	ds_write_b64 v4, v[2:3]
.LBB66_8:
	s_or_b64 exec, exec, s[8:9]
	v_cmp_gt_u32_e64 s[0:1], 8, v0
	v_pk_mov_b32 v[2:3], 0, 0
	s_waitcnt lgkmcnt(0)
	s_barrier
	s_and_saveexec_b64 s[8:9], s[0:1]
	s_cbranch_execnz .LBB66_12
; %bb.9:
	s_or_b64 exec, exec, s[8:9]
	s_and_saveexec_b64 s[0:1], vcc
	s_cbranch_execnz .LBB66_13
.LBB66_10:
	s_or_b64 exec, exec, s[0:1]
	v_cmp_eq_u32_e32 vcc, 0, v0
	s_and_saveexec_b64 s[0:1], vcc
	s_cbranch_execnz .LBB66_14
.LBB66_11:
	s_endpgm
.LBB66_12:
	ds_read_b64 v[2:3], v1
	s_or_b64 exec, exec, s[8:9]
	s_and_saveexec_b64 s[0:1], vcc
	s_cbranch_execz .LBB66_10
.LBB66_13:
	s_waitcnt lgkmcnt(0)
	ds_bpermute_b32 v4, v7, v2
	ds_bpermute_b32 v5, v7, v3
	s_waitcnt lgkmcnt(0)
	v_add_f64 v[2:3], v[2:3], v[4:5]
	ds_bpermute_b32 v4, v8, v2
	ds_bpermute_b32 v5, v8, v3
	s_waitcnt lgkmcnt(0)
	v_add_f64 v[2:3], v[2:3], v[4:5]
	;; [unrolled: 4-line block ×3, first 2 shown]
	s_or_b64 exec, exec, s[0:1]
	v_cmp_eq_u32_e32 vcc, 0, v0
	s_and_saveexec_b64 s[0:1], vcc
	s_cbranch_execz .LBB66_11
.LBB66_14:
	s_cmp_lg_u32 s10, 1
	s_cbranch_scc0 .LBB66_16
; %bb.15:
	s_load_dwordx2 s[0:1], s[4:5], 0x30
	s_mul_hi_u32 s9, s10, s2
	s_mul_i32 s8, s10, s2
	s_lshl_b64 s[8:9], s[8:9], 3
	s_mov_b32 s7, 0
	s_waitcnt lgkmcnt(0)
	s_add_u32 s8, s0, s8
	s_addc_u32 s9, s1, s9
	s_lshl_b64 s[0:1], s[6:7], 3
	s_add_u32 s0, s8, s0
	s_addc_u32 s1, s9, s1
	s_cbranch_execz .LBB66_17
	s_branch .LBB66_18
.LBB66_16:
                                        ; implicit-def: $sgpr0_sgpr1
.LBB66_17:
	s_load_dwordx2 s[0:1], s[4:5], 0x38
	s_lshl_b64 s[2:3], s[2:3], 3
	s_waitcnt lgkmcnt(0)
	s_add_u32 s0, s0, s2
	s_addc_u32 s1, s1, s3
.LBB66_18:
	v_mov_b32_e32 v0, 0
	s_waitcnt lgkmcnt(0)
	global_store_dwordx2 v0, v[2:3], s[0:1]
	s_endpgm
	.section	.rodata,"a",@progbits
	.p2align	6, 0x0
	.amdhsa_kernel _ZL24rocblas_dot_kernel_magsqIiLb0ELi512ELi2ELb0EdPKddEviT5_lT_liPT6_PT4_
		.amdhsa_group_segment_fixed_size 512
		.amdhsa_private_segment_fixed_size 0
		.amdhsa_kernarg_size 320
		.amdhsa_user_sgpr_count 6
		.amdhsa_user_sgpr_private_segment_buffer 1
		.amdhsa_user_sgpr_dispatch_ptr 0
		.amdhsa_user_sgpr_queue_ptr 0
		.amdhsa_user_sgpr_kernarg_segment_ptr 1
		.amdhsa_user_sgpr_dispatch_id 0
		.amdhsa_user_sgpr_flat_scratch_init 0
		.amdhsa_user_sgpr_kernarg_preload_length 0
		.amdhsa_user_sgpr_kernarg_preload_offset 0
		.amdhsa_user_sgpr_private_segment_size 0
		.amdhsa_uses_dynamic_stack 0
		.amdhsa_system_sgpr_private_segment_wavefront_offset 0
		.amdhsa_system_sgpr_workgroup_id_x 1
		.amdhsa_system_sgpr_workgroup_id_y 0
		.amdhsa_system_sgpr_workgroup_id_z 1
		.amdhsa_system_sgpr_workgroup_info 0
		.amdhsa_system_vgpr_workitem_id 0
		.amdhsa_next_free_vgpr 11
		.amdhsa_next_free_sgpr 17
		.amdhsa_accum_offset 12
		.amdhsa_reserve_vcc 1
		.amdhsa_reserve_flat_scratch 0
		.amdhsa_float_round_mode_32 0
		.amdhsa_float_round_mode_16_64 0
		.amdhsa_float_denorm_mode_32 3
		.amdhsa_float_denorm_mode_16_64 3
		.amdhsa_dx10_clamp 1
		.amdhsa_ieee_mode 1
		.amdhsa_fp16_overflow 0
		.amdhsa_tg_split 0
		.amdhsa_exception_fp_ieee_invalid_op 0
		.amdhsa_exception_fp_denorm_src 0
		.amdhsa_exception_fp_ieee_div_zero 0
		.amdhsa_exception_fp_ieee_overflow 0
		.amdhsa_exception_fp_ieee_underflow 0
		.amdhsa_exception_fp_ieee_inexact 0
		.amdhsa_exception_int_div_zero 0
	.end_amdhsa_kernel
	.section	.text._ZL24rocblas_dot_kernel_magsqIiLb0ELi512ELi2ELb0EdPKddEviT5_lT_liPT6_PT4_,"axG",@progbits,_ZL24rocblas_dot_kernel_magsqIiLb0ELi512ELi2ELb0EdPKddEviT5_lT_liPT6_PT4_,comdat
.Lfunc_end66:
	.size	_ZL24rocblas_dot_kernel_magsqIiLb0ELi512ELi2ELb0EdPKddEviT5_lT_liPT6_PT4_, .Lfunc_end66-_ZL24rocblas_dot_kernel_magsqIiLb0ELi512ELi2ELb0EdPKddEviT5_lT_liPT6_PT4_
                                        ; -- End function
	.section	.AMDGPU.csdata,"",@progbits
; Kernel info:
; codeLenInByte = 972
; NumSgprs: 21
; NumVgprs: 11
; NumAgprs: 0
; TotalNumVgprs: 11
; ScratchSize: 0
; MemoryBound: 0
; FloatMode: 240
; IeeeMode: 1
; LDSByteSize: 512 bytes/workgroup (compile time only)
; SGPRBlocks: 2
; VGPRBlocks: 1
; NumSGPRsForWavesPerEU: 21
; NumVGPRsForWavesPerEU: 11
; AccumOffset: 12
; Occupancy: 8
; WaveLimiterHint : 0
; COMPUTE_PGM_RSRC2:SCRATCH_EN: 0
; COMPUTE_PGM_RSRC2:USER_SGPR: 6
; COMPUTE_PGM_RSRC2:TRAP_HANDLER: 0
; COMPUTE_PGM_RSRC2:TGID_X_EN: 1
; COMPUTE_PGM_RSRC2:TGID_Y_EN: 0
; COMPUTE_PGM_RSRC2:TGID_Z_EN: 1
; COMPUTE_PGM_RSRC2:TIDIG_COMP_CNT: 0
; COMPUTE_PGM_RSRC3_GFX90A:ACCUM_OFFSET: 2
; COMPUTE_PGM_RSRC3_GFX90A:TG_SPLIT: 0
	.section	.text._ZL28rocblas_dot_batched_4_kernelIlLi32ELi4ELb0EddPKdEviT5_lT_lS2_lS3_liPT4_,"axG",@progbits,_ZL28rocblas_dot_batched_4_kernelIlLi32ELi4ELb0EddPKdEviT5_lT_lS2_lS3_liPT4_,comdat
	.globl	_ZL28rocblas_dot_batched_4_kernelIlLi32ELi4ELb0EddPKdEviT5_lT_lS2_lS3_liPT4_ ; -- Begin function _ZL28rocblas_dot_batched_4_kernelIlLi32ELi4ELb0EddPKdEviT5_lT_lS2_lS3_liPT4_
	.p2align	8
	.type	_ZL28rocblas_dot_batched_4_kernelIlLi32ELi4ELb0EddPKdEviT5_lT_lS2_lS3_liPT4_,@function
_ZL28rocblas_dot_batched_4_kernelIlLi32ELi4ELb0EddPKdEviT5_lT_lS2_lS3_liPT4_: ; @_ZL28rocblas_dot_batched_4_kernelIlLi32ELi4ELb0EddPKdEviT5_lT_lS2_lS3_liPT4_
; %bb.0:
	s_load_dword s0, s[4:5], 0x48
	v_bfe_u32 v1, v0, 10, 10
	v_lshl_add_u32 v2, s6, 2, v1
	s_waitcnt lgkmcnt(0)
	v_cmp_gt_u32_e32 vcc, s0, v2
	s_and_saveexec_b64 s[0:1], vcc
	s_cbranch_execz .LBB67_7
; %bb.1:
	s_load_dword s16, s[4:5], 0x0
	s_load_dwordx2 s[0:1], s[4:5], 0x50
	v_and_b32_e32 v8, 0x3ff, v0
	v_mov_b32_e32 v3, 0
	v_pk_mov_b32 v[0:1], 0, 0
	s_waitcnt lgkmcnt(0)
	v_cmp_gt_i32_e32 vcc, s16, v8
	s_and_saveexec_b64 s[2:3], vcc
	s_cbranch_execz .LBB67_5
; %bb.2:
	s_load_dwordx4 s[20:23], s[4:5], 0x10
	s_load_dwordx2 s[6:7], s[4:5], 0x8
	s_load_dwordx8 s[8:15], s[4:5], 0x20
	s_load_dwordx2 s[18:19], s[4:5], 0x40
	s_waitcnt lgkmcnt(0)
	v_mad_u64_u32 v[0:1], s[4:5], s22, v8, 0
	v_mov_b32_e32 v4, v1
	v_mad_u64_u32 v[4:5], s[4:5], s23, v8, v[4:5]
	v_mov_b32_e32 v1, v4
	;; [unrolled: 2-line block ×4, first 2 shown]
	v_lshlrev_b64 v[0:1], 3, v[0:1]
	v_lshlrev_b64 v[4:5], 3, v[4:5]
	s_lshl_b64 s[4:5], s[20:21], 3
	v_add_co_u32_e32 v0, vcc, v0, v4
	s_add_u32 s4, s6, s4
	v_addc_co_u32_e32 v1, vcc, v1, v5, vcc
	s_addc_u32 s5, s7, s5
	v_mov_b32_e32 v5, s5
	v_add_co_u32_e32 v4, vcc, s4, v0
	v_addc_co_u32_e32 v5, vcc, v5, v1, vcc
	v_mad_u64_u32 v[0:1], s[6:7], s14, v8, 0
	v_mov_b32_e32 v6, v1
	v_mad_u64_u32 v[6:7], s[6:7], s15, v8, v[6:7]
	v_mov_b32_e32 v1, v6
	;; [unrolled: 2-line block ×4, first 2 shown]
	s_lshl_b64 s[4:5], s[22:23], 8
	v_lshlrev_b64 v[0:1], 3, v[0:1]
	v_lshlrev_b64 v[6:7], 3, v[6:7]
	s_lshl_b64 s[6:7], s[12:13], 3
	v_add_co_u32_e32 v0, vcc, v0, v6
	s_add_u32 s6, s10, s6
	v_addc_co_u32_e32 v1, vcc, v1, v7, vcc
	s_addc_u32 s7, s11, s7
	v_mov_b32_e32 v7, s7
	v_add_co_u32_e32 v6, vcc, s6, v0
	s_lshl_b64 s[8:9], s[14:15], 8
	v_addc_co_u32_e32 v7, vcc, v7, v1, vcc
	s_mov_b64 s[6:7], 0
	v_pk_mov_b32 v[0:1], 0, 0
	v_mov_b32_e32 v9, s5
	v_mov_b32_e32 v10, s9
	;; [unrolled: 1-line block ×3, first 2 shown]
.LBB67_3:                               ; =>This Inner Loop Header: Depth=1
	global_load_dwordx2 v[12:13], v[4:5], off
	global_load_dwordx2 v[14:15], v[6:7], off
	v_add_co_u32_e32 v4, vcc, s4, v4
	v_addc_co_u32_e32 v5, vcc, v5, v9, vcc
	v_add_co_u32_e32 v6, vcc, s8, v6
	v_add_u32_e32 v11, 32, v11
	v_addc_co_u32_e32 v7, vcc, v7, v10, vcc
	v_cmp_le_i32_e32 vcc, s16, v11
	s_or_b64 s[6:7], vcc, s[6:7]
	s_waitcnt vmcnt(0)
	v_fmac_f64_e32 v[0:1], v[12:13], v[14:15]
	s_andn2_b64 exec, exec, s[6:7]
	s_cbranch_execnz .LBB67_3
; %bb.4:
	s_or_b64 exec, exec, s[6:7]
.LBB67_5:
	s_or_b64 exec, exec, s[2:3]
	v_mbcnt_lo_u32_b32 v4, -1, 0
	v_mbcnt_hi_u32_b32 v6, -1, v4
	v_and_b32_e32 v7, 63, v6
	v_cmp_gt_u32_e32 vcc, 48, v7
	v_cndmask_b32_e64 v4, 0, 1, vcc
	v_lshlrev_b32_e32 v4, 4, v4
	v_add_lshl_u32 v5, v4, v6, 2
	ds_bpermute_b32 v4, v5, v0
	ds_bpermute_b32 v5, v5, v1
	v_cmp_gt_u32_e32 vcc, 56, v7
	v_cndmask_b32_e64 v9, 0, 1, vcc
	v_cmp_gt_u32_e32 vcc, 60, v7
	s_waitcnt lgkmcnt(0)
	v_add_f64 v[0:1], v[0:1], v[4:5]
	v_lshlrev_b32_e32 v4, 3, v9
	v_add_lshl_u32 v5, v4, v6, 2
	ds_bpermute_b32 v4, v5, v0
	ds_bpermute_b32 v5, v5, v1
	s_barrier
	s_waitcnt lgkmcnt(0)
	v_add_f64 v[0:1], v[0:1], v[4:5]
	v_cndmask_b32_e64 v4, 0, 1, vcc
	v_lshlrev_b32_e32 v4, 2, v4
	v_add_lshl_u32 v5, v4, v6, 2
	ds_bpermute_b32 v4, v5, v0
	ds_bpermute_b32 v5, v5, v1
	v_cmp_gt_u32_e32 vcc, 62, v7
	s_waitcnt lgkmcnt(0)
	v_add_f64 v[0:1], v[0:1], v[4:5]
	v_cndmask_b32_e64 v4, 0, 1, vcc
	v_lshlrev_b32_e32 v4, 1, v4
	v_add_lshl_u32 v5, v4, v6, 2
	ds_bpermute_b32 v4, v5, v0
	ds_bpermute_b32 v5, v5, v1
	v_cmp_ne_u32_e32 vcc, 63, v7
	s_waitcnt lgkmcnt(0)
	v_add_f64 v[0:1], v[0:1], v[4:5]
	v_addc_co_u32_e32 v4, vcc, 0, v6, vcc
	v_lshlrev_b32_e32 v5, 2, v4
	ds_bpermute_b32 v4, v5, v0
	ds_bpermute_b32 v5, v5, v1
	v_cmp_eq_u32_e32 vcc, 0, v8
	s_and_b64 exec, exec, vcc
	s_cbranch_execz .LBB67_7
; %bb.6:
	v_lshlrev_b64 v[2:3], 3, v[2:3]
	v_mov_b32_e32 v6, s1
	v_add_co_u32_e32 v2, vcc, s0, v2
	v_addc_co_u32_e32 v3, vcc, v6, v3, vcc
	s_waitcnt lgkmcnt(0)
	v_add_f64 v[0:1], v[0:1], v[4:5]
	global_store_dwordx2 v[2:3], v[0:1], off
.LBB67_7:
	s_endpgm
	.section	.rodata,"a",@progbits
	.p2align	6, 0x0
	.amdhsa_kernel _ZL28rocblas_dot_batched_4_kernelIlLi32ELi4ELb0EddPKdEviT5_lT_lS2_lS3_liPT4_
		.amdhsa_group_segment_fixed_size 0
		.amdhsa_private_segment_fixed_size 0
		.amdhsa_kernarg_size 88
		.amdhsa_user_sgpr_count 6
		.amdhsa_user_sgpr_private_segment_buffer 1
		.amdhsa_user_sgpr_dispatch_ptr 0
		.amdhsa_user_sgpr_queue_ptr 0
		.amdhsa_user_sgpr_kernarg_segment_ptr 1
		.amdhsa_user_sgpr_dispatch_id 0
		.amdhsa_user_sgpr_flat_scratch_init 0
		.amdhsa_user_sgpr_kernarg_preload_length 0
		.amdhsa_user_sgpr_kernarg_preload_offset 0
		.amdhsa_user_sgpr_private_segment_size 0
		.amdhsa_uses_dynamic_stack 0
		.amdhsa_system_sgpr_private_segment_wavefront_offset 0
		.amdhsa_system_sgpr_workgroup_id_x 1
		.amdhsa_system_sgpr_workgroup_id_y 0
		.amdhsa_system_sgpr_workgroup_id_z 0
		.amdhsa_system_sgpr_workgroup_info 0
		.amdhsa_system_vgpr_workitem_id 1
		.amdhsa_next_free_vgpr 16
		.amdhsa_next_free_sgpr 24
		.amdhsa_accum_offset 16
		.amdhsa_reserve_vcc 1
		.amdhsa_reserve_flat_scratch 0
		.amdhsa_float_round_mode_32 0
		.amdhsa_float_round_mode_16_64 0
		.amdhsa_float_denorm_mode_32 3
		.amdhsa_float_denorm_mode_16_64 3
		.amdhsa_dx10_clamp 1
		.amdhsa_ieee_mode 1
		.amdhsa_fp16_overflow 0
		.amdhsa_tg_split 0
		.amdhsa_exception_fp_ieee_invalid_op 0
		.amdhsa_exception_fp_denorm_src 0
		.amdhsa_exception_fp_ieee_div_zero 0
		.amdhsa_exception_fp_ieee_overflow 0
		.amdhsa_exception_fp_ieee_underflow 0
		.amdhsa_exception_fp_ieee_inexact 0
		.amdhsa_exception_int_div_zero 0
	.end_amdhsa_kernel
	.section	.text._ZL28rocblas_dot_batched_4_kernelIlLi32ELi4ELb0EddPKdEviT5_lT_lS2_lS3_liPT4_,"axG",@progbits,_ZL28rocblas_dot_batched_4_kernelIlLi32ELi4ELb0EddPKdEviT5_lT_lS2_lS3_liPT4_,comdat
.Lfunc_end67:
	.size	_ZL28rocblas_dot_batched_4_kernelIlLi32ELi4ELb0EddPKdEviT5_lT_lS2_lS3_liPT4_, .Lfunc_end67-_ZL28rocblas_dot_batched_4_kernelIlLi32ELi4ELb0EddPKdEviT5_lT_lS2_lS3_liPT4_
                                        ; -- End function
	.section	.AMDGPU.csdata,"",@progbits
; Kernel info:
; codeLenInByte = 736
; NumSgprs: 28
; NumVgprs: 16
; NumAgprs: 0
; TotalNumVgprs: 16
; ScratchSize: 0
; MemoryBound: 0
; FloatMode: 240
; IeeeMode: 1
; LDSByteSize: 0 bytes/workgroup (compile time only)
; SGPRBlocks: 3
; VGPRBlocks: 1
; NumSGPRsForWavesPerEU: 28
; NumVGPRsForWavesPerEU: 16
; AccumOffset: 16
; Occupancy: 8
; WaveLimiterHint : 0
; COMPUTE_PGM_RSRC2:SCRATCH_EN: 0
; COMPUTE_PGM_RSRC2:USER_SGPR: 6
; COMPUTE_PGM_RSRC2:TRAP_HANDLER: 0
; COMPUTE_PGM_RSRC2:TGID_X_EN: 1
; COMPUTE_PGM_RSRC2:TGID_Y_EN: 0
; COMPUTE_PGM_RSRC2:TGID_Z_EN: 0
; COMPUTE_PGM_RSRC2:TIDIG_COMP_CNT: 1
; COMPUTE_PGM_RSRC3_GFX90A:ACCUM_OFFSET: 3
; COMPUTE_PGM_RSRC3_GFX90A:TG_SPLIT: 0
	.section	.text._ZL28rocblas_dot_batched_4_kernelIlLi64ELi4ELb0EddPKdEviT5_lT_lS2_lS3_liPT4_,"axG",@progbits,_ZL28rocblas_dot_batched_4_kernelIlLi64ELi4ELb0EddPKdEviT5_lT_lS2_lS3_liPT4_,comdat
	.globl	_ZL28rocblas_dot_batched_4_kernelIlLi64ELi4ELb0EddPKdEviT5_lT_lS2_lS3_liPT4_ ; -- Begin function _ZL28rocblas_dot_batched_4_kernelIlLi64ELi4ELb0EddPKdEviT5_lT_lS2_lS3_liPT4_
	.p2align	8
	.type	_ZL28rocblas_dot_batched_4_kernelIlLi64ELi4ELb0EddPKdEviT5_lT_lS2_lS3_liPT4_,@function
_ZL28rocblas_dot_batched_4_kernelIlLi64ELi4ELb0EddPKdEviT5_lT_lS2_lS3_liPT4_: ; @_ZL28rocblas_dot_batched_4_kernelIlLi64ELi4ELb0EddPKdEviT5_lT_lS2_lS3_liPT4_
; %bb.0:
	s_load_dword s0, s[4:5], 0x48
	v_bfe_u32 v1, v0, 10, 10
	v_lshl_add_u32 v2, s6, 2, v1
	s_waitcnt lgkmcnt(0)
	v_cmp_gt_u32_e32 vcc, s0, v2
	s_and_saveexec_b64 s[0:1], vcc
	s_cbranch_execz .LBB68_7
; %bb.1:
	s_load_dword s16, s[4:5], 0x0
	s_load_dwordx2 s[0:1], s[4:5], 0x50
	v_and_b32_e32 v8, 0x3ff, v0
	v_mov_b32_e32 v3, 0
	v_pk_mov_b32 v[0:1], 0, 0
	s_waitcnt lgkmcnt(0)
	v_cmp_gt_i32_e32 vcc, s16, v8
	s_and_saveexec_b64 s[2:3], vcc
	s_cbranch_execz .LBB68_5
; %bb.2:
	s_load_dwordx4 s[20:23], s[4:5], 0x10
	s_load_dwordx2 s[6:7], s[4:5], 0x8
	s_load_dwordx8 s[8:15], s[4:5], 0x20
	s_load_dwordx2 s[18:19], s[4:5], 0x40
	s_waitcnt lgkmcnt(0)
	v_mad_u64_u32 v[0:1], s[4:5], s22, v8, 0
	v_mov_b32_e32 v4, v1
	v_mad_u64_u32 v[4:5], s[4:5], s23, v8, v[4:5]
	v_mov_b32_e32 v1, v4
	;; [unrolled: 2-line block ×4, first 2 shown]
	v_lshlrev_b64 v[0:1], 3, v[0:1]
	v_lshlrev_b64 v[4:5], 3, v[4:5]
	s_lshl_b64 s[4:5], s[20:21], 3
	v_add_co_u32_e32 v0, vcc, v0, v4
	s_add_u32 s4, s6, s4
	v_addc_co_u32_e32 v1, vcc, v1, v5, vcc
	s_addc_u32 s5, s7, s5
	v_mov_b32_e32 v5, s5
	v_add_co_u32_e32 v4, vcc, s4, v0
	v_addc_co_u32_e32 v5, vcc, v5, v1, vcc
	v_mad_u64_u32 v[0:1], s[6:7], s14, v8, 0
	v_mov_b32_e32 v6, v1
	v_mad_u64_u32 v[6:7], s[6:7], s15, v8, v[6:7]
	v_mov_b32_e32 v1, v6
	;; [unrolled: 2-line block ×4, first 2 shown]
	s_lshl_b64 s[4:5], s[22:23], 9
	v_lshlrev_b64 v[0:1], 3, v[0:1]
	v_lshlrev_b64 v[6:7], 3, v[6:7]
	s_lshl_b64 s[6:7], s[12:13], 3
	v_add_co_u32_e32 v0, vcc, v0, v6
	s_add_u32 s6, s10, s6
	v_addc_co_u32_e32 v1, vcc, v1, v7, vcc
	s_addc_u32 s7, s11, s7
	v_mov_b32_e32 v7, s7
	v_add_co_u32_e32 v6, vcc, s6, v0
	s_lshl_b64 s[8:9], s[14:15], 9
	v_addc_co_u32_e32 v7, vcc, v7, v1, vcc
	s_mov_b64 s[6:7], 0
	v_pk_mov_b32 v[0:1], 0, 0
	v_mov_b32_e32 v9, s5
	v_mov_b32_e32 v10, s9
	;; [unrolled: 1-line block ×3, first 2 shown]
.LBB68_3:                               ; =>This Inner Loop Header: Depth=1
	global_load_dwordx2 v[12:13], v[4:5], off
	global_load_dwordx2 v[14:15], v[6:7], off
	v_add_co_u32_e32 v4, vcc, s4, v4
	v_addc_co_u32_e32 v5, vcc, v5, v9, vcc
	v_add_co_u32_e32 v6, vcc, s8, v6
	v_add_u32_e32 v11, 64, v11
	v_addc_co_u32_e32 v7, vcc, v7, v10, vcc
	v_cmp_le_i32_e32 vcc, s16, v11
	s_or_b64 s[6:7], vcc, s[6:7]
	s_waitcnt vmcnt(0)
	v_fmac_f64_e32 v[0:1], v[12:13], v[14:15]
	s_andn2_b64 exec, exec, s[6:7]
	s_cbranch_execnz .LBB68_3
; %bb.4:
	s_or_b64 exec, exec, s[6:7]
.LBB68_5:
	s_or_b64 exec, exec, s[2:3]
	v_mbcnt_lo_u32_b32 v4, -1, 0
	v_mbcnt_hi_u32_b32 v6, -1, v4
	v_and_b32_e32 v7, 63, v6
	v_cmp_gt_u32_e32 vcc, 32, v7
	v_cndmask_b32_e64 v4, 0, 1, vcc
	v_lshlrev_b32_e32 v4, 5, v4
	v_add_lshl_u32 v5, v4, v6, 2
	ds_bpermute_b32 v4, v5, v0
	ds_bpermute_b32 v5, v5, v1
	v_cmp_gt_u32_e32 vcc, 48, v7
	v_cndmask_b32_e64 v9, 0, 1, vcc
	v_cmp_gt_u32_e32 vcc, 56, v7
	s_waitcnt lgkmcnt(0)
	v_add_f64 v[0:1], v[0:1], v[4:5]
	v_lshlrev_b32_e32 v4, 4, v9
	v_add_lshl_u32 v5, v4, v6, 2
	ds_bpermute_b32 v4, v5, v0
	ds_bpermute_b32 v5, v5, v1
	s_barrier
	s_waitcnt lgkmcnt(0)
	v_add_f64 v[0:1], v[0:1], v[4:5]
	v_cndmask_b32_e64 v4, 0, 1, vcc
	v_lshlrev_b32_e32 v4, 3, v4
	v_add_lshl_u32 v5, v4, v6, 2
	ds_bpermute_b32 v4, v5, v0
	ds_bpermute_b32 v5, v5, v1
	v_cmp_gt_u32_e32 vcc, 60, v7
	s_waitcnt lgkmcnt(0)
	v_add_f64 v[0:1], v[0:1], v[4:5]
	v_cndmask_b32_e64 v4, 0, 1, vcc
	v_lshlrev_b32_e32 v4, 2, v4
	v_add_lshl_u32 v5, v4, v6, 2
	ds_bpermute_b32 v4, v5, v0
	ds_bpermute_b32 v5, v5, v1
	v_cmp_gt_u32_e32 vcc, 62, v7
	s_waitcnt lgkmcnt(0)
	v_add_f64 v[0:1], v[0:1], v[4:5]
	v_cndmask_b32_e64 v4, 0, 1, vcc
	v_lshlrev_b32_e32 v4, 1, v4
	v_add_lshl_u32 v5, v4, v6, 2
	ds_bpermute_b32 v4, v5, v0
	ds_bpermute_b32 v5, v5, v1
	v_cmp_ne_u32_e32 vcc, 63, v7
	s_waitcnt lgkmcnt(0)
	v_add_f64 v[0:1], v[0:1], v[4:5]
	v_addc_co_u32_e32 v4, vcc, 0, v6, vcc
	v_lshlrev_b32_e32 v5, 2, v4
	ds_bpermute_b32 v4, v5, v0
	ds_bpermute_b32 v5, v5, v1
	v_cmp_eq_u32_e32 vcc, 0, v8
	s_and_b64 exec, exec, vcc
	s_cbranch_execz .LBB68_7
; %bb.6:
	v_lshlrev_b64 v[2:3], 3, v[2:3]
	v_mov_b32_e32 v6, s1
	v_add_co_u32_e32 v2, vcc, s0, v2
	v_addc_co_u32_e32 v3, vcc, v6, v3, vcc
	s_waitcnt lgkmcnt(0)
	v_add_f64 v[0:1], v[0:1], v[4:5]
	global_store_dwordx2 v[2:3], v[0:1], off
.LBB68_7:
	s_endpgm
	.section	.rodata,"a",@progbits
	.p2align	6, 0x0
	.amdhsa_kernel _ZL28rocblas_dot_batched_4_kernelIlLi64ELi4ELb0EddPKdEviT5_lT_lS2_lS3_liPT4_
		.amdhsa_group_segment_fixed_size 0
		.amdhsa_private_segment_fixed_size 0
		.amdhsa_kernarg_size 88
		.amdhsa_user_sgpr_count 6
		.amdhsa_user_sgpr_private_segment_buffer 1
		.amdhsa_user_sgpr_dispatch_ptr 0
		.amdhsa_user_sgpr_queue_ptr 0
		.amdhsa_user_sgpr_kernarg_segment_ptr 1
		.amdhsa_user_sgpr_dispatch_id 0
		.amdhsa_user_sgpr_flat_scratch_init 0
		.amdhsa_user_sgpr_kernarg_preload_length 0
		.amdhsa_user_sgpr_kernarg_preload_offset 0
		.amdhsa_user_sgpr_private_segment_size 0
		.amdhsa_uses_dynamic_stack 0
		.amdhsa_system_sgpr_private_segment_wavefront_offset 0
		.amdhsa_system_sgpr_workgroup_id_x 1
		.amdhsa_system_sgpr_workgroup_id_y 0
		.amdhsa_system_sgpr_workgroup_id_z 0
		.amdhsa_system_sgpr_workgroup_info 0
		.amdhsa_system_vgpr_workitem_id 1
		.amdhsa_next_free_vgpr 16
		.amdhsa_next_free_sgpr 24
		.amdhsa_accum_offset 16
		.amdhsa_reserve_vcc 1
		.amdhsa_reserve_flat_scratch 0
		.amdhsa_float_round_mode_32 0
		.amdhsa_float_round_mode_16_64 0
		.amdhsa_float_denorm_mode_32 3
		.amdhsa_float_denorm_mode_16_64 3
		.amdhsa_dx10_clamp 1
		.amdhsa_ieee_mode 1
		.amdhsa_fp16_overflow 0
		.amdhsa_tg_split 0
		.amdhsa_exception_fp_ieee_invalid_op 0
		.amdhsa_exception_fp_denorm_src 0
		.amdhsa_exception_fp_ieee_div_zero 0
		.amdhsa_exception_fp_ieee_overflow 0
		.amdhsa_exception_fp_ieee_underflow 0
		.amdhsa_exception_fp_ieee_inexact 0
		.amdhsa_exception_int_div_zero 0
	.end_amdhsa_kernel
	.section	.text._ZL28rocblas_dot_batched_4_kernelIlLi64ELi4ELb0EddPKdEviT5_lT_lS2_lS3_liPT4_,"axG",@progbits,_ZL28rocblas_dot_batched_4_kernelIlLi64ELi4ELb0EddPKdEviT5_lT_lS2_lS3_liPT4_,comdat
.Lfunc_end68:
	.size	_ZL28rocblas_dot_batched_4_kernelIlLi64ELi4ELb0EddPKdEviT5_lT_lS2_lS3_liPT4_, .Lfunc_end68-_ZL28rocblas_dot_batched_4_kernelIlLi64ELi4ELb0EddPKdEviT5_lT_lS2_lS3_liPT4_
                                        ; -- End function
	.section	.AMDGPU.csdata,"",@progbits
; Kernel info:
; codeLenInByte = 788
; NumSgprs: 28
; NumVgprs: 16
; NumAgprs: 0
; TotalNumVgprs: 16
; ScratchSize: 0
; MemoryBound: 0
; FloatMode: 240
; IeeeMode: 1
; LDSByteSize: 0 bytes/workgroup (compile time only)
; SGPRBlocks: 3
; VGPRBlocks: 1
; NumSGPRsForWavesPerEU: 28
; NumVGPRsForWavesPerEU: 16
; AccumOffset: 16
; Occupancy: 8
; WaveLimiterHint : 0
; COMPUTE_PGM_RSRC2:SCRATCH_EN: 0
; COMPUTE_PGM_RSRC2:USER_SGPR: 6
; COMPUTE_PGM_RSRC2:TRAP_HANDLER: 0
; COMPUTE_PGM_RSRC2:TGID_X_EN: 1
; COMPUTE_PGM_RSRC2:TGID_Y_EN: 0
; COMPUTE_PGM_RSRC2:TGID_Z_EN: 0
; COMPUTE_PGM_RSRC2:TIDIG_COMP_CNT: 1
; COMPUTE_PGM_RSRC3_GFX90A:ACCUM_OFFSET: 3
; COMPUTE_PGM_RSRC3_GFX90A:TG_SPLIT: 0
	.section	.text._ZL18rocblas_dot_kernelIlLb1ELi1024ELi32ELb0EdPKddEviT5_lT_lS2_lS3_liPT6_PT4_,"axG",@progbits,_ZL18rocblas_dot_kernelIlLb1ELi1024ELi32ELb0EdPKddEviT5_lT_lS2_lS3_liPT6_PT4_,comdat
	.globl	_ZL18rocblas_dot_kernelIlLb1ELi1024ELi32ELb0EdPKddEviT5_lT_lS2_lS3_liPT6_PT4_ ; -- Begin function _ZL18rocblas_dot_kernelIlLb1ELi1024ELi32ELb0EdPKddEviT5_lT_lS2_lS3_liPT6_PT4_
	.p2align	8
	.type	_ZL18rocblas_dot_kernelIlLb1ELi1024ELi32ELb0EdPKddEviT5_lT_lS2_lS3_liPT6_PT4_,@function
_ZL18rocblas_dot_kernelIlLb1ELi1024ELi32ELb0EdPKddEviT5_lT_lS2_lS3_liPT6_PT4_: ; @_ZL18rocblas_dot_kernelIlLb1ELi1024ELi32ELb0EdPKddEviT5_lT_lS2_lS3_liPT6_PT4_
; %bb.0:
	s_mov_b32 s2, s7
	s_load_dword s18, s[4:5], 0x0
	s_load_dwordx2 s[6:7], s[4:5], 0x58
	s_mov_b32 s3, 0
	v_pk_mov_b32 v[2:3], 0, 0
	s_waitcnt lgkmcnt(0)
	v_cmp_gt_i32_e32 vcc, s18, v0
	s_and_saveexec_b64 s[16:17], vcc
	s_cbranch_execz .LBB69_4
; %bb.1:
	s_load_dword s19, s[4:5], 0x60
	s_load_dwordx2 s[0:1], s[4:5], 0x40
	s_load_dwordx8 s[8:15], s[4:5], 0x20
	s_load_dwordx2 s[24:25], s[4:5], 0x8
	s_load_dwordx4 s[20:23], s[4:5], 0x10
	s_waitcnt lgkmcnt(0)
	s_lshl_b32 s19, s19, 10
	s_mul_i32 s1, s1, s2
	s_mul_i32 s4, s9, s2
	s_mul_hi_u32 s5, s8, s2
	s_add_i32 s5, s5, s4
	s_mul_i32 s4, s8, s2
	v_mad_u64_u32 v[2:3], s[8:9], s22, v0, 0
	v_mov_b32_e32 v4, v3
	v_mad_u64_u32 v[4:5], s[8:9], s23, v0, v[4:5]
	s_lshl_b64 s[4:5], s[4:5], 3
	s_lshl_b64 s[8:9], s[20:21], 3
	s_add_u32 s8, s24, s8
	s_addc_u32 s9, s25, s9
	v_mov_b32_e32 v3, v4
	s_add_u32 s4, s8, s4
	v_lshlrev_b64 v[2:3], 3, v[2:3]
	s_addc_u32 s5, s9, s5
	v_mov_b32_e32 v5, s5
	v_add_co_u32_e32 v4, vcc, s4, v2
	s_ashr_i32 s20, s19, 31
	s_mul_hi_u32 s8, s0, s2
	v_addc_co_u32_e32 v5, vcc, v5, v3, vcc
	s_mul_i32 s4, s22, s20
	s_mul_hi_u32 s5, s22, s19
	s_add_i32 s1, s8, s1
	v_mad_u64_u32 v[2:3], s[8:9], s14, v0, 0
	s_add_i32 s4, s5, s4
	s_mul_i32 s5, s23, s19
	v_mov_b32_e32 v6, v3
	s_add_i32 s5, s4, s5
	s_mul_i32 s4, s22, s19
	s_mul_i32 s0, s0, s2
	v_mad_u64_u32 v[6:7], s[8:9], s15, v0, v[6:7]
	s_lshl_b64 s[4:5], s[4:5], 3
	s_lshl_b64 s[0:1], s[0:1], 3
	;; [unrolled: 1-line block ×3, first 2 shown]
	s_add_u32 s8, s10, s8
	s_addc_u32 s9, s11, s9
	v_mov_b32_e32 v3, v6
	s_add_u32 s0, s8, s0
	v_lshlrev_b64 v[2:3], 3, v[2:3]
	s_addc_u32 s1, s9, s1
	v_mov_b32_e32 v7, s1
	v_add_co_u32_e32 v6, vcc, s0, v2
	s_mul_i32 s0, s14, s20
	s_mul_hi_u32 s1, s14, s19
	s_add_i32 s0, s1, s0
	s_mul_i32 s1, s15, s19
	s_add_i32 s1, s0, s1
	s_mul_i32 s0, s14, s19
	s_lshl_b64 s[10:11], s[0:1], 3
	v_or_b32_e32 v1, s19, v0
	v_addc_co_u32_e32 v7, vcc, v7, v3, vcc
	s_mov_b64 s[8:9], 0
	v_pk_mov_b32 v[2:3], 0, 0
	v_mov_b32_e32 v8, s5
	v_mov_b32_e32 v9, s11
	s_mov_b32 s5, s3
.LBB69_2:                               ; =>This Inner Loop Header: Depth=1
	global_load_dwordx2 v[10:11], v[6:7], off
	global_load_dwordx2 v[12:13], v[4:5], off
	v_add_co_u32_e64 v4, s[0:1], s4, v4
	v_addc_co_u32_e64 v5, s[0:1], v5, v8, s[0:1]
	s_add_i32 s11, s5, 1
	v_add_co_u32_e64 v6, s[0:1], s10, v6
	v_addc_co_u32_e64 v7, s[0:1], v7, v9, s[0:1]
	s_cmp_gt_u32 s5, 30
	v_cmp_le_i32_e32 vcc, s18, v1
	s_cselect_b64 s[0:1], -1, 0
	s_or_b64 s[0:1], s[0:1], vcc
	s_and_b64 s[0:1], exec, s[0:1]
	v_add_u32_e32 v1, s19, v1
	s_mov_b32 s5, s11
	s_or_b64 s[8:9], s[0:1], s[8:9]
	s_waitcnt vmcnt(0)
	v_fmac_f64_e32 v[2:3], v[10:11], v[12:13]
	s_andn2_b64 exec, exec, s[8:9]
	s_cbranch_execnz .LBB69_2
; %bb.3:
	s_or_b64 exec, exec, s[8:9]
.LBB69_4:
	s_or_b64 exec, exec, s[16:17]
	v_and_b32_e32 v6, 63, v0
	v_cmp_gt_u32_e32 vcc, 64, v0
	v_lshlrev_b32_e32 v1, 3, v6
	s_and_saveexec_b64 s[0:1], vcc
	s_cbranch_execz .LBB69_6
; %bb.5:
	v_mov_b32_e32 v4, 0
	v_mov_b32_e32 v5, v4
	ds_write_b64 v1, v[4:5]
.LBB69_6:
	s_or_b64 exec, exec, s[0:1]
	v_mbcnt_lo_u32_b32 v4, -1, 0
	v_mbcnt_hi_u32_b32 v10, -1, v4
	v_and_b32_e32 v11, 63, v10
	v_cmp_gt_u32_e64 s[0:1], 32, v11
	v_cndmask_b32_e64 v4, 0, 1, s[0:1]
	v_lshlrev_b32_e32 v4, 5, v4
	v_add_lshl_u32 v5, v4, v10, 2
	ds_bpermute_b32 v4, v5, v2
	ds_bpermute_b32 v5, v5, v3
	v_cmp_gt_u32_e64 s[0:1], 48, v11
	v_cndmask_b32_e64 v7, 0, 1, s[0:1]
	v_cmp_gt_u32_e64 s[0:1], 56, v11
	s_waitcnt lgkmcnt(0)
	v_add_f64 v[2:3], v[2:3], v[4:5]
	v_lshlrev_b32_e32 v4, 4, v7
	v_add_lshl_u32 v5, v4, v10, 2
	ds_bpermute_b32 v4, v5, v2
	ds_bpermute_b32 v5, v5, v3
	s_barrier
	s_waitcnt lgkmcnt(0)
	v_add_f64 v[2:3], v[2:3], v[4:5]
	v_cndmask_b32_e64 v4, 0, 1, s[0:1]
	v_lshlrev_b32_e32 v4, 3, v4
	v_add_lshl_u32 v7, v4, v10, 2
	ds_bpermute_b32 v4, v7, v2
	ds_bpermute_b32 v5, v7, v3
	v_cmp_gt_u32_e64 s[0:1], 60, v11
	s_waitcnt lgkmcnt(0)
	v_add_f64 v[2:3], v[2:3], v[4:5]
	v_cndmask_b32_e64 v4, 0, 1, s[0:1]
	v_lshlrev_b32_e32 v4, 2, v4
	v_add_lshl_u32 v8, v4, v10, 2
	ds_bpermute_b32 v4, v8, v2
	ds_bpermute_b32 v5, v8, v3
	v_cmp_gt_u32_e64 s[0:1], 62, v11
	s_waitcnt lgkmcnt(0)
	v_add_f64 v[2:3], v[2:3], v[4:5]
	v_cndmask_b32_e64 v4, 0, 1, s[0:1]
	v_lshlrev_b32_e32 v4, 1, v4
	v_add_lshl_u32 v9, v4, v10, 2
	ds_bpermute_b32 v4, v9, v2
	ds_bpermute_b32 v5, v9, v3
	v_cmp_ne_u32_e64 s[0:1], 63, v11
	s_waitcnt lgkmcnt(0)
	v_add_f64 v[2:3], v[2:3], v[4:5]
	v_addc_co_u32_e64 v4, s[0:1], 0, v10, s[0:1]
	v_lshlrev_b32_e32 v10, 2, v4
	ds_bpermute_b32 v4, v10, v2
	ds_bpermute_b32 v5, v10, v3
	v_cmp_eq_u32_e64 s[0:1], 0, v6
	s_and_saveexec_b64 s[4:5], s[0:1]
	s_cbranch_execz .LBB69_8
; %bb.7:
	s_waitcnt lgkmcnt(0)
	v_add_f64 v[2:3], v[2:3], v[4:5]
	v_lshrrev_b32_e32 v4, 3, v0
	v_and_b32_e32 v4, 0x78, v4
	ds_write_b64 v4, v[2:3]
.LBB69_8:
	s_or_b64 exec, exec, s[4:5]
	v_cmp_gt_u32_e64 s[0:1], 16, v0
	v_pk_mov_b32 v[2:3], 0, 0
	s_waitcnt lgkmcnt(0)
	s_barrier
	s_and_saveexec_b64 s[4:5], s[0:1]
	s_cbranch_execnz .LBB69_12
; %bb.9:
	s_or_b64 exec, exec, s[4:5]
	s_and_saveexec_b64 s[0:1], vcc
	s_cbranch_execnz .LBB69_13
.LBB69_10:
	s_or_b64 exec, exec, s[0:1]
	v_cmp_eq_u32_e32 vcc, 0, v0
	s_and_saveexec_b64 s[0:1], vcc
	s_cbranch_execnz .LBB69_14
.LBB69_11:
	s_endpgm
.LBB69_12:
	ds_read_b64 v[2:3], v1
	s_or_b64 exec, exec, s[4:5]
	s_and_saveexec_b64 s[0:1], vcc
	s_cbranch_execz .LBB69_10
.LBB69_13:
	s_waitcnt lgkmcnt(0)
	ds_bpermute_b32 v4, v7, v2
	ds_bpermute_b32 v5, v7, v3
	s_waitcnt lgkmcnt(0)
	v_add_f64 v[2:3], v[2:3], v[4:5]
	ds_bpermute_b32 v4, v8, v2
	ds_bpermute_b32 v5, v8, v3
	s_waitcnt lgkmcnt(0)
	v_add_f64 v[2:3], v[2:3], v[4:5]
	;; [unrolled: 4-line block ×4, first 2 shown]
	s_or_b64 exec, exec, s[0:1]
	v_cmp_eq_u32_e32 vcc, 0, v0
	s_and_saveexec_b64 s[0:1], vcc
	s_cbranch_execz .LBB69_11
.LBB69_14:
	s_lshl_b64 s[0:1], s[2:3], 3
	s_add_u32 s0, s6, s0
	s_addc_u32 s1, s7, s1
	v_mov_b32_e32 v0, 0
	s_waitcnt lgkmcnt(0)
	global_store_dwordx2 v0, v[2:3], s[0:1]
	s_endpgm
	.section	.rodata,"a",@progbits
	.p2align	6, 0x0
	.amdhsa_kernel _ZL18rocblas_dot_kernelIlLb1ELi1024ELi32ELb0EdPKddEviT5_lT_lS2_lS3_liPT6_PT4_
		.amdhsa_group_segment_fixed_size 512
		.amdhsa_private_segment_fixed_size 0
		.amdhsa_kernarg_size 352
		.amdhsa_user_sgpr_count 6
		.amdhsa_user_sgpr_private_segment_buffer 1
		.amdhsa_user_sgpr_dispatch_ptr 0
		.amdhsa_user_sgpr_queue_ptr 0
		.amdhsa_user_sgpr_kernarg_segment_ptr 1
		.amdhsa_user_sgpr_dispatch_id 0
		.amdhsa_user_sgpr_flat_scratch_init 0
		.amdhsa_user_sgpr_kernarg_preload_length 0
		.amdhsa_user_sgpr_kernarg_preload_offset 0
		.amdhsa_user_sgpr_private_segment_size 0
		.amdhsa_uses_dynamic_stack 0
		.amdhsa_system_sgpr_private_segment_wavefront_offset 0
		.amdhsa_system_sgpr_workgroup_id_x 1
		.amdhsa_system_sgpr_workgroup_id_y 0
		.amdhsa_system_sgpr_workgroup_id_z 1
		.amdhsa_system_sgpr_workgroup_info 0
		.amdhsa_system_vgpr_workitem_id 0
		.amdhsa_next_free_vgpr 14
		.amdhsa_next_free_sgpr 26
		.amdhsa_accum_offset 16
		.amdhsa_reserve_vcc 1
		.amdhsa_reserve_flat_scratch 0
		.amdhsa_float_round_mode_32 0
		.amdhsa_float_round_mode_16_64 0
		.amdhsa_float_denorm_mode_32 3
		.amdhsa_float_denorm_mode_16_64 3
		.amdhsa_dx10_clamp 1
		.amdhsa_ieee_mode 1
		.amdhsa_fp16_overflow 0
		.amdhsa_tg_split 0
		.amdhsa_exception_fp_ieee_invalid_op 0
		.amdhsa_exception_fp_denorm_src 0
		.amdhsa_exception_fp_ieee_div_zero 0
		.amdhsa_exception_fp_ieee_overflow 0
		.amdhsa_exception_fp_ieee_underflow 0
		.amdhsa_exception_fp_ieee_inexact 0
		.amdhsa_exception_int_div_zero 0
	.end_amdhsa_kernel
	.section	.text._ZL18rocblas_dot_kernelIlLb1ELi1024ELi32ELb0EdPKddEviT5_lT_lS2_lS3_liPT6_PT4_,"axG",@progbits,_ZL18rocblas_dot_kernelIlLb1ELi1024ELi32ELb0EdPKddEviT5_lT_lS2_lS3_liPT6_PT4_,comdat
.Lfunc_end69:
	.size	_ZL18rocblas_dot_kernelIlLb1ELi1024ELi32ELb0EdPKddEviT5_lT_lS2_lS3_liPT6_PT4_, .Lfunc_end69-_ZL18rocblas_dot_kernelIlLb1ELi1024ELi32ELb0EdPKddEviT5_lT_lS2_lS3_liPT6_PT4_
                                        ; -- End function
	.section	.AMDGPU.csdata,"",@progbits
; Kernel info:
; codeLenInByte = 1140
; NumSgprs: 30
; NumVgprs: 14
; NumAgprs: 0
; TotalNumVgprs: 14
; ScratchSize: 0
; MemoryBound: 0
; FloatMode: 240
; IeeeMode: 1
; LDSByteSize: 512 bytes/workgroup (compile time only)
; SGPRBlocks: 3
; VGPRBlocks: 1
; NumSGPRsForWavesPerEU: 30
; NumVGPRsForWavesPerEU: 14
; AccumOffset: 16
; Occupancy: 8
; WaveLimiterHint : 0
; COMPUTE_PGM_RSRC2:SCRATCH_EN: 0
; COMPUTE_PGM_RSRC2:USER_SGPR: 6
; COMPUTE_PGM_RSRC2:TRAP_HANDLER: 0
; COMPUTE_PGM_RSRC2:TGID_X_EN: 1
; COMPUTE_PGM_RSRC2:TGID_Y_EN: 0
; COMPUTE_PGM_RSRC2:TGID_Z_EN: 1
; COMPUTE_PGM_RSRC2:TIDIG_COMP_CNT: 0
; COMPUTE_PGM_RSRC3_GFX90A:ACCUM_OFFSET: 3
; COMPUTE_PGM_RSRC3_GFX90A:TG_SPLIT: 0
	.section	.text._ZL24rocblas_dot_kernel_magsqIlLb1ELi1024ELi32ELb0EdPKddEviT5_lT_liPT6_PT4_,"axG",@progbits,_ZL24rocblas_dot_kernel_magsqIlLb1ELi1024ELi32ELb0EdPKddEviT5_lT_liPT6_PT4_,comdat
	.globl	_ZL24rocblas_dot_kernel_magsqIlLb1ELi1024ELi32ELb0EdPKddEviT5_lT_liPT6_PT4_ ; -- Begin function _ZL24rocblas_dot_kernel_magsqIlLb1ELi1024ELi32ELb0EdPKddEviT5_lT_liPT6_PT4_
	.p2align	8
	.type	_ZL24rocblas_dot_kernel_magsqIlLb1ELi1024ELi32ELb0EdPKddEviT5_lT_liPT6_PT4_,@function
_ZL24rocblas_dot_kernel_magsqIlLb1ELi1024ELi32ELb0EdPKddEviT5_lT_liPT6_PT4_: ; @_ZL24rocblas_dot_kernel_magsqIlLb1ELi1024ELi32ELb0EdPKddEviT5_lT_liPT6_PT4_
; %bb.0:
	s_mov_b32 s2, s7
	s_load_dword s12, s[4:5], 0x0
	s_load_dwordx2 s[6:7], s[4:5], 0x38
	s_mov_b32 s3, 0
	v_pk_mov_b32 v[2:3], 0, 0
	s_waitcnt lgkmcnt(0)
	v_cmp_gt_i32_e32 vcc, s12, v0
	s_and_saveexec_b64 s[8:9], vcc
	s_cbranch_execz .LBB70_4
; %bb.1:
	s_load_dword s13, s[4:5], 0x40
	s_load_dwordx2 s[0:1], s[4:5], 0x20
	s_load_dwordx2 s[10:11], s[4:5], 0x8
	s_load_dwordx4 s[16:19], s[4:5], 0x10
	s_waitcnt lgkmcnt(0)
	s_lshl_b32 s13, s13, 10
	s_mul_i32 s1, s1, s2
	s_mul_hi_u32 s4, s0, s2
	s_add_i32 s1, s4, s1
	v_mad_u64_u32 v[2:3], s[4:5], s18, v0, 0
	v_mov_b32_e32 v4, v3
	s_mul_i32 s0, s0, s2
	v_mad_u64_u32 v[4:5], s[4:5], s19, v0, v[4:5]
	s_lshl_b64 s[0:1], s[0:1], 3
	s_lshl_b64 s[4:5], s[16:17], 3
	s_add_u32 s4, s10, s4
	v_mov_b32_e32 v3, v4
	s_addc_u32 s5, s11, s5
	v_lshlrev_b64 v[2:3], 3, v[2:3]
	s_add_u32 s0, s4, s0
	s_addc_u32 s1, s5, s1
	v_add_co_u32_e32 v4, vcc, s0, v2
	s_ashr_i32 s0, s13, 31
	v_mov_b32_e32 v5, s1
	s_mul_i32 s0, s18, s0
	s_mul_hi_u32 s1, s18, s13
	s_add_i32 s0, s1, s0
	s_mul_i32 s1, s19, s13
	s_add_i32 s1, s0, s1
	s_mul_i32 s0, s18, s13
	s_lshl_b64 s[10:11], s[0:1], 3
	v_or_b32_e32 v1, s13, v0
	v_addc_co_u32_e32 v5, vcc, v5, v3, vcc
	s_mov_b64 s[4:5], 0
	v_pk_mov_b32 v[2:3], 0, 0
	v_mov_b32_e32 v6, s11
	s_mov_b32 s11, s3
.LBB70_2:                               ; =>This Inner Loop Header: Depth=1
	global_load_dwordx2 v[8:9], v[4:5], off
	s_add_i32 s14, s11, 1
	v_add_co_u32_e64 v4, s[0:1], s10, v4
	v_addc_co_u32_e64 v5, s[0:1], v5, v6, s[0:1]
	s_cmp_gt_u32 s11, 30
	v_cmp_le_i32_e32 vcc, s12, v1
	s_cselect_b64 s[0:1], -1, 0
	s_or_b64 s[0:1], s[0:1], vcc
	s_and_b64 s[0:1], exec, s[0:1]
	v_add_u32_e32 v1, s13, v1
	s_mov_b32 s11, s14
	s_or_b64 s[4:5], s[0:1], s[4:5]
	s_waitcnt vmcnt(0)
	v_fmac_f64_e32 v[2:3], v[8:9], v[8:9]
	s_andn2_b64 exec, exec, s[4:5]
	s_cbranch_execnz .LBB70_2
; %bb.3:
	s_or_b64 exec, exec, s[4:5]
.LBB70_4:
	s_or_b64 exec, exec, s[8:9]
	v_and_b32_e32 v6, 63, v0
	v_cmp_gt_u32_e32 vcc, 64, v0
	v_lshlrev_b32_e32 v1, 3, v6
	s_and_saveexec_b64 s[0:1], vcc
	s_cbranch_execz .LBB70_6
; %bb.5:
	v_mov_b32_e32 v4, 0
	v_mov_b32_e32 v5, v4
	ds_write_b64 v1, v[4:5]
.LBB70_6:
	s_or_b64 exec, exec, s[0:1]
	v_mbcnt_lo_u32_b32 v4, -1, 0
	v_mbcnt_hi_u32_b32 v10, -1, v4
	v_and_b32_e32 v11, 63, v10
	v_cmp_gt_u32_e64 s[0:1], 32, v11
	v_cndmask_b32_e64 v4, 0, 1, s[0:1]
	v_lshlrev_b32_e32 v4, 5, v4
	v_add_lshl_u32 v5, v4, v10, 2
	ds_bpermute_b32 v4, v5, v2
	ds_bpermute_b32 v5, v5, v3
	v_cmp_gt_u32_e64 s[0:1], 48, v11
	v_cndmask_b32_e64 v7, 0, 1, s[0:1]
	v_cmp_gt_u32_e64 s[0:1], 56, v11
	s_waitcnt lgkmcnt(0)
	v_add_f64 v[2:3], v[2:3], v[4:5]
	v_lshlrev_b32_e32 v4, 4, v7
	v_add_lshl_u32 v5, v4, v10, 2
	ds_bpermute_b32 v4, v5, v2
	ds_bpermute_b32 v5, v5, v3
	s_barrier
	s_waitcnt lgkmcnt(0)
	v_add_f64 v[2:3], v[2:3], v[4:5]
	v_cndmask_b32_e64 v4, 0, 1, s[0:1]
	v_lshlrev_b32_e32 v4, 3, v4
	v_add_lshl_u32 v7, v4, v10, 2
	ds_bpermute_b32 v4, v7, v2
	ds_bpermute_b32 v5, v7, v3
	v_cmp_gt_u32_e64 s[0:1], 60, v11
	s_waitcnt lgkmcnt(0)
	v_add_f64 v[2:3], v[2:3], v[4:5]
	v_cndmask_b32_e64 v4, 0, 1, s[0:1]
	v_lshlrev_b32_e32 v4, 2, v4
	v_add_lshl_u32 v8, v4, v10, 2
	ds_bpermute_b32 v4, v8, v2
	ds_bpermute_b32 v5, v8, v3
	v_cmp_gt_u32_e64 s[0:1], 62, v11
	s_waitcnt lgkmcnt(0)
	v_add_f64 v[2:3], v[2:3], v[4:5]
	v_cndmask_b32_e64 v4, 0, 1, s[0:1]
	v_lshlrev_b32_e32 v4, 1, v4
	v_add_lshl_u32 v9, v4, v10, 2
	ds_bpermute_b32 v4, v9, v2
	ds_bpermute_b32 v5, v9, v3
	v_cmp_ne_u32_e64 s[0:1], 63, v11
	s_waitcnt lgkmcnt(0)
	v_add_f64 v[2:3], v[2:3], v[4:5]
	v_addc_co_u32_e64 v4, s[0:1], 0, v10, s[0:1]
	v_lshlrev_b32_e32 v10, 2, v4
	ds_bpermute_b32 v4, v10, v2
	ds_bpermute_b32 v5, v10, v3
	v_cmp_eq_u32_e64 s[0:1], 0, v6
	s_and_saveexec_b64 s[4:5], s[0:1]
	s_cbranch_execz .LBB70_8
; %bb.7:
	s_waitcnt lgkmcnt(0)
	v_add_f64 v[2:3], v[2:3], v[4:5]
	v_lshrrev_b32_e32 v4, 3, v0
	v_and_b32_e32 v4, 0x78, v4
	ds_write_b64 v4, v[2:3]
.LBB70_8:
	s_or_b64 exec, exec, s[4:5]
	v_cmp_gt_u32_e64 s[0:1], 16, v0
	v_pk_mov_b32 v[2:3], 0, 0
	s_waitcnt lgkmcnt(0)
	s_barrier
	s_and_saveexec_b64 s[4:5], s[0:1]
	s_cbranch_execnz .LBB70_12
; %bb.9:
	s_or_b64 exec, exec, s[4:5]
	s_and_saveexec_b64 s[0:1], vcc
	s_cbranch_execnz .LBB70_13
.LBB70_10:
	s_or_b64 exec, exec, s[0:1]
	v_cmp_eq_u32_e32 vcc, 0, v0
	s_and_saveexec_b64 s[0:1], vcc
	s_cbranch_execnz .LBB70_14
.LBB70_11:
	s_endpgm
.LBB70_12:
	ds_read_b64 v[2:3], v1
	s_or_b64 exec, exec, s[4:5]
	s_and_saveexec_b64 s[0:1], vcc
	s_cbranch_execz .LBB70_10
.LBB70_13:
	s_waitcnt lgkmcnt(0)
	ds_bpermute_b32 v4, v7, v2
	ds_bpermute_b32 v5, v7, v3
	s_waitcnt lgkmcnt(0)
	v_add_f64 v[2:3], v[2:3], v[4:5]
	ds_bpermute_b32 v4, v8, v2
	ds_bpermute_b32 v5, v8, v3
	s_waitcnt lgkmcnt(0)
	v_add_f64 v[2:3], v[2:3], v[4:5]
	;; [unrolled: 4-line block ×4, first 2 shown]
	s_or_b64 exec, exec, s[0:1]
	v_cmp_eq_u32_e32 vcc, 0, v0
	s_and_saveexec_b64 s[0:1], vcc
	s_cbranch_execz .LBB70_11
.LBB70_14:
	s_lshl_b64 s[0:1], s[2:3], 3
	s_add_u32 s0, s6, s0
	s_addc_u32 s1, s7, s1
	v_mov_b32_e32 v0, 0
	s_waitcnt lgkmcnt(0)
	global_store_dwordx2 v0, v[2:3], s[0:1]
	s_endpgm
	.section	.rodata,"a",@progbits
	.p2align	6, 0x0
	.amdhsa_kernel _ZL24rocblas_dot_kernel_magsqIlLb1ELi1024ELi32ELb0EdPKddEviT5_lT_liPT6_PT4_
		.amdhsa_group_segment_fixed_size 512
		.amdhsa_private_segment_fixed_size 0
		.amdhsa_kernarg_size 320
		.amdhsa_user_sgpr_count 6
		.amdhsa_user_sgpr_private_segment_buffer 1
		.amdhsa_user_sgpr_dispatch_ptr 0
		.amdhsa_user_sgpr_queue_ptr 0
		.amdhsa_user_sgpr_kernarg_segment_ptr 1
		.amdhsa_user_sgpr_dispatch_id 0
		.amdhsa_user_sgpr_flat_scratch_init 0
		.amdhsa_user_sgpr_kernarg_preload_length 0
		.amdhsa_user_sgpr_kernarg_preload_offset 0
		.amdhsa_user_sgpr_private_segment_size 0
		.amdhsa_uses_dynamic_stack 0
		.amdhsa_system_sgpr_private_segment_wavefront_offset 0
		.amdhsa_system_sgpr_workgroup_id_x 1
		.amdhsa_system_sgpr_workgroup_id_y 0
		.amdhsa_system_sgpr_workgroup_id_z 1
		.amdhsa_system_sgpr_workgroup_info 0
		.amdhsa_system_vgpr_workitem_id 0
		.amdhsa_next_free_vgpr 12
		.amdhsa_next_free_sgpr 20
		.amdhsa_accum_offset 12
		.amdhsa_reserve_vcc 1
		.amdhsa_reserve_flat_scratch 0
		.amdhsa_float_round_mode_32 0
		.amdhsa_float_round_mode_16_64 0
		.amdhsa_float_denorm_mode_32 3
		.amdhsa_float_denorm_mode_16_64 3
		.amdhsa_dx10_clamp 1
		.amdhsa_ieee_mode 1
		.amdhsa_fp16_overflow 0
		.amdhsa_tg_split 0
		.amdhsa_exception_fp_ieee_invalid_op 0
		.amdhsa_exception_fp_denorm_src 0
		.amdhsa_exception_fp_ieee_div_zero 0
		.amdhsa_exception_fp_ieee_overflow 0
		.amdhsa_exception_fp_ieee_underflow 0
		.amdhsa_exception_fp_ieee_inexact 0
		.amdhsa_exception_int_div_zero 0
	.end_amdhsa_kernel
	.section	.text._ZL24rocblas_dot_kernel_magsqIlLb1ELi1024ELi32ELb0EdPKddEviT5_lT_liPT6_PT4_,"axG",@progbits,_ZL24rocblas_dot_kernel_magsqIlLb1ELi1024ELi32ELb0EdPKddEviT5_lT_liPT6_PT4_,comdat
.Lfunc_end70:
	.size	_ZL24rocblas_dot_kernel_magsqIlLb1ELi1024ELi32ELb0EdPKddEviT5_lT_liPT6_PT4_, .Lfunc_end70-_ZL24rocblas_dot_kernel_magsqIlLb1ELi1024ELi32ELb0EdPKddEviT5_lT_liPT6_PT4_
                                        ; -- End function
	.section	.AMDGPU.csdata,"",@progbits
; Kernel info:
; codeLenInByte = 992
; NumSgprs: 24
; NumVgprs: 12
; NumAgprs: 0
; TotalNumVgprs: 12
; ScratchSize: 0
; MemoryBound: 0
; FloatMode: 240
; IeeeMode: 1
; LDSByteSize: 512 bytes/workgroup (compile time only)
; SGPRBlocks: 2
; VGPRBlocks: 1
; NumSGPRsForWavesPerEU: 24
; NumVGPRsForWavesPerEU: 12
; AccumOffset: 12
; Occupancy: 8
; WaveLimiterHint : 0
; COMPUTE_PGM_RSRC2:SCRATCH_EN: 0
; COMPUTE_PGM_RSRC2:USER_SGPR: 6
; COMPUTE_PGM_RSRC2:TRAP_HANDLER: 0
; COMPUTE_PGM_RSRC2:TGID_X_EN: 1
; COMPUTE_PGM_RSRC2:TGID_Y_EN: 0
; COMPUTE_PGM_RSRC2:TGID_Z_EN: 1
; COMPUTE_PGM_RSRC2:TIDIG_COMP_CNT: 0
; COMPUTE_PGM_RSRC3_GFX90A:ACCUM_OFFSET: 2
; COMPUTE_PGM_RSRC3_GFX90A:TG_SPLIT: 0
	.section	.text._ZL38rocblas_dot_kernel_gfx942_float_doubleIlLi1024EdPKddEviT2_lT_lS2_lS3_lPT3_PT1_,"axG",@progbits,_ZL38rocblas_dot_kernel_gfx942_float_doubleIlLi1024EdPKddEviT2_lT_lS2_lS3_lPT3_PT1_,comdat
	.globl	_ZL38rocblas_dot_kernel_gfx942_float_doubleIlLi1024EdPKddEviT2_lT_lS2_lS3_lPT3_PT1_ ; -- Begin function _ZL38rocblas_dot_kernel_gfx942_float_doubleIlLi1024EdPKddEviT2_lT_lS2_lS3_lPT3_PT1_
	.p2align	8
	.type	_ZL38rocblas_dot_kernel_gfx942_float_doubleIlLi1024EdPKddEviT2_lT_lS2_lS3_lPT3_PT1_,@function
_ZL38rocblas_dot_kernel_gfx942_float_doubleIlLi1024EdPKddEviT2_lT_lS2_lS3_lPT3_PT1_: ; @_ZL38rocblas_dot_kernel_gfx942_float_doubleIlLi1024EdPKddEviT2_lT_lS2_lS3_lPT3_PT1_
; %bb.0:
	s_endpgm
	.section	.rodata,"a",@progbits
	.p2align	6, 0x0
	.amdhsa_kernel _ZL38rocblas_dot_kernel_gfx942_float_doubleIlLi1024EdPKddEviT2_lT_lS2_lS3_lPT3_PT1_
		.amdhsa_group_segment_fixed_size 0
		.amdhsa_private_segment_fixed_size 0
		.amdhsa_kernarg_size 88
		.amdhsa_user_sgpr_count 6
		.amdhsa_user_sgpr_private_segment_buffer 1
		.amdhsa_user_sgpr_dispatch_ptr 0
		.amdhsa_user_sgpr_queue_ptr 0
		.amdhsa_user_sgpr_kernarg_segment_ptr 1
		.amdhsa_user_sgpr_dispatch_id 0
		.amdhsa_user_sgpr_flat_scratch_init 0
		.amdhsa_user_sgpr_kernarg_preload_length 0
		.amdhsa_user_sgpr_kernarg_preload_offset 0
		.amdhsa_user_sgpr_private_segment_size 0
		.amdhsa_uses_dynamic_stack 0
		.amdhsa_system_sgpr_private_segment_wavefront_offset 0
		.amdhsa_system_sgpr_workgroup_id_x 1
		.amdhsa_system_sgpr_workgroup_id_y 0
		.amdhsa_system_sgpr_workgroup_id_z 0
		.amdhsa_system_sgpr_workgroup_info 0
		.amdhsa_system_vgpr_workitem_id 0
		.amdhsa_next_free_vgpr 1
		.amdhsa_next_free_sgpr 0
		.amdhsa_accum_offset 4
		.amdhsa_reserve_vcc 0
		.amdhsa_reserve_flat_scratch 0
		.amdhsa_float_round_mode_32 0
		.amdhsa_float_round_mode_16_64 0
		.amdhsa_float_denorm_mode_32 3
		.amdhsa_float_denorm_mode_16_64 3
		.amdhsa_dx10_clamp 1
		.amdhsa_ieee_mode 1
		.amdhsa_fp16_overflow 0
		.amdhsa_tg_split 0
		.amdhsa_exception_fp_ieee_invalid_op 0
		.amdhsa_exception_fp_denorm_src 0
		.amdhsa_exception_fp_ieee_div_zero 0
		.amdhsa_exception_fp_ieee_overflow 0
		.amdhsa_exception_fp_ieee_underflow 0
		.amdhsa_exception_fp_ieee_inexact 0
		.amdhsa_exception_int_div_zero 0
	.end_amdhsa_kernel
	.section	.text._ZL38rocblas_dot_kernel_gfx942_float_doubleIlLi1024EdPKddEviT2_lT_lS2_lS3_lPT3_PT1_,"axG",@progbits,_ZL38rocblas_dot_kernel_gfx942_float_doubleIlLi1024EdPKddEviT2_lT_lS2_lS3_lPT3_PT1_,comdat
.Lfunc_end71:
	.size	_ZL38rocblas_dot_kernel_gfx942_float_doubleIlLi1024EdPKddEviT2_lT_lS2_lS3_lPT3_PT1_, .Lfunc_end71-_ZL38rocblas_dot_kernel_gfx942_float_doubleIlLi1024EdPKddEviT2_lT_lS2_lS3_lPT3_PT1_
                                        ; -- End function
	.section	.AMDGPU.csdata,"",@progbits
; Kernel info:
; codeLenInByte = 4
; NumSgprs: 4
; NumVgprs: 0
; NumAgprs: 0
; TotalNumVgprs: 0
; ScratchSize: 0
; MemoryBound: 0
; FloatMode: 240
; IeeeMode: 1
; LDSByteSize: 0 bytes/workgroup (compile time only)
; SGPRBlocks: 0
; VGPRBlocks: 0
; NumSGPRsForWavesPerEU: 4
; NumVGPRsForWavesPerEU: 1
; AccumOffset: 4
; Occupancy: 8
; WaveLimiterHint : 0
; COMPUTE_PGM_RSRC2:SCRATCH_EN: 0
; COMPUTE_PGM_RSRC2:USER_SGPR: 6
; COMPUTE_PGM_RSRC2:TRAP_HANDLER: 0
; COMPUTE_PGM_RSRC2:TGID_X_EN: 1
; COMPUTE_PGM_RSRC2:TGID_Y_EN: 0
; COMPUTE_PGM_RSRC2:TGID_Z_EN: 0
; COMPUTE_PGM_RSRC2:TIDIG_COMP_CNT: 0
; COMPUTE_PGM_RSRC3_GFX90A:ACCUM_OFFSET: 0
; COMPUTE_PGM_RSRC3_GFX90A:TG_SPLIT: 0
	.section	.text._ZL18rocblas_dot_kernelIlLb0ELi512ELi2ELb0EdPKddEviT5_lT_lS2_lS3_liPT6_PT4_,"axG",@progbits,_ZL18rocblas_dot_kernelIlLb0ELi512ELi2ELb0EdPKddEviT5_lT_lS2_lS3_liPT6_PT4_,comdat
	.globl	_ZL18rocblas_dot_kernelIlLb0ELi512ELi2ELb0EdPKddEviT5_lT_lS2_lS3_liPT6_PT4_ ; -- Begin function _ZL18rocblas_dot_kernelIlLb0ELi512ELi2ELb0EdPKddEviT5_lT_lS2_lS3_liPT6_PT4_
	.p2align	8
	.type	_ZL18rocblas_dot_kernelIlLb0ELi512ELi2ELb0EdPKddEviT5_lT_lS2_lS3_liPT6_PT4_,@function
_ZL18rocblas_dot_kernelIlLb0ELi512ELi2ELb0EdPKddEviT5_lT_lS2_lS3_liPT6_PT4_: ; @_ZL18rocblas_dot_kernelIlLb0ELi512ELi2ELb0EdPKddEviT5_lT_lS2_lS3_liPT6_PT4_
; %bb.0:
	s_mov_b32 s16, s7
	s_load_dword s7, s[4:5], 0x0
	s_load_dword s20, s[4:5], 0x60
	v_lshl_or_b32 v1, s6, 9, v0
	s_mov_b32 s17, 0
	v_pk_mov_b32 v[2:3], 0, 0
	s_waitcnt lgkmcnt(0)
	v_cmp_gt_i32_e32 vcc, s7, v1
	s_and_saveexec_b64 s[18:19], vcc
	s_cbranch_execz .LBB72_4
; %bb.1:
	s_load_dwordx8 s[8:15], s[4:5], 0x20
	s_load_dwordx2 s[22:23], s[4:5], 0x8
	s_load_dwordx4 s[0:3], s[4:5], 0x10
	s_load_dwordx2 s[24:25], s[4:5], 0x40
	v_ashrrev_i32_e32 v4, 31, v1
	s_waitcnt lgkmcnt(0)
	s_mul_i32 s9, s16, s9
	s_mul_hi_u32 s21, s16, s8
	s_add_i32 s9, s21, s9
	s_mul_i32 s8, s16, s8
	s_lshl_b64 s[8:9], s[8:9], 3
	s_add_u32 s8, s22, s8
	s_addc_u32 s9, s23, s9
	s_lshl_b64 s[0:1], s[0:1], 3
	s_add_u32 s8, s8, s0
	s_addc_u32 s9, s9, s1
	s_mul_i32 s0, s16, s25
	s_mul_hi_u32 s1, s16, s24
	s_add_i32 s1, s1, s0
	s_mul_i32 s0, s16, s24
	s_lshl_b64 s[0:1], s[0:1], 3
	s_add_u32 s10, s10, s0
	s_addc_u32 s11, s11, s1
	s_lshl_b64 s[0:1], s[12:13], 3
	s_add_u32 s10, s10, s0
	s_addc_u32 s11, s11, s1
	v_mul_lo_u32 v5, v1, s15
	v_mul_lo_u32 v6, v4, s14
	v_mad_u64_u32 v[2:3], s[0:1], v1, s14, 0
	v_add3_u32 v3, v3, v5, v6
	v_lshlrev_b64 v[2:3], 3, v[2:3]
	v_mov_b32_e32 v5, s11
	v_add_co_u32_e32 v2, vcc, s10, v2
	v_addc_co_u32_e32 v3, vcc, v5, v3, vcc
	v_mul_lo_u32 v6, v1, s3
	v_mul_lo_u32 v7, v4, s2
	v_mad_u64_u32 v[4:5], s[0:1], v1, s2, 0
	v_add3_u32 v5, v5, v6, v7
	v_lshlrev_b64 v[4:5], 3, v[4:5]
	v_mov_b32_e32 v1, s9
	v_add_co_u32_e32 v4, vcc, s8, v4
	v_addc_co_u32_e32 v5, vcc, v1, v5, vcc
	global_load_dwordx2 v[6:7], v[4:5], off
	global_load_dwordx2 v[8:9], v[2:3], off
	s_add_i32 s0, s6, s20
	v_lshl_or_b32 v1, s0, 9, v0
	v_cmp_gt_i32_e32 vcc, s7, v1
	s_waitcnt vmcnt(0)
	v_fma_f64 v[2:3], v[8:9], v[6:7], 0
	s_and_saveexec_b64 s[0:1], vcc
	s_cbranch_execz .LBB72_3
; %bb.2:
	v_ashrrev_i32_e32 v6, 31, v1
	v_mul_lo_u32 v7, v1, s15
	v_mul_lo_u32 v8, v6, s14
	v_mad_u64_u32 v[4:5], s[12:13], v1, s14, 0
	v_add3_u32 v5, v5, v7, v8
	v_lshlrev_b64 v[4:5], 3, v[4:5]
	v_mov_b32_e32 v7, s11
	v_add_co_u32_e32 v4, vcc, s10, v4
	v_addc_co_u32_e32 v5, vcc, v7, v5, vcc
	v_mul_lo_u32 v8, v1, s3
	v_mul_lo_u32 v9, v6, s2
	v_mad_u64_u32 v[6:7], s[2:3], v1, s2, 0
	v_add3_u32 v7, v7, v8, v9
	v_lshlrev_b64 v[6:7], 3, v[6:7]
	v_mov_b32_e32 v1, s9
	v_add_co_u32_e32 v6, vcc, s8, v6
	v_addc_co_u32_e32 v7, vcc, v1, v7, vcc
	global_load_dwordx2 v[4:5], v[4:5], off
	s_nop 0
	global_load_dwordx2 v[6:7], v[6:7], off
	s_waitcnt vmcnt(0)
	v_fmac_f64_e32 v[2:3], v[4:5], v[6:7]
.LBB72_3:
	s_or_b64 exec, exec, s[0:1]
.LBB72_4:
	s_or_b64 exec, exec, s[18:19]
	v_and_b32_e32 v6, 63, v0
	v_cmp_gt_u32_e32 vcc, 64, v0
	v_lshlrev_b32_e32 v1, 3, v6
	s_and_saveexec_b64 s[0:1], vcc
	s_cbranch_execz .LBB72_6
; %bb.5:
	v_mov_b32_e32 v4, 0
	v_mov_b32_e32 v5, v4
	ds_write_b64 v1, v[4:5]
.LBB72_6:
	s_or_b64 exec, exec, s[0:1]
	v_mbcnt_lo_u32_b32 v4, -1, 0
	v_mbcnt_hi_u32_b32 v9, -1, v4
	v_and_b32_e32 v10, 63, v9
	v_cmp_gt_u32_e64 s[0:1], 32, v10
	v_cndmask_b32_e64 v4, 0, 1, s[0:1]
	v_lshlrev_b32_e32 v4, 5, v4
	v_add_lshl_u32 v5, v4, v9, 2
	ds_bpermute_b32 v4, v5, v2
	ds_bpermute_b32 v5, v5, v3
	v_cmp_gt_u32_e64 s[0:1], 48, v10
	v_cndmask_b32_e64 v7, 0, 1, s[0:1]
	v_cmp_gt_u32_e64 s[0:1], 56, v10
	s_waitcnt lgkmcnt(0)
	v_add_f64 v[2:3], v[2:3], v[4:5]
	v_lshlrev_b32_e32 v4, 4, v7
	v_add_lshl_u32 v5, v4, v9, 2
	ds_bpermute_b32 v4, v5, v2
	ds_bpermute_b32 v5, v5, v3
	s_barrier
	s_waitcnt lgkmcnt(0)
	v_add_f64 v[2:3], v[2:3], v[4:5]
	v_cndmask_b32_e64 v4, 0, 1, s[0:1]
	v_lshlrev_b32_e32 v4, 3, v4
	v_add_lshl_u32 v5, v4, v9, 2
	ds_bpermute_b32 v4, v5, v2
	ds_bpermute_b32 v5, v5, v3
	v_cmp_gt_u32_e64 s[0:1], 60, v10
	s_waitcnt lgkmcnt(0)
	v_add_f64 v[2:3], v[2:3], v[4:5]
	v_cndmask_b32_e64 v4, 0, 1, s[0:1]
	v_lshlrev_b32_e32 v4, 2, v4
	v_add_lshl_u32 v7, v4, v9, 2
	ds_bpermute_b32 v4, v7, v2
	ds_bpermute_b32 v5, v7, v3
	v_cmp_gt_u32_e64 s[0:1], 62, v10
	s_waitcnt lgkmcnt(0)
	v_add_f64 v[2:3], v[2:3], v[4:5]
	v_cndmask_b32_e64 v4, 0, 1, s[0:1]
	v_lshlrev_b32_e32 v4, 1, v4
	v_add_lshl_u32 v8, v4, v9, 2
	ds_bpermute_b32 v4, v8, v2
	ds_bpermute_b32 v5, v8, v3
	v_cmp_ne_u32_e64 s[0:1], 63, v10
	s_waitcnt lgkmcnt(0)
	v_add_f64 v[2:3], v[2:3], v[4:5]
	v_addc_co_u32_e64 v4, s[0:1], 0, v9, s[0:1]
	v_lshlrev_b32_e32 v9, 2, v4
	ds_bpermute_b32 v4, v9, v2
	ds_bpermute_b32 v5, v9, v3
	v_cmp_eq_u32_e64 s[0:1], 0, v6
	s_and_saveexec_b64 s[2:3], s[0:1]
	s_cbranch_execz .LBB72_8
; %bb.7:
	s_waitcnt lgkmcnt(0)
	v_add_f64 v[2:3], v[2:3], v[4:5]
	v_lshrrev_b32_e32 v4, 3, v0
	v_and_b32_e32 v4, 56, v4
	ds_write_b64 v4, v[2:3]
.LBB72_8:
	s_or_b64 exec, exec, s[2:3]
	v_cmp_gt_u32_e64 s[0:1], 8, v0
	v_pk_mov_b32 v[2:3], 0, 0
	s_waitcnt lgkmcnt(0)
	s_barrier
	s_and_saveexec_b64 s[2:3], s[0:1]
	s_cbranch_execnz .LBB72_12
; %bb.9:
	s_or_b64 exec, exec, s[2:3]
	s_and_saveexec_b64 s[0:1], vcc
	s_cbranch_execnz .LBB72_13
.LBB72_10:
	s_or_b64 exec, exec, s[0:1]
	v_cmp_eq_u32_e32 vcc, 0, v0
	s_and_saveexec_b64 s[0:1], vcc
	s_cbranch_execnz .LBB72_14
.LBB72_11:
	s_endpgm
.LBB72_12:
	ds_read_b64 v[2:3], v1
	s_or_b64 exec, exec, s[2:3]
	s_and_saveexec_b64 s[0:1], vcc
	s_cbranch_execz .LBB72_10
.LBB72_13:
	s_waitcnt lgkmcnt(0)
	ds_bpermute_b32 v4, v7, v2
	ds_bpermute_b32 v5, v7, v3
	s_waitcnt lgkmcnt(0)
	v_add_f64 v[2:3], v[2:3], v[4:5]
	ds_bpermute_b32 v4, v8, v2
	ds_bpermute_b32 v5, v8, v3
	s_waitcnt lgkmcnt(0)
	v_add_f64 v[2:3], v[2:3], v[4:5]
	;; [unrolled: 4-line block ×3, first 2 shown]
	s_or_b64 exec, exec, s[0:1]
	v_cmp_eq_u32_e32 vcc, 0, v0
	s_and_saveexec_b64 s[0:1], vcc
	s_cbranch_execz .LBB72_11
.LBB72_14:
	s_cmp_lg_u32 s20, 1
	s_cbranch_scc0 .LBB72_16
; %bb.15:
	s_load_dwordx2 s[0:1], s[4:5], 0x50
	s_mul_hi_u32 s3, s20, s16
	s_mul_i32 s2, s20, s16
	s_lshl_b64 s[2:3], s[2:3], 3
	s_mov_b32 s7, 0
	s_waitcnt lgkmcnt(0)
	s_add_u32 s2, s0, s2
	s_addc_u32 s3, s1, s3
	s_lshl_b64 s[0:1], s[6:7], 3
	s_add_u32 s0, s2, s0
	s_addc_u32 s1, s3, s1
	s_cbranch_execz .LBB72_17
	s_branch .LBB72_18
.LBB72_16:
                                        ; implicit-def: $sgpr0_sgpr1
.LBB72_17:
	s_load_dwordx2 s[0:1], s[4:5], 0x58
	s_lshl_b64 s[2:3], s[16:17], 3
	s_waitcnt lgkmcnt(0)
	s_add_u32 s0, s0, s2
	s_addc_u32 s1, s1, s3
.LBB72_18:
	v_mov_b32_e32 v0, 0
	s_waitcnt lgkmcnt(0)
	global_store_dwordx2 v0, v[2:3], s[0:1]
	s_endpgm
	.section	.rodata,"a",@progbits
	.p2align	6, 0x0
	.amdhsa_kernel _ZL18rocblas_dot_kernelIlLb0ELi512ELi2ELb0EdPKddEviT5_lT_lS2_lS3_liPT6_PT4_
		.amdhsa_group_segment_fixed_size 512
		.amdhsa_private_segment_fixed_size 0
		.amdhsa_kernarg_size 352
		.amdhsa_user_sgpr_count 6
		.amdhsa_user_sgpr_private_segment_buffer 1
		.amdhsa_user_sgpr_dispatch_ptr 0
		.amdhsa_user_sgpr_queue_ptr 0
		.amdhsa_user_sgpr_kernarg_segment_ptr 1
		.amdhsa_user_sgpr_dispatch_id 0
		.amdhsa_user_sgpr_flat_scratch_init 0
		.amdhsa_user_sgpr_kernarg_preload_length 0
		.amdhsa_user_sgpr_kernarg_preload_offset 0
		.amdhsa_user_sgpr_private_segment_size 0
		.amdhsa_uses_dynamic_stack 0
		.amdhsa_system_sgpr_private_segment_wavefront_offset 0
		.amdhsa_system_sgpr_workgroup_id_x 1
		.amdhsa_system_sgpr_workgroup_id_y 0
		.amdhsa_system_sgpr_workgroup_id_z 1
		.amdhsa_system_sgpr_workgroup_info 0
		.amdhsa_system_vgpr_workitem_id 0
		.amdhsa_next_free_vgpr 11
		.amdhsa_next_free_sgpr 26
		.amdhsa_accum_offset 12
		.amdhsa_reserve_vcc 1
		.amdhsa_reserve_flat_scratch 0
		.amdhsa_float_round_mode_32 0
		.amdhsa_float_round_mode_16_64 0
		.amdhsa_float_denorm_mode_32 3
		.amdhsa_float_denorm_mode_16_64 3
		.amdhsa_dx10_clamp 1
		.amdhsa_ieee_mode 1
		.amdhsa_fp16_overflow 0
		.amdhsa_tg_split 0
		.amdhsa_exception_fp_ieee_invalid_op 0
		.amdhsa_exception_fp_denorm_src 0
		.amdhsa_exception_fp_ieee_div_zero 0
		.amdhsa_exception_fp_ieee_overflow 0
		.amdhsa_exception_fp_ieee_underflow 0
		.amdhsa_exception_fp_ieee_inexact 0
		.amdhsa_exception_int_div_zero 0
	.end_amdhsa_kernel
	.section	.text._ZL18rocblas_dot_kernelIlLb0ELi512ELi2ELb0EdPKddEviT5_lT_lS2_lS3_liPT6_PT4_,"axG",@progbits,_ZL18rocblas_dot_kernelIlLb0ELi512ELi2ELb0EdPKddEviT5_lT_lS2_lS3_liPT6_PT4_,comdat
.Lfunc_end72:
	.size	_ZL18rocblas_dot_kernelIlLb0ELi512ELi2ELb0EdPKddEviT5_lT_lS2_lS3_liPT6_PT4_, .Lfunc_end72-_ZL18rocblas_dot_kernelIlLb0ELi512ELi2ELb0EdPKddEviT5_lT_lS2_lS3_liPT6_PT4_
                                        ; -- End function
	.section	.AMDGPU.csdata,"",@progbits
; Kernel info:
; codeLenInByte = 1200
; NumSgprs: 30
; NumVgprs: 11
; NumAgprs: 0
; TotalNumVgprs: 11
; ScratchSize: 0
; MemoryBound: 0
; FloatMode: 240
; IeeeMode: 1
; LDSByteSize: 512 bytes/workgroup (compile time only)
; SGPRBlocks: 3
; VGPRBlocks: 1
; NumSGPRsForWavesPerEU: 30
; NumVGPRsForWavesPerEU: 11
; AccumOffset: 12
; Occupancy: 8
; WaveLimiterHint : 0
; COMPUTE_PGM_RSRC2:SCRATCH_EN: 0
; COMPUTE_PGM_RSRC2:USER_SGPR: 6
; COMPUTE_PGM_RSRC2:TRAP_HANDLER: 0
; COMPUTE_PGM_RSRC2:TGID_X_EN: 1
; COMPUTE_PGM_RSRC2:TGID_Y_EN: 0
; COMPUTE_PGM_RSRC2:TGID_Z_EN: 1
; COMPUTE_PGM_RSRC2:TIDIG_COMP_CNT: 0
; COMPUTE_PGM_RSRC3_GFX90A:ACCUM_OFFSET: 2
; COMPUTE_PGM_RSRC3_GFX90A:TG_SPLIT: 0
	.section	.text._ZL24rocblas_dot_kernel_magsqIlLb0ELi512ELi2ELb0EdPKddEviT5_lT_liPT6_PT4_,"axG",@progbits,_ZL24rocblas_dot_kernel_magsqIlLb0ELi512ELi2ELb0EdPKddEviT5_lT_liPT6_PT4_,comdat
	.globl	_ZL24rocblas_dot_kernel_magsqIlLb0ELi512ELi2ELb0EdPKddEviT5_lT_liPT6_PT4_ ; -- Begin function _ZL24rocblas_dot_kernel_magsqIlLb0ELi512ELi2ELb0EdPKddEviT5_lT_liPT6_PT4_
	.p2align	8
	.type	_ZL24rocblas_dot_kernel_magsqIlLb0ELi512ELi2ELb0EdPKddEviT5_lT_liPT6_PT4_,@function
_ZL24rocblas_dot_kernel_magsqIlLb0ELi512ELi2ELb0EdPKddEviT5_lT_liPT6_PT4_: ; @_ZL24rocblas_dot_kernel_magsqIlLb0ELi512ELi2ELb0EdPKddEviT5_lT_liPT6_PT4_
; %bb.0:
	s_mov_b32 s8, s7
	s_load_dword s7, s[4:5], 0x0
	s_load_dword s12, s[4:5], 0x40
	v_lshl_or_b32 v1, s6, 9, v0
	s_mov_b32 s9, 0
	v_pk_mov_b32 v[2:3], 0, 0
	s_waitcnt lgkmcnt(0)
	v_cmp_gt_i32_e32 vcc, s7, v1
	s_and_saveexec_b64 s[10:11], vcc
	s_cbranch_execz .LBB73_4
; %bb.1:
	s_load_dwordx2 s[14:15], s[4:5], 0x20
	s_load_dwordx2 s[16:17], s[4:5], 0x8
	s_load_dwordx4 s[0:3], s[4:5], 0x10
	v_ashrrev_i32_e32 v2, 31, v1
	s_waitcnt lgkmcnt(0)
	s_mul_i32 s13, s8, s15
	s_mul_hi_u32 s15, s8, s14
	s_mul_i32 s14, s8, s14
	s_add_i32 s15, s15, s13
	s_lshl_b64 s[14:15], s[14:15], 3
	s_add_u32 s13, s16, s14
	s_addc_u32 s14, s17, s15
	s_lshl_b64 s[0:1], s[0:1], 3
	s_add_u32 s13, s13, s0
	s_addc_u32 s14, s14, s1
	v_mul_lo_u32 v4, v1, s3
	v_mul_lo_u32 v5, v2, s2
	v_mad_u64_u32 v[2:3], s[0:1], v1, s2, 0
	v_add3_u32 v3, v3, v4, v5
	v_lshlrev_b64 v[2:3], 3, v[2:3]
	v_mov_b32_e32 v1, s14
	v_add_co_u32_e32 v2, vcc, s13, v2
	v_addc_co_u32_e32 v3, vcc, v1, v3, vcc
	global_load_dwordx2 v[2:3], v[2:3], off
	s_add_i32 s0, s6, s12
	v_lshl_or_b32 v1, s0, 9, v0
	v_cmp_gt_i32_e32 vcc, s7, v1
	s_waitcnt vmcnt(0)
	v_mul_f64 v[2:3], v[2:3], v[2:3]
	s_and_saveexec_b64 s[0:1], vcc
	s_cbranch_execz .LBB73_3
; %bb.2:
	v_ashrrev_i32_e32 v4, 31, v1
	v_mul_lo_u32 v6, v1, s3
	v_mul_lo_u32 v7, v4, s2
	v_mad_u64_u32 v[4:5], s[2:3], v1, s2, 0
	v_add3_u32 v5, v5, v6, v7
	v_lshlrev_b64 v[4:5], 3, v[4:5]
	v_mov_b32_e32 v1, s14
	v_add_co_u32_e32 v4, vcc, s13, v4
	v_addc_co_u32_e32 v5, vcc, v1, v5, vcc
	global_load_dwordx2 v[4:5], v[4:5], off
	s_waitcnt vmcnt(0)
	v_fmac_f64_e32 v[2:3], v[4:5], v[4:5]
.LBB73_3:
	s_or_b64 exec, exec, s[0:1]
.LBB73_4:
	s_or_b64 exec, exec, s[10:11]
	v_and_b32_e32 v6, 63, v0
	v_cmp_gt_u32_e32 vcc, 64, v0
	v_lshlrev_b32_e32 v1, 3, v6
	s_and_saveexec_b64 s[0:1], vcc
	s_cbranch_execz .LBB73_6
; %bb.5:
	v_mov_b32_e32 v4, 0
	v_mov_b32_e32 v5, v4
	ds_write_b64 v1, v[4:5]
.LBB73_6:
	s_or_b64 exec, exec, s[0:1]
	v_mbcnt_lo_u32_b32 v4, -1, 0
	v_mbcnt_hi_u32_b32 v9, -1, v4
	v_and_b32_e32 v10, 63, v9
	v_cmp_gt_u32_e64 s[0:1], 32, v10
	v_cndmask_b32_e64 v4, 0, 1, s[0:1]
	v_lshlrev_b32_e32 v4, 5, v4
	v_add_lshl_u32 v5, v4, v9, 2
	ds_bpermute_b32 v4, v5, v2
	ds_bpermute_b32 v5, v5, v3
	v_cmp_gt_u32_e64 s[0:1], 48, v10
	v_cndmask_b32_e64 v7, 0, 1, s[0:1]
	v_cmp_gt_u32_e64 s[0:1], 56, v10
	s_waitcnt lgkmcnt(0)
	v_add_f64 v[2:3], v[2:3], v[4:5]
	v_lshlrev_b32_e32 v4, 4, v7
	v_add_lshl_u32 v5, v4, v9, 2
	ds_bpermute_b32 v4, v5, v2
	ds_bpermute_b32 v5, v5, v3
	s_barrier
	s_waitcnt lgkmcnt(0)
	v_add_f64 v[2:3], v[2:3], v[4:5]
	v_cndmask_b32_e64 v4, 0, 1, s[0:1]
	v_lshlrev_b32_e32 v4, 3, v4
	v_add_lshl_u32 v5, v4, v9, 2
	ds_bpermute_b32 v4, v5, v2
	ds_bpermute_b32 v5, v5, v3
	v_cmp_gt_u32_e64 s[0:1], 60, v10
	s_waitcnt lgkmcnt(0)
	v_add_f64 v[2:3], v[2:3], v[4:5]
	v_cndmask_b32_e64 v4, 0, 1, s[0:1]
	v_lshlrev_b32_e32 v4, 2, v4
	v_add_lshl_u32 v7, v4, v9, 2
	ds_bpermute_b32 v4, v7, v2
	ds_bpermute_b32 v5, v7, v3
	v_cmp_gt_u32_e64 s[0:1], 62, v10
	s_waitcnt lgkmcnt(0)
	v_add_f64 v[2:3], v[2:3], v[4:5]
	v_cndmask_b32_e64 v4, 0, 1, s[0:1]
	v_lshlrev_b32_e32 v4, 1, v4
	v_add_lshl_u32 v8, v4, v9, 2
	ds_bpermute_b32 v4, v8, v2
	ds_bpermute_b32 v5, v8, v3
	v_cmp_ne_u32_e64 s[0:1], 63, v10
	s_waitcnt lgkmcnt(0)
	v_add_f64 v[2:3], v[2:3], v[4:5]
	v_addc_co_u32_e64 v4, s[0:1], 0, v9, s[0:1]
	v_lshlrev_b32_e32 v9, 2, v4
	ds_bpermute_b32 v4, v9, v2
	ds_bpermute_b32 v5, v9, v3
	v_cmp_eq_u32_e64 s[0:1], 0, v6
	s_and_saveexec_b64 s[2:3], s[0:1]
	s_cbranch_execz .LBB73_8
; %bb.7:
	s_waitcnt lgkmcnt(0)
	v_add_f64 v[2:3], v[2:3], v[4:5]
	v_lshrrev_b32_e32 v4, 3, v0
	v_and_b32_e32 v4, 56, v4
	ds_write_b64 v4, v[2:3]
.LBB73_8:
	s_or_b64 exec, exec, s[2:3]
	v_cmp_gt_u32_e64 s[0:1], 8, v0
	v_pk_mov_b32 v[2:3], 0, 0
	s_waitcnt lgkmcnt(0)
	s_barrier
	s_and_saveexec_b64 s[2:3], s[0:1]
	s_cbranch_execnz .LBB73_12
; %bb.9:
	s_or_b64 exec, exec, s[2:3]
	s_and_saveexec_b64 s[0:1], vcc
	s_cbranch_execnz .LBB73_13
.LBB73_10:
	s_or_b64 exec, exec, s[0:1]
	v_cmp_eq_u32_e32 vcc, 0, v0
	s_and_saveexec_b64 s[0:1], vcc
	s_cbranch_execnz .LBB73_14
.LBB73_11:
	s_endpgm
.LBB73_12:
	ds_read_b64 v[2:3], v1
	s_or_b64 exec, exec, s[2:3]
	s_and_saveexec_b64 s[0:1], vcc
	s_cbranch_execz .LBB73_10
.LBB73_13:
	s_waitcnt lgkmcnt(0)
	ds_bpermute_b32 v4, v7, v2
	ds_bpermute_b32 v5, v7, v3
	s_waitcnt lgkmcnt(0)
	v_add_f64 v[2:3], v[2:3], v[4:5]
	ds_bpermute_b32 v4, v8, v2
	ds_bpermute_b32 v5, v8, v3
	s_waitcnt lgkmcnt(0)
	v_add_f64 v[2:3], v[2:3], v[4:5]
	;; [unrolled: 4-line block ×3, first 2 shown]
	s_or_b64 exec, exec, s[0:1]
	v_cmp_eq_u32_e32 vcc, 0, v0
	s_and_saveexec_b64 s[0:1], vcc
	s_cbranch_execz .LBB73_11
.LBB73_14:
	s_cmp_lg_u32 s12, 1
	s_cbranch_scc0 .LBB73_16
; %bb.15:
	s_load_dwordx2 s[0:1], s[4:5], 0x30
	s_mul_hi_u32 s3, s12, s8
	s_mul_i32 s2, s12, s8
	s_lshl_b64 s[2:3], s[2:3], 3
	s_mov_b32 s7, 0
	s_waitcnt lgkmcnt(0)
	s_add_u32 s2, s0, s2
	s_addc_u32 s3, s1, s3
	s_lshl_b64 s[0:1], s[6:7], 3
	s_add_u32 s0, s2, s0
	s_addc_u32 s1, s3, s1
	s_cbranch_execz .LBB73_17
	s_branch .LBB73_18
.LBB73_16:
                                        ; implicit-def: $sgpr0_sgpr1
.LBB73_17:
	s_load_dwordx2 s[0:1], s[4:5], 0x38
	s_lshl_b64 s[2:3], s[8:9], 3
	s_waitcnt lgkmcnt(0)
	s_add_u32 s0, s0, s2
	s_addc_u32 s1, s1, s3
.LBB73_18:
	v_mov_b32_e32 v0, 0
	s_waitcnt lgkmcnt(0)
	global_store_dwordx2 v0, v[2:3], s[0:1]
	s_endpgm
	.section	.rodata,"a",@progbits
	.p2align	6, 0x0
	.amdhsa_kernel _ZL24rocblas_dot_kernel_magsqIlLb0ELi512ELi2ELb0EdPKddEviT5_lT_liPT6_PT4_
		.amdhsa_group_segment_fixed_size 512
		.amdhsa_private_segment_fixed_size 0
		.amdhsa_kernarg_size 320
		.amdhsa_user_sgpr_count 6
		.amdhsa_user_sgpr_private_segment_buffer 1
		.amdhsa_user_sgpr_dispatch_ptr 0
		.amdhsa_user_sgpr_queue_ptr 0
		.amdhsa_user_sgpr_kernarg_segment_ptr 1
		.amdhsa_user_sgpr_dispatch_id 0
		.amdhsa_user_sgpr_flat_scratch_init 0
		.amdhsa_user_sgpr_kernarg_preload_length 0
		.amdhsa_user_sgpr_kernarg_preload_offset 0
		.amdhsa_user_sgpr_private_segment_size 0
		.amdhsa_uses_dynamic_stack 0
		.amdhsa_system_sgpr_private_segment_wavefront_offset 0
		.amdhsa_system_sgpr_workgroup_id_x 1
		.amdhsa_system_sgpr_workgroup_id_y 0
		.amdhsa_system_sgpr_workgroup_id_z 1
		.amdhsa_system_sgpr_workgroup_info 0
		.amdhsa_system_vgpr_workitem_id 0
		.amdhsa_next_free_vgpr 11
		.amdhsa_next_free_sgpr 18
		.amdhsa_accum_offset 12
		.amdhsa_reserve_vcc 1
		.amdhsa_reserve_flat_scratch 0
		.amdhsa_float_round_mode_32 0
		.amdhsa_float_round_mode_16_64 0
		.amdhsa_float_denorm_mode_32 3
		.amdhsa_float_denorm_mode_16_64 3
		.amdhsa_dx10_clamp 1
		.amdhsa_ieee_mode 1
		.amdhsa_fp16_overflow 0
		.amdhsa_tg_split 0
		.amdhsa_exception_fp_ieee_invalid_op 0
		.amdhsa_exception_fp_denorm_src 0
		.amdhsa_exception_fp_ieee_div_zero 0
		.amdhsa_exception_fp_ieee_overflow 0
		.amdhsa_exception_fp_ieee_underflow 0
		.amdhsa_exception_fp_ieee_inexact 0
		.amdhsa_exception_int_div_zero 0
	.end_amdhsa_kernel
	.section	.text._ZL24rocblas_dot_kernel_magsqIlLb0ELi512ELi2ELb0EdPKddEviT5_lT_liPT6_PT4_,"axG",@progbits,_ZL24rocblas_dot_kernel_magsqIlLb0ELi512ELi2ELb0EdPKddEviT5_lT_liPT6_PT4_,comdat
.Lfunc_end73:
	.size	_ZL24rocblas_dot_kernel_magsqIlLb0ELi512ELi2ELb0EdPKddEviT5_lT_liPT6_PT4_, .Lfunc_end73-_ZL24rocblas_dot_kernel_magsqIlLb0ELi512ELi2ELb0EdPKddEviT5_lT_liPT6_PT4_
                                        ; -- End function
	.section	.AMDGPU.csdata,"",@progbits
; Kernel info:
; codeLenInByte = 1028
; NumSgprs: 22
; NumVgprs: 11
; NumAgprs: 0
; TotalNumVgprs: 11
; ScratchSize: 0
; MemoryBound: 0
; FloatMode: 240
; IeeeMode: 1
; LDSByteSize: 512 bytes/workgroup (compile time only)
; SGPRBlocks: 2
; VGPRBlocks: 1
; NumSGPRsForWavesPerEU: 22
; NumVGPRsForWavesPerEU: 11
; AccumOffset: 12
; Occupancy: 8
; WaveLimiterHint : 0
; COMPUTE_PGM_RSRC2:SCRATCH_EN: 0
; COMPUTE_PGM_RSRC2:USER_SGPR: 6
; COMPUTE_PGM_RSRC2:TRAP_HANDLER: 0
; COMPUTE_PGM_RSRC2:TGID_X_EN: 1
; COMPUTE_PGM_RSRC2:TGID_Y_EN: 0
; COMPUTE_PGM_RSRC2:TGID_Z_EN: 1
; COMPUTE_PGM_RSRC2:TIDIG_COMP_CNT: 0
; COMPUTE_PGM_RSRC3_GFX90A:ACCUM_OFFSET: 2
; COMPUTE_PGM_RSRC3_GFX90A:TG_SPLIT: 0
	.section	.text._ZL28rocblas_dot_batched_4_kernelIiLi32ELi4ELb0E19rocblas_complex_numIfES1_PKS1_EviT5_lT_lS4_lS5_liPT4_,"axG",@progbits,_ZL28rocblas_dot_batched_4_kernelIiLi32ELi4ELb0E19rocblas_complex_numIfES1_PKS1_EviT5_lT_lS4_lS5_liPT4_,comdat
	.globl	_ZL28rocblas_dot_batched_4_kernelIiLi32ELi4ELb0E19rocblas_complex_numIfES1_PKS1_EviT5_lT_lS4_lS5_liPT4_ ; -- Begin function _ZL28rocblas_dot_batched_4_kernelIiLi32ELi4ELb0E19rocblas_complex_numIfES1_PKS1_EviT5_lT_lS4_lS5_liPT4_
	.p2align	8
	.type	_ZL28rocblas_dot_batched_4_kernelIiLi32ELi4ELb0E19rocblas_complex_numIfES1_PKS1_EviT5_lT_lS4_lS5_liPT4_,@function
_ZL28rocblas_dot_batched_4_kernelIiLi32ELi4ELb0E19rocblas_complex_numIfES1_PKS1_EviT5_lT_lS4_lS5_liPT4_: ; @_ZL28rocblas_dot_batched_4_kernelIiLi32ELi4ELb0E19rocblas_complex_numIfES1_PKS1_EviT5_lT_lS4_lS5_liPT4_
; %bb.0:
	s_load_dword s0, s[4:5], 0x48
	v_bfe_u32 v1, v0, 10, 10
	v_lshl_add_u32 v2, s6, 2, v1
	s_waitcnt lgkmcnt(0)
	v_cmp_gt_u32_e32 vcc, s0, v2
	s_and_saveexec_b64 s[0:1], vcc
	s_cbranch_execz .LBB74_7
; %bb.1:
	s_load_dword s10, s[4:5], 0x0
	s_load_dwordx2 s[0:1], s[4:5], 0x50
	v_mov_b32_e32 v3, 0
	v_and_b32_e32 v8, 0x3ff, v0
	v_mov_b32_e32 v1, v3
	s_waitcnt lgkmcnt(0)
	v_cmp_gt_i32_e32 vcc, s10, v8
	v_mov_b32_e32 v0, v3
	s_and_saveexec_b64 s[2:3], vcc
	s_cbranch_execz .LBB74_5
; %bb.2:
	s_load_dwordx4 s[12:15], s[4:5], 0x8
	s_load_dword s6, s[4:5], 0x18
	s_load_dword s8, s[4:5], 0x38
	s_load_dwordx4 s[16:19], s[4:5], 0x20
	s_load_dwordx2 s[20:21], s[4:5], 0x30
	s_load_dwordx2 s[22:23], s[4:5], 0x40
	s_waitcnt lgkmcnt(0)
	v_mad_i64_i32 v[0:1], s[4:5], s6, v8, 0
	v_mad_u64_u32 v[4:5], s[4:5], s16, v2, 0
	v_mov_b32_e32 v6, v5
	v_mad_u64_u32 v[6:7], s[4:5], s17, v2, v[6:7]
	v_mov_b32_e32 v5, v6
	s_ashr_i32 s7, s6, 31
	s_ashr_i32 s9, s8, 31
	v_lshlrev_b64 v[0:1], 3, v[0:1]
	v_lshlrev_b64 v[4:5], 3, v[4:5]
	s_lshl_b64 s[4:5], s[14:15], 3
	v_add_co_u32_e32 v0, vcc, v0, v4
	s_add_u32 s4, s12, s4
	v_addc_co_u32_e32 v1, vcc, v1, v5, vcc
	s_addc_u32 s5, s13, s5
	v_mov_b32_e32 v5, s5
	v_add_co_u32_e32 v4, vcc, s4, v0
	s_lshl_b64 s[4:5], s[6:7], 8
	v_mad_u64_u32 v[6:7], s[6:7], s22, v2, 0
	v_mov_b32_e32 v10, v7
	v_mad_u64_u32 v[10:11], s[6:7], s23, v2, v[10:11]
	v_addc_co_u32_e32 v5, vcc, v5, v1, vcc
	v_mad_i64_i32 v[0:1], s[6:7], s8, v8, 0
	v_mov_b32_e32 v7, v10
	v_lshlrev_b64 v[0:1], 3, v[0:1]
	v_lshlrev_b64 v[6:7], 3, v[6:7]
	s_lshl_b64 s[6:7], s[20:21], 3
	v_add_co_u32_e32 v0, vcc, v0, v6
	s_add_u32 s6, s18, s6
	v_addc_co_u32_e32 v1, vcc, v1, v7, vcc
	s_addc_u32 s7, s19, s7
	v_mov_b32_e32 v6, s7
	v_add_co_u32_e32 v0, vcc, s6, v0
	v_addc_co_u32_e32 v1, vcc, v6, v1, vcc
	v_add_co_u32_e32 v6, vcc, 4, v0
	s_lshl_b64 s[8:9], s[8:9], 8
	v_mov_b32_e32 v0, 0
	v_addc_co_u32_e32 v7, vcc, 0, v1, vcc
	s_mov_b64 s[6:7], 0
	v_mov_b32_e32 v9, s5
	v_mov_b32_e32 v10, s9
	;; [unrolled: 1-line block ×4, first 2 shown]
.LBB74_3:                               ; =>This Inner Loop Header: Depth=1
	global_load_dwordx2 v[12:13], v[6:7], off offset:-4
	global_load_dwordx2 v[14:15], v[4:5], off
	v_add_co_u32_e32 v4, vcc, s4, v4
	v_addc_co_u32_e32 v5, vcc, v5, v9, vcc
	v_add_co_u32_e32 v6, vcc, s8, v6
	v_add_u32_e32 v11, 32, v11
	v_addc_co_u32_e32 v7, vcc, v7, v10, vcc
	v_cmp_le_i32_e32 vcc, s10, v11
	s_or_b64 s[6:7], vcc, s[6:7]
	s_waitcnt vmcnt(0)
	v_pk_mul_f32 v[16:17], v[14:15], v[12:13] op_sel:[0,1]
	v_pk_fma_f32 v[18:19], v[14:15], v[12:13], v[16:17] op_sel:[0,0,1] op_sel_hi:[1,1,0] neg_lo:[0,0,1] neg_hi:[0,0,1]
	v_pk_fma_f32 v[12:13], v[14:15], v[12:13], v[16:17] op_sel:[0,0,1] op_sel_hi:[1,0,0]
	v_mov_b32_e32 v19, v13
	v_pk_add_f32 v[0:1], v[0:1], v[18:19]
	s_andn2_b64 exec, exec, s[6:7]
	s_cbranch_execnz .LBB74_3
; %bb.4:
	s_or_b64 exec, exec, s[6:7]
.LBB74_5:
	s_or_b64 exec, exec, s[2:3]
	v_mbcnt_lo_u32_b32 v4, -1, 0
	v_mbcnt_hi_u32_b32 v6, -1, v4
	v_and_b32_e32 v7, 63, v6
	v_cmp_gt_u32_e32 vcc, 48, v7
	v_cndmask_b32_e64 v4, 0, 1, vcc
	v_lshlrev_b32_e32 v4, 4, v4
	v_add_lshl_u32 v5, v4, v6, 2
	ds_bpermute_b32 v4, v5, v0
	ds_bpermute_b32 v5, v5, v1
	v_cmp_gt_u32_e32 vcc, 56, v7
	v_cndmask_b32_e64 v9, 0, 1, vcc
	v_lshlrev_b32_e32 v9, 3, v9
	v_add_lshl_u32 v9, v9, v6, 2
	s_waitcnt lgkmcnt(0)
	v_pk_add_f32 v[0:1], v[0:1], v[4:5]
	ds_bpermute_b32 v4, v9, v0
	ds_bpermute_b32 v5, v9, v1
	v_cmp_gt_u32_e32 vcc, 60, v7
	v_cndmask_b32_e64 v9, 0, 1, vcc
	v_lshlrev_b32_e32 v9, 2, v9
	v_add_lshl_u32 v9, v9, v6, 2
	s_waitcnt lgkmcnt(0)
	v_pk_add_f32 v[0:1], v[0:1], v[4:5]
	;; [unrolled: 8-line block ×3, first 2 shown]
	ds_bpermute_b32 v4, v9, v0
	ds_bpermute_b32 v5, v9, v1
	v_cmp_ne_u32_e32 vcc, 63, v7
	s_waitcnt lgkmcnt(0)
	s_barrier
	v_pk_add_f32 v[0:1], v[0:1], v[4:5]
	v_addc_co_u32_e32 v4, vcc, 0, v6, vcc
	v_lshlrev_b32_e32 v5, 2, v4
	ds_bpermute_b32 v4, v5, v0
	ds_bpermute_b32 v5, v5, v1
	v_cmp_eq_u32_e32 vcc, 0, v8
	s_and_b64 exec, exec, vcc
	s_cbranch_execz .LBB74_7
; %bb.6:
	v_lshlrev_b64 v[2:3], 3, v[2:3]
	v_mov_b32_e32 v6, s1
	v_add_co_u32_e32 v2, vcc, s0, v2
	v_addc_co_u32_e32 v3, vcc, v6, v3, vcc
	s_waitcnt lgkmcnt(0)
	v_pk_add_f32 v[0:1], v[0:1], v[4:5]
	global_store_dwordx2 v[2:3], v[0:1], off
.LBB74_7:
	s_endpgm
	.section	.rodata,"a",@progbits
	.p2align	6, 0x0
	.amdhsa_kernel _ZL28rocblas_dot_batched_4_kernelIiLi32ELi4ELb0E19rocblas_complex_numIfES1_PKS1_EviT5_lT_lS4_lS5_liPT4_
		.amdhsa_group_segment_fixed_size 0
		.amdhsa_private_segment_fixed_size 0
		.amdhsa_kernarg_size 88
		.amdhsa_user_sgpr_count 6
		.amdhsa_user_sgpr_private_segment_buffer 1
		.amdhsa_user_sgpr_dispatch_ptr 0
		.amdhsa_user_sgpr_queue_ptr 0
		.amdhsa_user_sgpr_kernarg_segment_ptr 1
		.amdhsa_user_sgpr_dispatch_id 0
		.amdhsa_user_sgpr_flat_scratch_init 0
		.amdhsa_user_sgpr_kernarg_preload_length 0
		.amdhsa_user_sgpr_kernarg_preload_offset 0
		.amdhsa_user_sgpr_private_segment_size 0
		.amdhsa_uses_dynamic_stack 0
		.amdhsa_system_sgpr_private_segment_wavefront_offset 0
		.amdhsa_system_sgpr_workgroup_id_x 1
		.amdhsa_system_sgpr_workgroup_id_y 0
		.amdhsa_system_sgpr_workgroup_id_z 0
		.amdhsa_system_sgpr_workgroup_info 0
		.amdhsa_system_vgpr_workitem_id 1
		.amdhsa_next_free_vgpr 20
		.amdhsa_next_free_sgpr 24
		.amdhsa_accum_offset 20
		.amdhsa_reserve_vcc 1
		.amdhsa_reserve_flat_scratch 0
		.amdhsa_float_round_mode_32 0
		.amdhsa_float_round_mode_16_64 0
		.amdhsa_float_denorm_mode_32 3
		.amdhsa_float_denorm_mode_16_64 3
		.amdhsa_dx10_clamp 1
		.amdhsa_ieee_mode 1
		.amdhsa_fp16_overflow 0
		.amdhsa_tg_split 0
		.amdhsa_exception_fp_ieee_invalid_op 0
		.amdhsa_exception_fp_denorm_src 0
		.amdhsa_exception_fp_ieee_div_zero 0
		.amdhsa_exception_fp_ieee_overflow 0
		.amdhsa_exception_fp_ieee_underflow 0
		.amdhsa_exception_fp_ieee_inexact 0
		.amdhsa_exception_int_div_zero 0
	.end_amdhsa_kernel
	.section	.text._ZL28rocblas_dot_batched_4_kernelIiLi32ELi4ELb0E19rocblas_complex_numIfES1_PKS1_EviT5_lT_lS4_lS5_liPT4_,"axG",@progbits,_ZL28rocblas_dot_batched_4_kernelIiLi32ELi4ELb0E19rocblas_complex_numIfES1_PKS1_EviT5_lT_lS4_lS5_liPT4_,comdat
.Lfunc_end74:
	.size	_ZL28rocblas_dot_batched_4_kernelIiLi32ELi4ELb0E19rocblas_complex_numIfES1_PKS1_EviT5_lT_lS4_lS5_liPT4_, .Lfunc_end74-_ZL28rocblas_dot_batched_4_kernelIiLi32ELi4ELb0E19rocblas_complex_numIfES1_PKS1_EviT5_lT_lS4_lS5_liPT4_
                                        ; -- End function
	.section	.AMDGPU.csdata,"",@progbits
; Kernel info:
; codeLenInByte = 768
; NumSgprs: 28
; NumVgprs: 20
; NumAgprs: 0
; TotalNumVgprs: 20
; ScratchSize: 0
; MemoryBound: 0
; FloatMode: 240
; IeeeMode: 1
; LDSByteSize: 0 bytes/workgroup (compile time only)
; SGPRBlocks: 3
; VGPRBlocks: 2
; NumSGPRsForWavesPerEU: 28
; NumVGPRsForWavesPerEU: 20
; AccumOffset: 20
; Occupancy: 8
; WaveLimiterHint : 0
; COMPUTE_PGM_RSRC2:SCRATCH_EN: 0
; COMPUTE_PGM_RSRC2:USER_SGPR: 6
; COMPUTE_PGM_RSRC2:TRAP_HANDLER: 0
; COMPUTE_PGM_RSRC2:TGID_X_EN: 1
; COMPUTE_PGM_RSRC2:TGID_Y_EN: 0
; COMPUTE_PGM_RSRC2:TGID_Z_EN: 0
; COMPUTE_PGM_RSRC2:TIDIG_COMP_CNT: 1
; COMPUTE_PGM_RSRC3_GFX90A:ACCUM_OFFSET: 4
; COMPUTE_PGM_RSRC3_GFX90A:TG_SPLIT: 0
	.section	.text._ZL28rocblas_dot_batched_4_kernelIiLi64ELi4ELb0E19rocblas_complex_numIfES1_PKS1_EviT5_lT_lS4_lS5_liPT4_,"axG",@progbits,_ZL28rocblas_dot_batched_4_kernelIiLi64ELi4ELb0E19rocblas_complex_numIfES1_PKS1_EviT5_lT_lS4_lS5_liPT4_,comdat
	.globl	_ZL28rocblas_dot_batched_4_kernelIiLi64ELi4ELb0E19rocblas_complex_numIfES1_PKS1_EviT5_lT_lS4_lS5_liPT4_ ; -- Begin function _ZL28rocblas_dot_batched_4_kernelIiLi64ELi4ELb0E19rocblas_complex_numIfES1_PKS1_EviT5_lT_lS4_lS5_liPT4_
	.p2align	8
	.type	_ZL28rocblas_dot_batched_4_kernelIiLi64ELi4ELb0E19rocblas_complex_numIfES1_PKS1_EviT5_lT_lS4_lS5_liPT4_,@function
_ZL28rocblas_dot_batched_4_kernelIiLi64ELi4ELb0E19rocblas_complex_numIfES1_PKS1_EviT5_lT_lS4_lS5_liPT4_: ; @_ZL28rocblas_dot_batched_4_kernelIiLi64ELi4ELb0E19rocblas_complex_numIfES1_PKS1_EviT5_lT_lS4_lS5_liPT4_
; %bb.0:
	s_load_dword s0, s[4:5], 0x48
	v_bfe_u32 v1, v0, 10, 10
	v_lshl_add_u32 v2, s6, 2, v1
	s_waitcnt lgkmcnt(0)
	v_cmp_gt_u32_e32 vcc, s0, v2
	s_and_saveexec_b64 s[0:1], vcc
	s_cbranch_execz .LBB75_7
; %bb.1:
	s_load_dword s10, s[4:5], 0x0
	s_load_dwordx2 s[0:1], s[4:5], 0x50
	v_mov_b32_e32 v3, 0
	v_and_b32_e32 v8, 0x3ff, v0
	v_mov_b32_e32 v1, v3
	s_waitcnt lgkmcnt(0)
	v_cmp_gt_i32_e32 vcc, s10, v8
	v_mov_b32_e32 v0, v3
	s_and_saveexec_b64 s[2:3], vcc
	s_cbranch_execz .LBB75_5
; %bb.2:
	s_load_dwordx4 s[12:15], s[4:5], 0x8
	s_load_dword s6, s[4:5], 0x18
	s_load_dword s8, s[4:5], 0x38
	s_load_dwordx4 s[16:19], s[4:5], 0x20
	s_load_dwordx2 s[20:21], s[4:5], 0x30
	s_load_dwordx2 s[22:23], s[4:5], 0x40
	s_waitcnt lgkmcnt(0)
	v_mad_i64_i32 v[0:1], s[4:5], s6, v8, 0
	v_mad_u64_u32 v[4:5], s[4:5], s16, v2, 0
	v_mov_b32_e32 v6, v5
	v_mad_u64_u32 v[6:7], s[4:5], s17, v2, v[6:7]
	v_mov_b32_e32 v5, v6
	s_ashr_i32 s7, s6, 31
	s_ashr_i32 s9, s8, 31
	v_lshlrev_b64 v[0:1], 3, v[0:1]
	v_lshlrev_b64 v[4:5], 3, v[4:5]
	s_lshl_b64 s[4:5], s[14:15], 3
	v_add_co_u32_e32 v0, vcc, v0, v4
	s_add_u32 s4, s12, s4
	v_addc_co_u32_e32 v1, vcc, v1, v5, vcc
	s_addc_u32 s5, s13, s5
	v_mov_b32_e32 v5, s5
	v_add_co_u32_e32 v4, vcc, s4, v0
	s_lshl_b64 s[4:5], s[6:7], 9
	v_mad_u64_u32 v[6:7], s[6:7], s22, v2, 0
	v_mov_b32_e32 v10, v7
	v_mad_u64_u32 v[10:11], s[6:7], s23, v2, v[10:11]
	v_addc_co_u32_e32 v5, vcc, v5, v1, vcc
	v_mad_i64_i32 v[0:1], s[6:7], s8, v8, 0
	v_mov_b32_e32 v7, v10
	v_lshlrev_b64 v[0:1], 3, v[0:1]
	v_lshlrev_b64 v[6:7], 3, v[6:7]
	s_lshl_b64 s[6:7], s[20:21], 3
	v_add_co_u32_e32 v0, vcc, v0, v6
	s_add_u32 s6, s18, s6
	v_addc_co_u32_e32 v1, vcc, v1, v7, vcc
	s_addc_u32 s7, s19, s7
	v_mov_b32_e32 v6, s7
	v_add_co_u32_e32 v0, vcc, s6, v0
	v_addc_co_u32_e32 v1, vcc, v6, v1, vcc
	v_add_co_u32_e32 v6, vcc, 4, v0
	s_lshl_b64 s[8:9], s[8:9], 9
	v_mov_b32_e32 v0, 0
	v_addc_co_u32_e32 v7, vcc, 0, v1, vcc
	s_mov_b64 s[6:7], 0
	v_mov_b32_e32 v9, s5
	v_mov_b32_e32 v10, s9
	;; [unrolled: 1-line block ×4, first 2 shown]
.LBB75_3:                               ; =>This Inner Loop Header: Depth=1
	global_load_dwordx2 v[12:13], v[6:7], off offset:-4
	global_load_dwordx2 v[14:15], v[4:5], off
	v_add_co_u32_e32 v4, vcc, s4, v4
	v_addc_co_u32_e32 v5, vcc, v5, v9, vcc
	v_add_co_u32_e32 v6, vcc, s8, v6
	v_add_u32_e32 v11, 64, v11
	v_addc_co_u32_e32 v7, vcc, v7, v10, vcc
	v_cmp_le_i32_e32 vcc, s10, v11
	s_or_b64 s[6:7], vcc, s[6:7]
	s_waitcnt vmcnt(0)
	v_pk_mul_f32 v[16:17], v[14:15], v[12:13] op_sel:[0,1]
	v_pk_fma_f32 v[18:19], v[14:15], v[12:13], v[16:17] op_sel:[0,0,1] op_sel_hi:[1,1,0] neg_lo:[0,0,1] neg_hi:[0,0,1]
	v_pk_fma_f32 v[12:13], v[14:15], v[12:13], v[16:17] op_sel:[0,0,1] op_sel_hi:[1,0,0]
	v_mov_b32_e32 v19, v13
	v_pk_add_f32 v[0:1], v[0:1], v[18:19]
	s_andn2_b64 exec, exec, s[6:7]
	s_cbranch_execnz .LBB75_3
; %bb.4:
	s_or_b64 exec, exec, s[6:7]
.LBB75_5:
	s_or_b64 exec, exec, s[2:3]
	v_mbcnt_lo_u32_b32 v4, -1, 0
	v_mbcnt_hi_u32_b32 v6, -1, v4
	v_and_b32_e32 v7, 63, v6
	v_cmp_gt_u32_e32 vcc, 32, v7
	v_cndmask_b32_e64 v4, 0, 1, vcc
	v_lshlrev_b32_e32 v4, 5, v4
	v_add_lshl_u32 v5, v4, v6, 2
	ds_bpermute_b32 v4, v5, v0
	ds_bpermute_b32 v5, v5, v1
	v_cmp_gt_u32_e32 vcc, 48, v7
	v_cndmask_b32_e64 v9, 0, 1, vcc
	v_lshlrev_b32_e32 v9, 4, v9
	v_add_lshl_u32 v9, v9, v6, 2
	s_waitcnt lgkmcnt(0)
	v_pk_add_f32 v[0:1], v[0:1], v[4:5]
	ds_bpermute_b32 v4, v9, v0
	ds_bpermute_b32 v5, v9, v1
	v_cmp_gt_u32_e32 vcc, 56, v7
	v_cndmask_b32_e64 v9, 0, 1, vcc
	v_lshlrev_b32_e32 v9, 3, v9
	v_add_lshl_u32 v9, v9, v6, 2
	s_waitcnt lgkmcnt(0)
	v_pk_add_f32 v[0:1], v[0:1], v[4:5]
	;; [unrolled: 8-line block ×4, first 2 shown]
	ds_bpermute_b32 v4, v9, v0
	ds_bpermute_b32 v5, v9, v1
	v_cmp_ne_u32_e32 vcc, 63, v7
	s_waitcnt lgkmcnt(0)
	s_barrier
	v_pk_add_f32 v[0:1], v[0:1], v[4:5]
	v_addc_co_u32_e32 v4, vcc, 0, v6, vcc
	v_lshlrev_b32_e32 v5, 2, v4
	ds_bpermute_b32 v4, v5, v0
	ds_bpermute_b32 v5, v5, v1
	v_cmp_eq_u32_e32 vcc, 0, v8
	s_and_b64 exec, exec, vcc
	s_cbranch_execz .LBB75_7
; %bb.6:
	v_lshlrev_b64 v[2:3], 3, v[2:3]
	v_mov_b32_e32 v6, s1
	v_add_co_u32_e32 v2, vcc, s0, v2
	v_addc_co_u32_e32 v3, vcc, v6, v3, vcc
	s_waitcnt lgkmcnt(0)
	v_pk_add_f32 v[0:1], v[0:1], v[4:5]
	global_store_dwordx2 v[2:3], v[0:1], off
.LBB75_7:
	s_endpgm
	.section	.rodata,"a",@progbits
	.p2align	6, 0x0
	.amdhsa_kernel _ZL28rocblas_dot_batched_4_kernelIiLi64ELi4ELb0E19rocblas_complex_numIfES1_PKS1_EviT5_lT_lS4_lS5_liPT4_
		.amdhsa_group_segment_fixed_size 0
		.amdhsa_private_segment_fixed_size 0
		.amdhsa_kernarg_size 88
		.amdhsa_user_sgpr_count 6
		.amdhsa_user_sgpr_private_segment_buffer 1
		.amdhsa_user_sgpr_dispatch_ptr 0
		.amdhsa_user_sgpr_queue_ptr 0
		.amdhsa_user_sgpr_kernarg_segment_ptr 1
		.amdhsa_user_sgpr_dispatch_id 0
		.amdhsa_user_sgpr_flat_scratch_init 0
		.amdhsa_user_sgpr_kernarg_preload_length 0
		.amdhsa_user_sgpr_kernarg_preload_offset 0
		.amdhsa_user_sgpr_private_segment_size 0
		.amdhsa_uses_dynamic_stack 0
		.amdhsa_system_sgpr_private_segment_wavefront_offset 0
		.amdhsa_system_sgpr_workgroup_id_x 1
		.amdhsa_system_sgpr_workgroup_id_y 0
		.amdhsa_system_sgpr_workgroup_id_z 0
		.amdhsa_system_sgpr_workgroup_info 0
		.amdhsa_system_vgpr_workitem_id 1
		.amdhsa_next_free_vgpr 20
		.amdhsa_next_free_sgpr 24
		.amdhsa_accum_offset 20
		.amdhsa_reserve_vcc 1
		.amdhsa_reserve_flat_scratch 0
		.amdhsa_float_round_mode_32 0
		.amdhsa_float_round_mode_16_64 0
		.amdhsa_float_denorm_mode_32 3
		.amdhsa_float_denorm_mode_16_64 3
		.amdhsa_dx10_clamp 1
		.amdhsa_ieee_mode 1
		.amdhsa_fp16_overflow 0
		.amdhsa_tg_split 0
		.amdhsa_exception_fp_ieee_invalid_op 0
		.amdhsa_exception_fp_denorm_src 0
		.amdhsa_exception_fp_ieee_div_zero 0
		.amdhsa_exception_fp_ieee_overflow 0
		.amdhsa_exception_fp_ieee_underflow 0
		.amdhsa_exception_fp_ieee_inexact 0
		.amdhsa_exception_int_div_zero 0
	.end_amdhsa_kernel
	.section	.text._ZL28rocblas_dot_batched_4_kernelIiLi64ELi4ELb0E19rocblas_complex_numIfES1_PKS1_EviT5_lT_lS4_lS5_liPT4_,"axG",@progbits,_ZL28rocblas_dot_batched_4_kernelIiLi64ELi4ELb0E19rocblas_complex_numIfES1_PKS1_EviT5_lT_lS4_lS5_liPT4_,comdat
.Lfunc_end75:
	.size	_ZL28rocblas_dot_batched_4_kernelIiLi64ELi4ELb0E19rocblas_complex_numIfES1_PKS1_EviT5_lT_lS4_lS5_liPT4_, .Lfunc_end75-_ZL28rocblas_dot_batched_4_kernelIiLi64ELi4ELb0E19rocblas_complex_numIfES1_PKS1_EviT5_lT_lS4_lS5_liPT4_
                                        ; -- End function
	.section	.AMDGPU.csdata,"",@progbits
; Kernel info:
; codeLenInByte = 820
; NumSgprs: 28
; NumVgprs: 20
; NumAgprs: 0
; TotalNumVgprs: 20
; ScratchSize: 0
; MemoryBound: 0
; FloatMode: 240
; IeeeMode: 1
; LDSByteSize: 0 bytes/workgroup (compile time only)
; SGPRBlocks: 3
; VGPRBlocks: 2
; NumSGPRsForWavesPerEU: 28
; NumVGPRsForWavesPerEU: 20
; AccumOffset: 20
; Occupancy: 8
; WaveLimiterHint : 0
; COMPUTE_PGM_RSRC2:SCRATCH_EN: 0
; COMPUTE_PGM_RSRC2:USER_SGPR: 6
; COMPUTE_PGM_RSRC2:TRAP_HANDLER: 0
; COMPUTE_PGM_RSRC2:TGID_X_EN: 1
; COMPUTE_PGM_RSRC2:TGID_Y_EN: 0
; COMPUTE_PGM_RSRC2:TGID_Z_EN: 0
; COMPUTE_PGM_RSRC2:TIDIG_COMP_CNT: 1
; COMPUTE_PGM_RSRC3_GFX90A:ACCUM_OFFSET: 4
; COMPUTE_PGM_RSRC3_GFX90A:TG_SPLIT: 0
	.section	.text._ZL26rocblas_dot_kernel_inc1by2ILb1ELi1024ELi32ELb0E19rocblas_complex_numIfEPKS1_S1_EviT4_llS4_lliPT5_PT3_,"axG",@progbits,_ZL26rocblas_dot_kernel_inc1by2ILb1ELi1024ELi32ELb0E19rocblas_complex_numIfEPKS1_S1_EviT4_llS4_lliPT5_PT3_,comdat
	.globl	_ZL26rocblas_dot_kernel_inc1by2ILb1ELi1024ELi32ELb0E19rocblas_complex_numIfEPKS1_S1_EviT4_llS4_lliPT5_PT3_ ; -- Begin function _ZL26rocblas_dot_kernel_inc1by2ILb1ELi1024ELi32ELb0E19rocblas_complex_numIfEPKS1_S1_EviT4_llS4_lliPT5_PT3_
	.p2align	8
	.type	_ZL26rocblas_dot_kernel_inc1by2ILb1ELi1024ELi32ELb0E19rocblas_complex_numIfEPKS1_S1_EviT4_llS4_lliPT5_PT3_,@function
_ZL26rocblas_dot_kernel_inc1by2ILb1ELi1024ELi32ELb0E19rocblas_complex_numIfEPKS1_S1_EviT4_llS4_lliPT5_PT3_: ; @_ZL26rocblas_dot_kernel_inc1by2ILb1ELi1024ELi32ELb0E19rocblas_complex_numIfEPKS1_S1_EviT4_llS4_lliPT5_PT3_
; %bb.0:
	s_mov_b32 s2, s7
	s_load_dword s10, s[4:5], 0x0
	s_load_dwordx2 s[6:7], s[4:5], 0x48
	v_mov_b32_e32 v3, 0
	s_mov_b32 s3, 0
	v_mov_b32_e32 v2, v3
	s_waitcnt lgkmcnt(0)
	v_cmp_gt_i32_e32 vcc, s10, v0
	s_and_saveexec_b64 s[8:9], vcc
	s_cbranch_execz .LBB76_4
; %bb.1:
	s_load_dwordx4 s[12:15], s[4:5], 0x28
	s_load_dwordx2 s[0:1], s[4:5], 0x20
	s_load_dwordx2 s[20:21], s[4:5], 0x8
	s_load_dwordx4 s[16:19], s[4:5], 0x10
	v_lshlrev_b32_e32 v2, 3, v0
	s_waitcnt lgkmcnt(0)
	s_mul_i32 s4, s15, s2
	s_mul_hi_u32 s5, s14, s2
	s_add_i32 s5, s5, s4
	s_mul_i32 s4, s14, s2
	s_lshl_b64 s[4:5], s[4:5], 3
	s_lshl_b64 s[12:13], s[12:13], 3
	s_add_u32 s4, s4, s12
	s_addc_u32 s5, s5, s13
	s_add_u32 s0, s0, s4
	s_addc_u32 s1, s1, s5
	v_mov_b32_e32 v3, s1
	v_add_co_u32_e32 v4, vcc, s0, v2
	s_mul_i32 s0, s19, s2
	s_mul_hi_u32 s1, s18, s2
	s_add_i32 s1, s1, s0
	s_mul_i32 s0, s18, s2
	s_lshl_b64 s[0:1], s[0:1], 3
	s_lshl_b64 s[4:5], s[16:17], 3
	s_add_u32 s0, s0, s4
	s_addc_u32 s1, s1, s5
	s_add_u32 s0, s20, s0
	v_addc_co_u32_e32 v5, vcc, 0, v3, vcc
	s_addc_u32 s1, s21, s1
	v_mov_b32_e32 v3, s1
	v_add_co_u32_e32 v6, vcc, s0, v2
	v_mov_b32_e32 v2, 0
	v_or_b32_e32 v1, 0x400, v0
	v_addc_co_u32_e32 v7, vcc, 0, v3, vcc
	s_mov_b64 s[4:5], 0
	s_mov_b32 s11, s3
	v_mov_b32_e32 v3, v2
.LBB76_2:                               ; =>This Inner Loop Header: Depth=1
	global_load_dwordx2 v[8:9], v[4:5], off
	global_load_dwordx2 v[10:11], v[6:7], off
	s_add_i32 s12, s11, 1
	s_cmp_gt_u32 s11, 30
	v_cmp_le_i32_e64 s[0:1], s10, v1
	v_add_co_u32_e32 v4, vcc, 0x2000, v4
	s_mov_b32 s11, s12
	s_cselect_b64 s[12:13], -1, 0
	v_addc_co_u32_e32 v5, vcc, 0, v5, vcc
	s_or_b64 s[0:1], s[12:13], s[0:1]
	v_add_co_u32_e32 v6, vcc, 0x2000, v6
	s_and_b64 s[0:1], exec, s[0:1]
	v_add_u32_e32 v1, 0x400, v1
	v_addc_co_u32_e32 v7, vcc, 0, v7, vcc
	s_or_b64 s[4:5], s[0:1], s[4:5]
	s_waitcnt vmcnt(0)
	v_pk_mul_f32 v[12:13], v[10:11], v[8:9] op_sel:[0,1]
	v_pk_fma_f32 v[14:15], v[10:11], v[8:9], v[12:13] op_sel:[0,0,1] op_sel_hi:[1,1,0] neg_lo:[0,0,1] neg_hi:[0,0,1]
	v_pk_fma_f32 v[8:9], v[10:11], v[8:9], v[12:13] op_sel:[0,0,1] op_sel_hi:[1,0,0]
	v_mov_b32_e32 v15, v9
	v_pk_add_f32 v[2:3], v[2:3], v[14:15]
	s_andn2_b64 exec, exec, s[4:5]
	s_cbranch_execnz .LBB76_2
; %bb.3:
	s_or_b64 exec, exec, s[4:5]
.LBB76_4:
	s_or_b64 exec, exec, s[8:9]
	v_and_b32_e32 v6, 63, v0
	v_cmp_gt_u32_e32 vcc, 64, v0
	v_lshlrev_b32_e32 v1, 3, v6
	s_and_saveexec_b64 s[0:1], vcc
	s_cbranch_execz .LBB76_6
; %bb.5:
	v_mov_b32_e32 v4, 0
	v_mov_b32_e32 v5, v4
	ds_write_b64 v1, v[4:5]
.LBB76_6:
	s_or_b64 exec, exec, s[0:1]
	v_mbcnt_lo_u32_b32 v4, -1, 0
	v_mbcnt_hi_u32_b32 v10, -1, v4
	v_and_b32_e32 v11, 63, v10
	v_cmp_gt_u32_e64 s[0:1], 32, v11
	v_cndmask_b32_e64 v4, 0, 1, s[0:1]
	v_lshlrev_b32_e32 v4, 5, v4
	v_add_lshl_u32 v5, v4, v10, 2
	ds_bpermute_b32 v4, v5, v2
	ds_bpermute_b32 v5, v5, v3
	v_cmp_gt_u32_e64 s[0:1], 48, v11
	v_cndmask_b32_e64 v7, 0, 1, s[0:1]
	v_lshlrev_b32_e32 v7, 4, v7
	v_add_lshl_u32 v7, v7, v10, 2
	s_waitcnt lgkmcnt(0)
	v_pk_add_f32 v[2:3], v[2:3], v[4:5]
	ds_bpermute_b32 v4, v7, v2
	ds_bpermute_b32 v5, v7, v3
	v_cmp_gt_u32_e64 s[0:1], 56, v11
	v_cndmask_b32_e64 v7, 0, 1, s[0:1]
	v_lshlrev_b32_e32 v7, 3, v7
	v_add_lshl_u32 v7, v7, v10, 2
	s_waitcnt lgkmcnt(0)
	v_pk_add_f32 v[2:3], v[2:3], v[4:5]
	;; [unrolled: 8-line block ×4, first 2 shown]
	ds_bpermute_b32 v4, v9, v2
	ds_bpermute_b32 v5, v9, v3
	v_cmp_ne_u32_e64 s[0:1], 63, v11
	s_waitcnt lgkmcnt(0)
	s_barrier
	v_pk_add_f32 v[2:3], v[2:3], v[4:5]
	v_addc_co_u32_e64 v4, s[0:1], 0, v10, s[0:1]
	v_lshlrev_b32_e32 v10, 2, v4
	ds_bpermute_b32 v4, v10, v2
	ds_bpermute_b32 v5, v10, v3
	v_cmp_eq_u32_e64 s[0:1], 0, v6
	s_and_saveexec_b64 s[4:5], s[0:1]
	s_cbranch_execz .LBB76_8
; %bb.7:
	v_lshrrev_b32_e32 v6, 3, v0
	v_and_b32_e32 v6, 0x78, v6
	s_waitcnt lgkmcnt(0)
	v_pk_add_f32 v[2:3], v[2:3], v[4:5]
	ds_write_b64 v6, v[2:3]
.LBB76_8:
	s_or_b64 exec, exec, s[4:5]
	v_cmp_gt_u32_e64 s[0:1], 16, v0
	v_mov_b32_e32 v2, 0
	v_mov_b32_e32 v3, 0
	s_waitcnt lgkmcnt(0)
	s_barrier
	s_and_saveexec_b64 s[4:5], s[0:1]
	s_cbranch_execnz .LBB76_12
; %bb.9:
	s_or_b64 exec, exec, s[4:5]
	s_and_saveexec_b64 s[0:1], vcc
	s_cbranch_execnz .LBB76_13
.LBB76_10:
	s_or_b64 exec, exec, s[0:1]
	v_cmp_eq_u32_e32 vcc, 0, v0
	s_and_saveexec_b64 s[0:1], vcc
	s_cbranch_execnz .LBB76_14
.LBB76_11:
	s_endpgm
.LBB76_12:
	ds_read_b64 v[2:3], v1
	s_or_b64 exec, exec, s[4:5]
	s_and_saveexec_b64 s[0:1], vcc
	s_cbranch_execz .LBB76_10
.LBB76_13:
	s_waitcnt lgkmcnt(0)
	ds_bpermute_b32 v4, v7, v2
	ds_bpermute_b32 v5, v7, v3
	s_waitcnt lgkmcnt(0)
	v_pk_add_f32 v[2:3], v[2:3], v[4:5]
	ds_bpermute_b32 v4, v8, v2
	ds_bpermute_b32 v5, v8, v3
	s_waitcnt lgkmcnt(0)
	v_pk_add_f32 v[2:3], v[2:3], v[4:5]
	;; [unrolled: 4-line block ×4, first 2 shown]
	s_or_b64 exec, exec, s[0:1]
	v_cmp_eq_u32_e32 vcc, 0, v0
	s_and_saveexec_b64 s[0:1], vcc
	s_cbranch_execz .LBB76_11
.LBB76_14:
	s_lshl_b64 s[0:1], s[2:3], 3
	s_add_u32 s0, s6, s0
	s_addc_u32 s1, s7, s1
	v_mov_b32_e32 v0, 0
	s_waitcnt lgkmcnt(0)
	global_store_dwordx2 v0, v[2:3], s[0:1]
	s_endpgm
	.section	.rodata,"a",@progbits
	.p2align	6, 0x0
	.amdhsa_kernel _ZL26rocblas_dot_kernel_inc1by2ILb1ELi1024ELi32ELb0E19rocblas_complex_numIfEPKS1_S1_EviT4_llS4_lliPT5_PT3_
		.amdhsa_group_segment_fixed_size 512
		.amdhsa_private_segment_fixed_size 0
		.amdhsa_kernarg_size 80
		.amdhsa_user_sgpr_count 6
		.amdhsa_user_sgpr_private_segment_buffer 1
		.amdhsa_user_sgpr_dispatch_ptr 0
		.amdhsa_user_sgpr_queue_ptr 0
		.amdhsa_user_sgpr_kernarg_segment_ptr 1
		.amdhsa_user_sgpr_dispatch_id 0
		.amdhsa_user_sgpr_flat_scratch_init 0
		.amdhsa_user_sgpr_kernarg_preload_length 0
		.amdhsa_user_sgpr_kernarg_preload_offset 0
		.amdhsa_user_sgpr_private_segment_size 0
		.amdhsa_uses_dynamic_stack 0
		.amdhsa_system_sgpr_private_segment_wavefront_offset 0
		.amdhsa_system_sgpr_workgroup_id_x 1
		.amdhsa_system_sgpr_workgroup_id_y 0
		.amdhsa_system_sgpr_workgroup_id_z 1
		.amdhsa_system_sgpr_workgroup_info 0
		.amdhsa_system_vgpr_workitem_id 0
		.amdhsa_next_free_vgpr 16
		.amdhsa_next_free_sgpr 22
		.amdhsa_accum_offset 16
		.amdhsa_reserve_vcc 1
		.amdhsa_reserve_flat_scratch 0
		.amdhsa_float_round_mode_32 0
		.amdhsa_float_round_mode_16_64 0
		.amdhsa_float_denorm_mode_32 3
		.amdhsa_float_denorm_mode_16_64 3
		.amdhsa_dx10_clamp 1
		.amdhsa_ieee_mode 1
		.amdhsa_fp16_overflow 0
		.amdhsa_tg_split 0
		.amdhsa_exception_fp_ieee_invalid_op 0
		.amdhsa_exception_fp_denorm_src 0
		.amdhsa_exception_fp_ieee_div_zero 0
		.amdhsa_exception_fp_ieee_overflow 0
		.amdhsa_exception_fp_ieee_underflow 0
		.amdhsa_exception_fp_ieee_inexact 0
		.amdhsa_exception_int_div_zero 0
	.end_amdhsa_kernel
	.section	.text._ZL26rocblas_dot_kernel_inc1by2ILb1ELi1024ELi32ELb0E19rocblas_complex_numIfEPKS1_S1_EviT4_llS4_lliPT5_PT3_,"axG",@progbits,_ZL26rocblas_dot_kernel_inc1by2ILb1ELi1024ELi32ELb0E19rocblas_complex_numIfEPKS1_S1_EviT4_llS4_lliPT5_PT3_,comdat
.Lfunc_end76:
	.size	_ZL26rocblas_dot_kernel_inc1by2ILb1ELi1024ELi32ELb0E19rocblas_complex_numIfEPKS1_S1_EviT4_llS4_lliPT5_PT3_, .Lfunc_end76-_ZL26rocblas_dot_kernel_inc1by2ILb1ELi1024ELi32ELb0E19rocblas_complex_numIfEPKS1_S1_EviT4_llS4_lliPT5_PT3_
                                        ; -- End function
	.section	.AMDGPU.csdata,"",@progbits
; Kernel info:
; codeLenInByte = 1036
; NumSgprs: 26
; NumVgprs: 16
; NumAgprs: 0
; TotalNumVgprs: 16
; ScratchSize: 0
; MemoryBound: 0
; FloatMode: 240
; IeeeMode: 1
; LDSByteSize: 512 bytes/workgroup (compile time only)
; SGPRBlocks: 3
; VGPRBlocks: 1
; NumSGPRsForWavesPerEU: 26
; NumVGPRsForWavesPerEU: 16
; AccumOffset: 16
; Occupancy: 8
; WaveLimiterHint : 0
; COMPUTE_PGM_RSRC2:SCRATCH_EN: 0
; COMPUTE_PGM_RSRC2:USER_SGPR: 6
; COMPUTE_PGM_RSRC2:TRAP_HANDLER: 0
; COMPUTE_PGM_RSRC2:TGID_X_EN: 1
; COMPUTE_PGM_RSRC2:TGID_Y_EN: 0
; COMPUTE_PGM_RSRC2:TGID_Z_EN: 1
; COMPUTE_PGM_RSRC2:TIDIG_COMP_CNT: 0
; COMPUTE_PGM_RSRC3_GFX90A:ACCUM_OFFSET: 3
; COMPUTE_PGM_RSRC3_GFX90A:TG_SPLIT: 0
	.section	.text._ZL18rocblas_dot_kernelIiLb1ELi1024ELi32ELb0E19rocblas_complex_numIfEPKS1_S1_EviT5_lT_lS4_lS5_liPT6_PT4_,"axG",@progbits,_ZL18rocblas_dot_kernelIiLb1ELi1024ELi32ELb0E19rocblas_complex_numIfEPKS1_S1_EviT5_lT_lS4_lS5_liPT6_PT4_,comdat
	.globl	_ZL18rocblas_dot_kernelIiLb1ELi1024ELi32ELb0E19rocblas_complex_numIfEPKS1_S1_EviT5_lT_lS4_lS5_liPT6_PT4_ ; -- Begin function _ZL18rocblas_dot_kernelIiLb1ELi1024ELi32ELb0E19rocblas_complex_numIfEPKS1_S1_EviT5_lT_lS4_lS5_liPT6_PT4_
	.p2align	8
	.type	_ZL18rocblas_dot_kernelIiLb1ELi1024ELi32ELb0E19rocblas_complex_numIfEPKS1_S1_EviT5_lT_lS4_lS5_liPT6_PT4_,@function
_ZL18rocblas_dot_kernelIiLb1ELi1024ELi32ELb0E19rocblas_complex_numIfEPKS1_S1_EviT5_lT_lS4_lS5_liPT6_PT4_: ; @_ZL18rocblas_dot_kernelIiLb1ELi1024ELi32ELb0E19rocblas_complex_numIfEPKS1_S1_EviT5_lT_lS4_lS5_liPT6_PT4_
; %bb.0:
	s_load_dword s14, s[4:5], 0x0
	s_load_dwordx2 s[8:9], s[4:5], 0x58
	v_mov_b32_e32 v3, 0
	s_mov_b32 s6, s7
	s_mov_b32 s7, 0
	s_waitcnt lgkmcnt(0)
	v_cmp_gt_i32_e32 vcc, s14, v0
	v_mov_b32_e32 v2, v3
	s_and_saveexec_b64 s[10:11], vcc
	s_cbranch_execz .LBB77_4
; %bb.1:
	s_load_dword s22, s[4:5], 0x38
	s_load_dwordx2 s[12:13], s[4:5], 0x40
	s_load_dword s15, s[4:5], 0x60
	s_load_dwordx4 s[0:3], s[4:5], 0x20
	s_load_dwordx4 s[16:19], s[4:5], 0x8
	s_load_dword s23, s[4:5], 0x18
	s_load_dwordx2 s[20:21], s[4:5], 0x30
	s_waitcnt lgkmcnt(0)
	s_lshl_b32 s15, s15, 10
	s_mul_i32 s1, s1, s6
	s_mul_hi_u32 s4, s0, s6
	s_add_i32 s1, s4, s1
	s_mul_i32 s0, s0, s6
	v_mad_i64_i32 v[2:3], s[4:5], s23, v0, 0
	s_lshl_b64 s[0:1], s[0:1], 3
	s_lshl_b64 s[4:5], s[18:19], 3
	s_add_u32 s4, s16, s4
	s_addc_u32 s5, s17, s5
	s_add_u32 s0, s4, s0
	v_lshlrev_b64 v[2:3], 3, v[2:3]
	s_addc_u32 s1, s5, s1
	v_mov_b32_e32 v5, s1
	v_add_co_u32_e32 v4, vcc, s0, v2
	s_mul_hi_i32 s1, s23, s15
	s_mul_i32 s0, s23, s15
	s_lshl_b64 s[4:5], s[0:1], 3
	s_mul_i32 s0, s13, s6
	s_mul_hi_u32 s1, s12, s6
	v_addc_co_u32_e32 v5, vcc, v5, v3, vcc
	s_add_i32 s1, s1, s0
	s_mul_i32 s0, s12, s6
	v_mad_i64_i32 v[2:3], s[12:13], s22, v0, 0
	s_lshl_b64 s[0:1], s[0:1], 3
	s_lshl_b64 s[12:13], s[20:21], 3
	s_add_u32 s2, s2, s12
	s_addc_u32 s3, s3, s13
	s_add_u32 s0, s2, s0
	v_lshlrev_b64 v[2:3], 3, v[2:3]
	s_addc_u32 s1, s3, s1
	v_mov_b32_e32 v7, s1
	v_add_co_u32_e32 v6, vcc, s0, v2
	s_mul_hi_i32 s1, s22, s15
	s_mul_i32 s0, s22, s15
	s_lshl_b64 s[12:13], s[0:1], 3
	v_mov_b32_e32 v2, 0
	v_or_b32_e32 v1, s15, v0
	v_addc_co_u32_e32 v7, vcc, v7, v3, vcc
	s_mov_b64 s[2:3], 0
	v_mov_b32_e32 v8, s5
	v_mov_b32_e32 v9, s13
	s_mov_b32 s5, s7
	v_mov_b32_e32 v3, v2
.LBB77_2:                               ; =>This Inner Loop Header: Depth=1
	global_load_dwordx2 v[10:11], v[6:7], off
	global_load_dwordx2 v[12:13], v[4:5], off
	v_add_co_u32_e64 v4, s[0:1], s4, v4
	v_addc_co_u32_e64 v5, s[0:1], v5, v8, s[0:1]
	s_add_i32 s13, s5, 1
	v_add_co_u32_e64 v6, s[0:1], s12, v6
	v_addc_co_u32_e64 v7, s[0:1], v7, v9, s[0:1]
	s_cmp_gt_u32 s5, 30
	v_cmp_le_i32_e32 vcc, s14, v1
	s_cselect_b64 s[0:1], -1, 0
	s_or_b64 s[0:1], s[0:1], vcc
	s_and_b64 s[0:1], exec, s[0:1]
	v_add_u32_e32 v1, s15, v1
	s_mov_b32 s5, s13
	s_or_b64 s[2:3], s[0:1], s[2:3]
	s_waitcnt vmcnt(0)
	v_pk_mul_f32 v[14:15], v[12:13], v[10:11] op_sel:[0,1]
	v_pk_fma_f32 v[16:17], v[12:13], v[10:11], v[14:15] op_sel:[0,0,1] op_sel_hi:[1,1,0] neg_lo:[0,0,1] neg_hi:[0,0,1]
	v_pk_fma_f32 v[10:11], v[12:13], v[10:11], v[14:15] op_sel:[0,0,1] op_sel_hi:[1,0,0]
	v_mov_b32_e32 v17, v11
	v_pk_add_f32 v[2:3], v[2:3], v[16:17]
	s_andn2_b64 exec, exec, s[2:3]
	s_cbranch_execnz .LBB77_2
; %bb.3:
	s_or_b64 exec, exec, s[2:3]
.LBB77_4:
	s_or_b64 exec, exec, s[10:11]
	v_and_b32_e32 v6, 63, v0
	v_cmp_gt_u32_e32 vcc, 64, v0
	v_lshlrev_b32_e32 v1, 3, v6
	s_and_saveexec_b64 s[0:1], vcc
	s_cbranch_execz .LBB77_6
; %bb.5:
	v_mov_b32_e32 v4, 0
	v_mov_b32_e32 v5, v4
	ds_write_b64 v1, v[4:5]
.LBB77_6:
	s_or_b64 exec, exec, s[0:1]
	v_mbcnt_lo_u32_b32 v4, -1, 0
	v_mbcnt_hi_u32_b32 v10, -1, v4
	v_and_b32_e32 v11, 63, v10
	v_cmp_gt_u32_e64 s[0:1], 32, v11
	v_cndmask_b32_e64 v4, 0, 1, s[0:1]
	v_lshlrev_b32_e32 v4, 5, v4
	v_add_lshl_u32 v5, v4, v10, 2
	ds_bpermute_b32 v4, v5, v2
	ds_bpermute_b32 v5, v5, v3
	v_cmp_gt_u32_e64 s[0:1], 48, v11
	v_cndmask_b32_e64 v7, 0, 1, s[0:1]
	v_lshlrev_b32_e32 v7, 4, v7
	v_add_lshl_u32 v7, v7, v10, 2
	s_waitcnt lgkmcnt(0)
	v_pk_add_f32 v[2:3], v[2:3], v[4:5]
	ds_bpermute_b32 v4, v7, v2
	ds_bpermute_b32 v5, v7, v3
	v_cmp_gt_u32_e64 s[0:1], 56, v11
	v_cndmask_b32_e64 v7, 0, 1, s[0:1]
	v_lshlrev_b32_e32 v7, 3, v7
	v_add_lshl_u32 v7, v7, v10, 2
	s_waitcnt lgkmcnt(0)
	v_pk_add_f32 v[2:3], v[2:3], v[4:5]
	ds_bpermute_b32 v4, v7, v2
	ds_bpermute_b32 v5, v7, v3
	v_cmp_gt_u32_e64 s[0:1], 60, v11
	v_cndmask_b32_e64 v8, 0, 1, s[0:1]
	v_lshlrev_b32_e32 v8, 2, v8
	v_add_lshl_u32 v8, v8, v10, 2
	s_waitcnt lgkmcnt(0)
	v_pk_add_f32 v[2:3], v[2:3], v[4:5]
	ds_bpermute_b32 v4, v8, v2
	ds_bpermute_b32 v5, v8, v3
	v_cmp_gt_u32_e64 s[0:1], 62, v11
	v_cndmask_b32_e64 v9, 0, 1, s[0:1]
	v_lshlrev_b32_e32 v9, 1, v9
	v_add_lshl_u32 v9, v9, v10, 2
	s_waitcnt lgkmcnt(0)
	v_pk_add_f32 v[2:3], v[2:3], v[4:5]
	ds_bpermute_b32 v4, v9, v2
	ds_bpermute_b32 v5, v9, v3
	v_cmp_ne_u32_e64 s[0:1], 63, v11
	s_waitcnt lgkmcnt(0)
	s_barrier
	v_pk_add_f32 v[2:3], v[2:3], v[4:5]
	v_addc_co_u32_e64 v4, s[0:1], 0, v10, s[0:1]
	v_lshlrev_b32_e32 v10, 2, v4
	ds_bpermute_b32 v4, v10, v2
	ds_bpermute_b32 v5, v10, v3
	v_cmp_eq_u32_e64 s[0:1], 0, v6
	s_and_saveexec_b64 s[2:3], s[0:1]
	s_cbranch_execz .LBB77_8
; %bb.7:
	v_lshrrev_b32_e32 v6, 3, v0
	v_and_b32_e32 v6, 0x78, v6
	s_waitcnt lgkmcnt(0)
	v_pk_add_f32 v[2:3], v[2:3], v[4:5]
	ds_write_b64 v6, v[2:3]
.LBB77_8:
	s_or_b64 exec, exec, s[2:3]
	v_cmp_gt_u32_e64 s[0:1], 16, v0
	v_mov_b32_e32 v2, 0
	v_mov_b32_e32 v3, 0
	s_waitcnt lgkmcnt(0)
	s_barrier
	s_and_saveexec_b64 s[2:3], s[0:1]
	s_cbranch_execnz .LBB77_12
; %bb.9:
	s_or_b64 exec, exec, s[2:3]
	s_and_saveexec_b64 s[0:1], vcc
	s_cbranch_execnz .LBB77_13
.LBB77_10:
	s_or_b64 exec, exec, s[0:1]
	v_cmp_eq_u32_e32 vcc, 0, v0
	s_and_saveexec_b64 s[0:1], vcc
	s_cbranch_execnz .LBB77_14
.LBB77_11:
	s_endpgm
.LBB77_12:
	ds_read_b64 v[2:3], v1
	s_or_b64 exec, exec, s[2:3]
	s_and_saveexec_b64 s[0:1], vcc
	s_cbranch_execz .LBB77_10
.LBB77_13:
	s_waitcnt lgkmcnt(0)
	ds_bpermute_b32 v4, v7, v2
	ds_bpermute_b32 v5, v7, v3
	s_waitcnt lgkmcnt(0)
	v_pk_add_f32 v[2:3], v[2:3], v[4:5]
	ds_bpermute_b32 v4, v8, v2
	ds_bpermute_b32 v5, v8, v3
	s_waitcnt lgkmcnt(0)
	v_pk_add_f32 v[2:3], v[2:3], v[4:5]
	ds_bpermute_b32 v4, v9, v2
	ds_bpermute_b32 v5, v9, v3
	s_waitcnt lgkmcnt(0)
	v_pk_add_f32 v[2:3], v[2:3], v[4:5]
	ds_bpermute_b32 v4, v10, v2
	ds_bpermute_b32 v5, v10, v3
	s_waitcnt lgkmcnt(0)
	v_pk_add_f32 v[2:3], v[2:3], v[4:5]
	s_or_b64 exec, exec, s[0:1]
	v_cmp_eq_u32_e32 vcc, 0, v0
	s_and_saveexec_b64 s[0:1], vcc
	s_cbranch_execz .LBB77_11
.LBB77_14:
	s_lshl_b64 s[0:1], s[6:7], 3
	s_add_u32 s0, s8, s0
	s_addc_u32 s1, s9, s1
	v_mov_b32_e32 v0, 0
	s_waitcnt lgkmcnt(0)
	global_store_dwordx2 v0, v[2:3], s[0:1]
	s_endpgm
	.section	.rodata,"a",@progbits
	.p2align	6, 0x0
	.amdhsa_kernel _ZL18rocblas_dot_kernelIiLb1ELi1024ELi32ELb0E19rocblas_complex_numIfEPKS1_S1_EviT5_lT_lS4_lS5_liPT6_PT4_
		.amdhsa_group_segment_fixed_size 512
		.amdhsa_private_segment_fixed_size 0
		.amdhsa_kernarg_size 352
		.amdhsa_user_sgpr_count 6
		.amdhsa_user_sgpr_private_segment_buffer 1
		.amdhsa_user_sgpr_dispatch_ptr 0
		.amdhsa_user_sgpr_queue_ptr 0
		.amdhsa_user_sgpr_kernarg_segment_ptr 1
		.amdhsa_user_sgpr_dispatch_id 0
		.amdhsa_user_sgpr_flat_scratch_init 0
		.amdhsa_user_sgpr_kernarg_preload_length 0
		.amdhsa_user_sgpr_kernarg_preload_offset 0
		.amdhsa_user_sgpr_private_segment_size 0
		.amdhsa_uses_dynamic_stack 0
		.amdhsa_system_sgpr_private_segment_wavefront_offset 0
		.amdhsa_system_sgpr_workgroup_id_x 1
		.amdhsa_system_sgpr_workgroup_id_y 0
		.amdhsa_system_sgpr_workgroup_id_z 1
		.amdhsa_system_sgpr_workgroup_info 0
		.amdhsa_system_vgpr_workitem_id 0
		.amdhsa_next_free_vgpr 18
		.amdhsa_next_free_sgpr 24
		.amdhsa_accum_offset 20
		.amdhsa_reserve_vcc 1
		.amdhsa_reserve_flat_scratch 0
		.amdhsa_float_round_mode_32 0
		.amdhsa_float_round_mode_16_64 0
		.amdhsa_float_denorm_mode_32 3
		.amdhsa_float_denorm_mode_16_64 3
		.amdhsa_dx10_clamp 1
		.amdhsa_ieee_mode 1
		.amdhsa_fp16_overflow 0
		.amdhsa_tg_split 0
		.amdhsa_exception_fp_ieee_invalid_op 0
		.amdhsa_exception_fp_denorm_src 0
		.amdhsa_exception_fp_ieee_div_zero 0
		.amdhsa_exception_fp_ieee_overflow 0
		.amdhsa_exception_fp_ieee_underflow 0
		.amdhsa_exception_fp_ieee_inexact 0
		.amdhsa_exception_int_div_zero 0
	.end_amdhsa_kernel
	.section	.text._ZL18rocblas_dot_kernelIiLb1ELi1024ELi32ELb0E19rocblas_complex_numIfEPKS1_S1_EviT5_lT_lS4_lS5_liPT6_PT4_,"axG",@progbits,_ZL18rocblas_dot_kernelIiLb1ELi1024ELi32ELb0E19rocblas_complex_numIfEPKS1_S1_EviT5_lT_lS4_lS5_liPT6_PT4_,comdat
.Lfunc_end77:
	.size	_ZL18rocblas_dot_kernelIiLb1ELi1024ELi32ELb0E19rocblas_complex_numIfEPKS1_S1_EviT5_lT_lS4_lS5_liPT6_PT4_, .Lfunc_end77-_ZL18rocblas_dot_kernelIiLb1ELi1024ELi32ELb0E19rocblas_complex_numIfEPKS1_S1_EviT5_lT_lS4_lS5_liPT6_PT4_
                                        ; -- End function
	.section	.AMDGPU.csdata,"",@progbits
; Kernel info:
; codeLenInByte = 1120
; NumSgprs: 28
; NumVgprs: 18
; NumAgprs: 0
; TotalNumVgprs: 18
; ScratchSize: 0
; MemoryBound: 0
; FloatMode: 240
; IeeeMode: 1
; LDSByteSize: 512 bytes/workgroup (compile time only)
; SGPRBlocks: 3
; VGPRBlocks: 2
; NumSGPRsForWavesPerEU: 28
; NumVGPRsForWavesPerEU: 18
; AccumOffset: 20
; Occupancy: 8
; WaveLimiterHint : 0
; COMPUTE_PGM_RSRC2:SCRATCH_EN: 0
; COMPUTE_PGM_RSRC2:USER_SGPR: 6
; COMPUTE_PGM_RSRC2:TRAP_HANDLER: 0
; COMPUTE_PGM_RSRC2:TGID_X_EN: 1
; COMPUTE_PGM_RSRC2:TGID_Y_EN: 0
; COMPUTE_PGM_RSRC2:TGID_Z_EN: 1
; COMPUTE_PGM_RSRC2:TIDIG_COMP_CNT: 0
; COMPUTE_PGM_RSRC3_GFX90A:ACCUM_OFFSET: 4
; COMPUTE_PGM_RSRC3_GFX90A:TG_SPLIT: 0
	.section	.text._ZL24rocblas_dot_kernel_magsqIiLb1ELi1024ELi32ELb0E19rocblas_complex_numIfEPKS1_S1_EviT5_lT_liPT6_PT4_,"axG",@progbits,_ZL24rocblas_dot_kernel_magsqIiLb1ELi1024ELi32ELb0E19rocblas_complex_numIfEPKS1_S1_EviT5_lT_liPT6_PT4_,comdat
	.globl	_ZL24rocblas_dot_kernel_magsqIiLb1ELi1024ELi32ELb0E19rocblas_complex_numIfEPKS1_S1_EviT5_lT_liPT6_PT4_ ; -- Begin function _ZL24rocblas_dot_kernel_magsqIiLb1ELi1024ELi32ELb0E19rocblas_complex_numIfEPKS1_S1_EviT5_lT_liPT6_PT4_
	.p2align	8
	.type	_ZL24rocblas_dot_kernel_magsqIiLb1ELi1024ELi32ELb0E19rocblas_complex_numIfEPKS1_S1_EviT5_lT_liPT6_PT4_,@function
_ZL24rocblas_dot_kernel_magsqIiLb1ELi1024ELi32ELb0E19rocblas_complex_numIfEPKS1_S1_EviT5_lT_liPT6_PT4_: ; @_ZL24rocblas_dot_kernel_magsqIiLb1ELi1024ELi32ELb0E19rocblas_complex_numIfEPKS1_S1_EviT5_lT_liPT6_PT4_
; %bb.0:
	s_mov_b32 s2, s7
	s_load_dword s12, s[4:5], 0x0
	s_load_dwordx2 s[6:7], s[4:5], 0x38
	v_mov_b32_e32 v3, 0
	s_mov_b32 s3, 0
	v_mov_b32_e32 v2, v3
	s_waitcnt lgkmcnt(0)
	v_cmp_gt_i32_e32 vcc, s12, v0
	s_and_saveexec_b64 s[8:9], vcc
	s_cbranch_execz .LBB78_4
; %bb.1:
	s_load_dword s10, s[4:5], 0x40
	s_load_dwordx2 s[0:1], s[4:5], 0x20
	s_load_dwordx4 s[16:19], s[4:5], 0x8
	s_load_dword s11, s[4:5], 0x18
	s_waitcnt lgkmcnt(0)
	s_lshl_b32 s13, s10, 10
	s_mul_i32 s1, s1, s2
	s_mul_hi_u32 s4, s0, s2
	s_add_i32 s1, s4, s1
	s_mul_i32 s0, s0, s2
	v_mad_i64_i32 v[2:3], s[4:5], s11, v0, 0
	s_lshl_b64 s[0:1], s[0:1], 3
	s_lshl_b64 s[4:5], s[18:19], 3
	s_add_u32 s4, s16, s4
	s_addc_u32 s5, s17, s5
	s_add_u32 s0, s4, s0
	v_lshlrev_b64 v[2:3], 3, v[2:3]
	s_addc_u32 s1, s5, s1
	v_mov_b32_e32 v5, s1
	v_add_co_u32_e32 v4, vcc, s0, v2
	s_mul_hi_i32 s1, s11, s13
	s_mul_i32 s0, s11, s13
	s_lshl_b64 s[10:11], s[0:1], 3
	v_mov_b32_e32 v2, 0
	v_or_b32_e32 v1, s13, v0
	v_addc_co_u32_e32 v5, vcc, v5, v3, vcc
	s_mov_b64 s[4:5], 0
	v_mov_b32_e32 v6, s11
	s_mov_b32 s11, s3
	v_mov_b32_e32 v3, v2
.LBB78_2:                               ; =>This Inner Loop Header: Depth=1
	global_load_dwordx2 v[8:9], v[4:5], off
	s_add_i32 s14, s11, 1
	v_add_co_u32_e64 v4, s[0:1], s10, v4
	v_addc_co_u32_e64 v5, s[0:1], v5, v6, s[0:1]
	s_cmp_gt_u32 s11, 30
	v_cmp_le_i32_e32 vcc, s12, v1
	s_cselect_b64 s[0:1], -1, 0
	s_or_b64 s[0:1], s[0:1], vcc
	s_and_b64 s[0:1], exec, s[0:1]
	v_add_u32_e32 v1, s13, v1
	s_mov_b32 s11, s14
	s_or_b64 s[4:5], s[0:1], s[4:5]
	s_waitcnt vmcnt(0)
	v_pk_mul_f32 v[10:11], v[8:9], v[8:9]
	v_pk_mul_f32 v[12:13], v[8:9], v[8:9] op_sel_hi:[0,1]
	v_mov_b32_e32 v10, v11
	v_mov_b32_e32 v11, v13
	v_pk_add_f32 v[12:13], v[12:13], v[12:13]
	v_pk_fma_f32 v[8:9], v[8:9], v[8:9], v[10:11] op_sel_hi:[0,1,1] neg_lo:[0,0,1] neg_hi:[0,0,1]
	v_mov_b32_e32 v9, v13
	v_pk_add_f32 v[2:3], v[2:3], v[8:9]
	s_andn2_b64 exec, exec, s[4:5]
	s_cbranch_execnz .LBB78_2
; %bb.3:
	s_or_b64 exec, exec, s[4:5]
.LBB78_4:
	s_or_b64 exec, exec, s[8:9]
	v_and_b32_e32 v6, 63, v0
	v_cmp_gt_u32_e32 vcc, 64, v0
	v_lshlrev_b32_e32 v1, 3, v6
	s_and_saveexec_b64 s[0:1], vcc
	s_cbranch_execz .LBB78_6
; %bb.5:
	v_mov_b32_e32 v4, 0
	v_mov_b32_e32 v5, v4
	ds_write_b64 v1, v[4:5]
.LBB78_6:
	s_or_b64 exec, exec, s[0:1]
	v_mbcnt_lo_u32_b32 v4, -1, 0
	v_mbcnt_hi_u32_b32 v10, -1, v4
	v_and_b32_e32 v11, 63, v10
	v_cmp_gt_u32_e64 s[0:1], 32, v11
	v_cndmask_b32_e64 v4, 0, 1, s[0:1]
	v_lshlrev_b32_e32 v4, 5, v4
	v_add_lshl_u32 v5, v4, v10, 2
	ds_bpermute_b32 v4, v5, v2
	ds_bpermute_b32 v5, v5, v3
	v_cmp_gt_u32_e64 s[0:1], 48, v11
	v_cndmask_b32_e64 v7, 0, 1, s[0:1]
	v_lshlrev_b32_e32 v7, 4, v7
	v_add_lshl_u32 v7, v7, v10, 2
	s_waitcnt lgkmcnt(0)
	v_pk_add_f32 v[2:3], v[2:3], v[4:5]
	ds_bpermute_b32 v4, v7, v2
	ds_bpermute_b32 v5, v7, v3
	v_cmp_gt_u32_e64 s[0:1], 56, v11
	v_cndmask_b32_e64 v7, 0, 1, s[0:1]
	v_lshlrev_b32_e32 v7, 3, v7
	v_add_lshl_u32 v7, v7, v10, 2
	s_waitcnt lgkmcnt(0)
	v_pk_add_f32 v[2:3], v[2:3], v[4:5]
	;; [unrolled: 8-line block ×4, first 2 shown]
	ds_bpermute_b32 v4, v9, v2
	ds_bpermute_b32 v5, v9, v3
	v_cmp_ne_u32_e64 s[0:1], 63, v11
	s_waitcnt lgkmcnt(0)
	s_barrier
	v_pk_add_f32 v[2:3], v[2:3], v[4:5]
	v_addc_co_u32_e64 v4, s[0:1], 0, v10, s[0:1]
	v_lshlrev_b32_e32 v10, 2, v4
	ds_bpermute_b32 v4, v10, v2
	ds_bpermute_b32 v5, v10, v3
	v_cmp_eq_u32_e64 s[0:1], 0, v6
	s_and_saveexec_b64 s[4:5], s[0:1]
	s_cbranch_execz .LBB78_8
; %bb.7:
	v_lshrrev_b32_e32 v6, 3, v0
	v_and_b32_e32 v6, 0x78, v6
	s_waitcnt lgkmcnt(0)
	v_pk_add_f32 v[2:3], v[2:3], v[4:5]
	ds_write_b64 v6, v[2:3]
.LBB78_8:
	s_or_b64 exec, exec, s[4:5]
	v_cmp_gt_u32_e64 s[0:1], 16, v0
	v_mov_b32_e32 v2, 0
	v_mov_b32_e32 v3, 0
	s_waitcnt lgkmcnt(0)
	s_barrier
	s_and_saveexec_b64 s[4:5], s[0:1]
	s_cbranch_execnz .LBB78_12
; %bb.9:
	s_or_b64 exec, exec, s[4:5]
	s_and_saveexec_b64 s[0:1], vcc
	s_cbranch_execnz .LBB78_13
.LBB78_10:
	s_or_b64 exec, exec, s[0:1]
	v_cmp_eq_u32_e32 vcc, 0, v0
	s_and_saveexec_b64 s[0:1], vcc
	s_cbranch_execnz .LBB78_14
.LBB78_11:
	s_endpgm
.LBB78_12:
	ds_read_b64 v[2:3], v1
	s_or_b64 exec, exec, s[4:5]
	s_and_saveexec_b64 s[0:1], vcc
	s_cbranch_execz .LBB78_10
.LBB78_13:
	s_waitcnt lgkmcnt(0)
	ds_bpermute_b32 v4, v7, v2
	ds_bpermute_b32 v5, v7, v3
	s_waitcnt lgkmcnt(0)
	v_pk_add_f32 v[2:3], v[2:3], v[4:5]
	ds_bpermute_b32 v4, v8, v2
	ds_bpermute_b32 v5, v8, v3
	s_waitcnt lgkmcnt(0)
	v_pk_add_f32 v[2:3], v[2:3], v[4:5]
	;; [unrolled: 4-line block ×4, first 2 shown]
	s_or_b64 exec, exec, s[0:1]
	v_cmp_eq_u32_e32 vcc, 0, v0
	s_and_saveexec_b64 s[0:1], vcc
	s_cbranch_execz .LBB78_11
.LBB78_14:
	s_lshl_b64 s[0:1], s[2:3], 3
	s_add_u32 s0, s6, s0
	s_addc_u32 s1, s7, s1
	v_mov_b32_e32 v0, 0
	s_waitcnt lgkmcnt(0)
	global_store_dwordx2 v0, v[2:3], s[0:1]
	s_endpgm
	.section	.rodata,"a",@progbits
	.p2align	6, 0x0
	.amdhsa_kernel _ZL24rocblas_dot_kernel_magsqIiLb1ELi1024ELi32ELb0E19rocblas_complex_numIfEPKS1_S1_EviT5_lT_liPT6_PT4_
		.amdhsa_group_segment_fixed_size 512
		.amdhsa_private_segment_fixed_size 0
		.amdhsa_kernarg_size 320
		.amdhsa_user_sgpr_count 6
		.amdhsa_user_sgpr_private_segment_buffer 1
		.amdhsa_user_sgpr_dispatch_ptr 0
		.amdhsa_user_sgpr_queue_ptr 0
		.amdhsa_user_sgpr_kernarg_segment_ptr 1
		.amdhsa_user_sgpr_dispatch_id 0
		.amdhsa_user_sgpr_flat_scratch_init 0
		.amdhsa_user_sgpr_kernarg_preload_length 0
		.amdhsa_user_sgpr_kernarg_preload_offset 0
		.amdhsa_user_sgpr_private_segment_size 0
		.amdhsa_uses_dynamic_stack 0
		.amdhsa_system_sgpr_private_segment_wavefront_offset 0
		.amdhsa_system_sgpr_workgroup_id_x 1
		.amdhsa_system_sgpr_workgroup_id_y 0
		.amdhsa_system_sgpr_workgroup_id_z 1
		.amdhsa_system_sgpr_workgroup_info 0
		.amdhsa_system_vgpr_workitem_id 0
		.amdhsa_next_free_vgpr 14
		.amdhsa_next_free_sgpr 20
		.amdhsa_accum_offset 16
		.amdhsa_reserve_vcc 1
		.amdhsa_reserve_flat_scratch 0
		.amdhsa_float_round_mode_32 0
		.amdhsa_float_round_mode_16_64 0
		.amdhsa_float_denorm_mode_32 3
		.amdhsa_float_denorm_mode_16_64 3
		.amdhsa_dx10_clamp 1
		.amdhsa_ieee_mode 1
		.amdhsa_fp16_overflow 0
		.amdhsa_tg_split 0
		.amdhsa_exception_fp_ieee_invalid_op 0
		.amdhsa_exception_fp_denorm_src 0
		.amdhsa_exception_fp_ieee_div_zero 0
		.amdhsa_exception_fp_ieee_overflow 0
		.amdhsa_exception_fp_ieee_underflow 0
		.amdhsa_exception_fp_ieee_inexact 0
		.amdhsa_exception_int_div_zero 0
	.end_amdhsa_kernel
	.section	.text._ZL24rocblas_dot_kernel_magsqIiLb1ELi1024ELi32ELb0E19rocblas_complex_numIfEPKS1_S1_EviT5_lT_liPT6_PT4_,"axG",@progbits,_ZL24rocblas_dot_kernel_magsqIiLb1ELi1024ELi32ELb0E19rocblas_complex_numIfEPKS1_S1_EviT5_lT_liPT6_PT4_,comdat
.Lfunc_end78:
	.size	_ZL24rocblas_dot_kernel_magsqIiLb1ELi1024ELi32ELb0E19rocblas_complex_numIfEPKS1_S1_EviT5_lT_liPT6_PT4_, .Lfunc_end78-_ZL24rocblas_dot_kernel_magsqIiLb1ELi1024ELi32ELb0E19rocblas_complex_numIfEPKS1_S1_EviT5_lT_liPT6_PT4_
                                        ; -- End function
	.section	.AMDGPU.csdata,"",@progbits
; Kernel info:
; codeLenInByte = 1004
; NumSgprs: 24
; NumVgprs: 14
; NumAgprs: 0
; TotalNumVgprs: 14
; ScratchSize: 0
; MemoryBound: 0
; FloatMode: 240
; IeeeMode: 1
; LDSByteSize: 512 bytes/workgroup (compile time only)
; SGPRBlocks: 2
; VGPRBlocks: 1
; NumSGPRsForWavesPerEU: 24
; NumVGPRsForWavesPerEU: 14
; AccumOffset: 16
; Occupancy: 8
; WaveLimiterHint : 0
; COMPUTE_PGM_RSRC2:SCRATCH_EN: 0
; COMPUTE_PGM_RSRC2:USER_SGPR: 6
; COMPUTE_PGM_RSRC2:TRAP_HANDLER: 0
; COMPUTE_PGM_RSRC2:TGID_X_EN: 1
; COMPUTE_PGM_RSRC2:TGID_Y_EN: 0
; COMPUTE_PGM_RSRC2:TGID_Z_EN: 1
; COMPUTE_PGM_RSRC2:TIDIG_COMP_CNT: 0
; COMPUTE_PGM_RSRC3_GFX90A:ACCUM_OFFSET: 3
; COMPUTE_PGM_RSRC3_GFX90A:TG_SPLIT: 0
	.section	.text._ZL38rocblas_dot_kernel_gfx942_float_doubleIiLi1024E19rocblas_complex_numIfEPKS1_S1_EviT2_lT_lS4_lS5_lPT3_PT1_,"axG",@progbits,_ZL38rocblas_dot_kernel_gfx942_float_doubleIiLi1024E19rocblas_complex_numIfEPKS1_S1_EviT2_lT_lS4_lS5_lPT3_PT1_,comdat
	.globl	_ZL38rocblas_dot_kernel_gfx942_float_doubleIiLi1024E19rocblas_complex_numIfEPKS1_S1_EviT2_lT_lS4_lS5_lPT3_PT1_ ; -- Begin function _ZL38rocblas_dot_kernel_gfx942_float_doubleIiLi1024E19rocblas_complex_numIfEPKS1_S1_EviT2_lT_lS4_lS5_lPT3_PT1_
	.p2align	8
	.type	_ZL38rocblas_dot_kernel_gfx942_float_doubleIiLi1024E19rocblas_complex_numIfEPKS1_S1_EviT2_lT_lS4_lS5_lPT3_PT1_,@function
_ZL38rocblas_dot_kernel_gfx942_float_doubleIiLi1024E19rocblas_complex_numIfEPKS1_S1_EviT2_lT_lS4_lS5_lPT3_PT1_: ; @_ZL38rocblas_dot_kernel_gfx942_float_doubleIiLi1024E19rocblas_complex_numIfEPKS1_S1_EviT2_lT_lS4_lS5_lPT3_PT1_
; %bb.0:
	s_endpgm
	.section	.rodata,"a",@progbits
	.p2align	6, 0x0
	.amdhsa_kernel _ZL38rocblas_dot_kernel_gfx942_float_doubleIiLi1024E19rocblas_complex_numIfEPKS1_S1_EviT2_lT_lS4_lS5_lPT3_PT1_
		.amdhsa_group_segment_fixed_size 0
		.amdhsa_private_segment_fixed_size 0
		.amdhsa_kernarg_size 88
		.amdhsa_user_sgpr_count 6
		.amdhsa_user_sgpr_private_segment_buffer 1
		.amdhsa_user_sgpr_dispatch_ptr 0
		.amdhsa_user_sgpr_queue_ptr 0
		.amdhsa_user_sgpr_kernarg_segment_ptr 1
		.amdhsa_user_sgpr_dispatch_id 0
		.amdhsa_user_sgpr_flat_scratch_init 0
		.amdhsa_user_sgpr_kernarg_preload_length 0
		.amdhsa_user_sgpr_kernarg_preload_offset 0
		.amdhsa_user_sgpr_private_segment_size 0
		.amdhsa_uses_dynamic_stack 0
		.amdhsa_system_sgpr_private_segment_wavefront_offset 0
		.amdhsa_system_sgpr_workgroup_id_x 1
		.amdhsa_system_sgpr_workgroup_id_y 0
		.amdhsa_system_sgpr_workgroup_id_z 0
		.amdhsa_system_sgpr_workgroup_info 0
		.amdhsa_system_vgpr_workitem_id 0
		.amdhsa_next_free_vgpr 1
		.amdhsa_next_free_sgpr 0
		.amdhsa_accum_offset 4
		.amdhsa_reserve_vcc 0
		.amdhsa_reserve_flat_scratch 0
		.amdhsa_float_round_mode_32 0
		.amdhsa_float_round_mode_16_64 0
		.amdhsa_float_denorm_mode_32 3
		.amdhsa_float_denorm_mode_16_64 3
		.amdhsa_dx10_clamp 1
		.amdhsa_ieee_mode 1
		.amdhsa_fp16_overflow 0
		.amdhsa_tg_split 0
		.amdhsa_exception_fp_ieee_invalid_op 0
		.amdhsa_exception_fp_denorm_src 0
		.amdhsa_exception_fp_ieee_div_zero 0
		.amdhsa_exception_fp_ieee_overflow 0
		.amdhsa_exception_fp_ieee_underflow 0
		.amdhsa_exception_fp_ieee_inexact 0
		.amdhsa_exception_int_div_zero 0
	.end_amdhsa_kernel
	.section	.text._ZL38rocblas_dot_kernel_gfx942_float_doubleIiLi1024E19rocblas_complex_numIfEPKS1_S1_EviT2_lT_lS4_lS5_lPT3_PT1_,"axG",@progbits,_ZL38rocblas_dot_kernel_gfx942_float_doubleIiLi1024E19rocblas_complex_numIfEPKS1_S1_EviT2_lT_lS4_lS5_lPT3_PT1_,comdat
.Lfunc_end79:
	.size	_ZL38rocblas_dot_kernel_gfx942_float_doubleIiLi1024E19rocblas_complex_numIfEPKS1_S1_EviT2_lT_lS4_lS5_lPT3_PT1_, .Lfunc_end79-_ZL38rocblas_dot_kernel_gfx942_float_doubleIiLi1024E19rocblas_complex_numIfEPKS1_S1_EviT2_lT_lS4_lS5_lPT3_PT1_
                                        ; -- End function
	.section	.AMDGPU.csdata,"",@progbits
; Kernel info:
; codeLenInByte = 4
; NumSgprs: 4
; NumVgprs: 0
; NumAgprs: 0
; TotalNumVgprs: 0
; ScratchSize: 0
; MemoryBound: 0
; FloatMode: 240
; IeeeMode: 1
; LDSByteSize: 0 bytes/workgroup (compile time only)
; SGPRBlocks: 0
; VGPRBlocks: 0
; NumSGPRsForWavesPerEU: 4
; NumVGPRsForWavesPerEU: 1
; AccumOffset: 4
; Occupancy: 8
; WaveLimiterHint : 0
; COMPUTE_PGM_RSRC2:SCRATCH_EN: 0
; COMPUTE_PGM_RSRC2:USER_SGPR: 6
; COMPUTE_PGM_RSRC2:TRAP_HANDLER: 0
; COMPUTE_PGM_RSRC2:TGID_X_EN: 1
; COMPUTE_PGM_RSRC2:TGID_Y_EN: 0
; COMPUTE_PGM_RSRC2:TGID_Z_EN: 0
; COMPUTE_PGM_RSRC2:TIDIG_COMP_CNT: 0
; COMPUTE_PGM_RSRC3_GFX90A:ACCUM_OFFSET: 0
; COMPUTE_PGM_RSRC3_GFX90A:TG_SPLIT: 0
	.section	.text._ZL30rocblas_reduction_kernel_part2ILi1024ELi4E25rocblas_finalize_identity19rocblas_complex_numIfES2_EviPT2_PT3_,"axG",@progbits,_ZL30rocblas_reduction_kernel_part2ILi1024ELi4E25rocblas_finalize_identity19rocblas_complex_numIfES2_EviPT2_PT3_,comdat
	.globl	_ZL30rocblas_reduction_kernel_part2ILi1024ELi4E25rocblas_finalize_identity19rocblas_complex_numIfES2_EviPT2_PT3_ ; -- Begin function _ZL30rocblas_reduction_kernel_part2ILi1024ELi4E25rocblas_finalize_identity19rocblas_complex_numIfES2_EviPT2_PT3_
	.p2align	8
	.type	_ZL30rocblas_reduction_kernel_part2ILi1024ELi4E25rocblas_finalize_identity19rocblas_complex_numIfES2_EviPT2_PT3_,@function
_ZL30rocblas_reduction_kernel_part2ILi1024ELi4E25rocblas_finalize_identity19rocblas_complex_numIfES2_EviPT2_PT3_: ; @_ZL30rocblas_reduction_kernel_part2ILi1024ELi4E25rocblas_finalize_identity19rocblas_complex_numIfES2_EviPT2_PT3_
; %bb.0:
	s_load_dword s12, s[4:5], 0x0
	s_load_dwordx4 s[0:3], s[4:5], 0x8
	s_mov_b32 s7, 0
	v_lshlrev_b32_e32 v1, 2, v0
	s_mov_b32 s9, s7
	s_waitcnt lgkmcnt(0)
	s_ashr_i32 s8, s12, 31
	s_mul_i32 s5, s8, s6
	s_lshr_b32 s8, s8, 30
	s_add_i32 s8, s12, s8
	s_mul_hi_u32 s4, s12, s6
	s_and_b32 s13, s8, -4
	s_mov_b32 s8, s7
	s_add_i32 s5, s4, s5
	s_mul_i32 s4, s12, s6
	v_cmp_gt_i32_e32 vcc, s13, v1
	v_pk_mov_b32 v[2:3], s[8:9], s[8:9] op_sel:[0,1]
	s_and_saveexec_b64 s[8:9], vcc
	s_cbranch_execz .LBB80_4
; %bb.1:
	s_lshl_b64 s[10:11], s[4:5], 3
	s_add_u32 s10, s0, s10
	v_lshlrev_b32_e32 v2, 5, v0
	s_addc_u32 s11, s1, s11
	v_mov_b32_e32 v3, s11
	v_add_co_u32_e32 v2, vcc, s10, v2
	v_addc_co_u32_e32 v3, vcc, 0, v3, vcc
	v_add_co_u32_e32 v4, vcc, 16, v2
	v_mov_b32_e32 v2, 0
	v_addc_co_u32_e32 v5, vcc, 0, v3, vcc
	s_mov_b64 s[10:11], 0
	v_mov_b32_e32 v3, v2
.LBB80_2:                               ; =>This Inner Loop Header: Depth=1
	global_load_dwordx4 v[6:9], v[4:5], off offset:-16
	global_load_dwordx4 v[10:13], v[4:5], off
	v_add_co_u32_e32 v4, vcc, 0x8000, v4
	v_add_u32_e32 v1, 0x1000, v1
	v_addc_co_u32_e32 v5, vcc, 0, v5, vcc
	v_cmp_le_i32_e32 vcc, s13, v1
	s_or_b64 s[10:11], vcc, s[10:11]
	s_waitcnt vmcnt(1)
	v_pk_add_f32 v[2:3], v[2:3], v[6:7]
	v_pk_add_f32 v[2:3], v[2:3], v[8:9]
	s_waitcnt vmcnt(0)
	v_pk_add_f32 v[2:3], v[2:3], v[10:11]
	v_pk_add_f32 v[2:3], v[2:3], v[12:13]
	s_andn2_b64 exec, exec, s[10:11]
	s_cbranch_execnz .LBB80_2
; %bb.3:
	s_or_b64 exec, exec, s[10:11]
.LBB80_4:
	s_or_b64 exec, exec, s[8:9]
	s_sub_i32 s8, s12, s13
	v_cmp_gt_u32_e32 vcc, s8, v0
	s_and_saveexec_b64 s[8:9], vcc
	s_cbranch_execz .LBB80_6
; %bb.5:
	s_lshl_b64 s[4:5], s[4:5], 3
	s_add_u32 s0, s0, s4
	v_xad_u32 v4, v0, -1, s12
	v_mov_b32_e32 v5, 0
	s_addc_u32 s1, s1, s5
	v_lshlrev_b64 v[4:5], 3, v[4:5]
	v_mov_b32_e32 v1, s1
	v_add_co_u32_e32 v4, vcc, s0, v4
	v_addc_co_u32_e32 v5, vcc, v1, v5, vcc
	global_load_dwordx2 v[4:5], v[4:5], off
	s_waitcnt vmcnt(0)
	v_pk_add_f32 v[2:3], v[2:3], v[4:5]
.LBB80_6:
	s_or_b64 exec, exec, s[8:9]
	v_and_b32_e32 v6, 63, v0
	v_cmp_gt_u32_e32 vcc, 64, v0
	v_lshlrev_b32_e32 v1, 3, v6
	s_and_saveexec_b64 s[0:1], vcc
	s_cbranch_execz .LBB80_8
; %bb.7:
	v_mov_b32_e32 v4, 0
	v_mov_b32_e32 v5, v4
	ds_write_b64 v1, v[4:5]
.LBB80_8:
	s_or_b64 exec, exec, s[0:1]
	v_mbcnt_lo_u32_b32 v4, -1, 0
	v_mbcnt_hi_u32_b32 v10, -1, v4
	v_and_b32_e32 v11, 63, v10
	v_cmp_gt_u32_e64 s[0:1], 32, v11
	v_cndmask_b32_e64 v4, 0, 1, s[0:1]
	v_lshlrev_b32_e32 v4, 5, v4
	v_add_lshl_u32 v5, v4, v10, 2
	ds_bpermute_b32 v4, v5, v2
	ds_bpermute_b32 v5, v5, v3
	v_cmp_gt_u32_e64 s[0:1], 48, v11
	v_cndmask_b32_e64 v7, 0, 1, s[0:1]
	v_lshlrev_b32_e32 v7, 4, v7
	v_add_lshl_u32 v7, v7, v10, 2
	s_waitcnt lgkmcnt(0)
	v_pk_add_f32 v[2:3], v[2:3], v[4:5]
	ds_bpermute_b32 v4, v7, v2
	ds_bpermute_b32 v5, v7, v3
	v_cmp_gt_u32_e64 s[0:1], 56, v11
	v_cndmask_b32_e64 v7, 0, 1, s[0:1]
	v_lshlrev_b32_e32 v7, 3, v7
	v_add_lshl_u32 v7, v7, v10, 2
	s_waitcnt lgkmcnt(0)
	v_pk_add_f32 v[2:3], v[2:3], v[4:5]
	ds_bpermute_b32 v4, v7, v2
	ds_bpermute_b32 v5, v7, v3
	v_cmp_gt_u32_e64 s[0:1], 60, v11
	v_cndmask_b32_e64 v8, 0, 1, s[0:1]
	v_lshlrev_b32_e32 v8, 2, v8
	v_add_lshl_u32 v8, v8, v10, 2
	s_waitcnt lgkmcnt(0)
	v_pk_add_f32 v[2:3], v[2:3], v[4:5]
	ds_bpermute_b32 v4, v8, v2
	ds_bpermute_b32 v5, v8, v3
	v_cmp_gt_u32_e64 s[0:1], 62, v11
	v_cndmask_b32_e64 v9, 0, 1, s[0:1]
	v_lshlrev_b32_e32 v9, 1, v9
	v_add_lshl_u32 v9, v9, v10, 2
	s_waitcnt lgkmcnt(0)
	v_pk_add_f32 v[2:3], v[2:3], v[4:5]
	ds_bpermute_b32 v4, v9, v2
	ds_bpermute_b32 v5, v9, v3
	v_cmp_ne_u32_e64 s[0:1], 63, v11
	s_waitcnt lgkmcnt(0)
	s_barrier
	v_pk_add_f32 v[2:3], v[2:3], v[4:5]
	v_addc_co_u32_e64 v4, s[0:1], 0, v10, s[0:1]
	v_lshlrev_b32_e32 v10, 2, v4
	ds_bpermute_b32 v4, v10, v2
	ds_bpermute_b32 v5, v10, v3
	v_cmp_eq_u32_e64 s[0:1], 0, v6
	s_and_saveexec_b64 s[4:5], s[0:1]
	s_cbranch_execz .LBB80_10
; %bb.9:
	v_lshrrev_b32_e32 v6, 3, v0
	v_and_b32_e32 v6, 0x78, v6
	s_waitcnt lgkmcnt(0)
	v_pk_add_f32 v[2:3], v[2:3], v[4:5]
	ds_write_b64 v6, v[2:3]
.LBB80_10:
	s_or_b64 exec, exec, s[4:5]
	v_cmp_gt_u32_e64 s[0:1], 16, v0
	v_mov_b32_e32 v2, 0
	v_mov_b32_e32 v3, 0
	s_waitcnt lgkmcnt(0)
	s_barrier
	s_and_saveexec_b64 s[4:5], s[0:1]
	s_cbranch_execnz .LBB80_14
; %bb.11:
	s_or_b64 exec, exec, s[4:5]
	s_and_saveexec_b64 s[0:1], vcc
	s_cbranch_execnz .LBB80_15
.LBB80_12:
	s_or_b64 exec, exec, s[0:1]
	v_cmp_eq_u32_e32 vcc, 0, v0
	s_and_saveexec_b64 s[0:1], vcc
	s_cbranch_execnz .LBB80_16
.LBB80_13:
	s_endpgm
.LBB80_14:
	ds_read_b64 v[2:3], v1
	s_or_b64 exec, exec, s[4:5]
	s_and_saveexec_b64 s[0:1], vcc
	s_cbranch_execz .LBB80_12
.LBB80_15:
	s_waitcnt lgkmcnt(0)
	ds_bpermute_b32 v4, v7, v2
	ds_bpermute_b32 v5, v7, v3
	s_waitcnt lgkmcnt(0)
	v_pk_add_f32 v[2:3], v[2:3], v[4:5]
	ds_bpermute_b32 v4, v8, v2
	ds_bpermute_b32 v5, v8, v3
	s_waitcnt lgkmcnt(0)
	v_pk_add_f32 v[2:3], v[2:3], v[4:5]
	ds_bpermute_b32 v4, v9, v2
	ds_bpermute_b32 v5, v9, v3
	s_waitcnt lgkmcnt(0)
	v_pk_add_f32 v[2:3], v[2:3], v[4:5]
	ds_bpermute_b32 v4, v10, v2
	ds_bpermute_b32 v5, v10, v3
	s_waitcnt lgkmcnt(0)
	v_pk_add_f32 v[2:3], v[2:3], v[4:5]
	s_or_b64 exec, exec, s[0:1]
	v_cmp_eq_u32_e32 vcc, 0, v0
	s_and_saveexec_b64 s[0:1], vcc
	s_cbranch_execz .LBB80_13
.LBB80_16:
	s_lshl_b64 s[0:1], s[6:7], 3
	s_add_u32 s0, s2, s0
	s_addc_u32 s1, s3, s1
	v_mov_b32_e32 v0, 0
	s_waitcnt lgkmcnt(0)
	global_store_dwordx2 v0, v[2:3], s[0:1]
	s_endpgm
	.section	.rodata,"a",@progbits
	.p2align	6, 0x0
	.amdhsa_kernel _ZL30rocblas_reduction_kernel_part2ILi1024ELi4E25rocblas_finalize_identity19rocblas_complex_numIfES2_EviPT2_PT3_
		.amdhsa_group_segment_fixed_size 512
		.amdhsa_private_segment_fixed_size 0
		.amdhsa_kernarg_size 24
		.amdhsa_user_sgpr_count 6
		.amdhsa_user_sgpr_private_segment_buffer 1
		.amdhsa_user_sgpr_dispatch_ptr 0
		.amdhsa_user_sgpr_queue_ptr 0
		.amdhsa_user_sgpr_kernarg_segment_ptr 1
		.amdhsa_user_sgpr_dispatch_id 0
		.amdhsa_user_sgpr_flat_scratch_init 0
		.amdhsa_user_sgpr_kernarg_preload_length 0
		.amdhsa_user_sgpr_kernarg_preload_offset 0
		.amdhsa_user_sgpr_private_segment_size 0
		.amdhsa_uses_dynamic_stack 0
		.amdhsa_system_sgpr_private_segment_wavefront_offset 0
		.amdhsa_system_sgpr_workgroup_id_x 1
		.amdhsa_system_sgpr_workgroup_id_y 0
		.amdhsa_system_sgpr_workgroup_id_z 0
		.amdhsa_system_sgpr_workgroup_info 0
		.amdhsa_system_vgpr_workitem_id 0
		.amdhsa_next_free_vgpr 14
		.amdhsa_next_free_sgpr 14
		.amdhsa_accum_offset 16
		.amdhsa_reserve_vcc 1
		.amdhsa_reserve_flat_scratch 0
		.amdhsa_float_round_mode_32 0
		.amdhsa_float_round_mode_16_64 0
		.amdhsa_float_denorm_mode_32 3
		.amdhsa_float_denorm_mode_16_64 3
		.amdhsa_dx10_clamp 1
		.amdhsa_ieee_mode 1
		.amdhsa_fp16_overflow 0
		.amdhsa_tg_split 0
		.amdhsa_exception_fp_ieee_invalid_op 0
		.amdhsa_exception_fp_denorm_src 0
		.amdhsa_exception_fp_ieee_div_zero 0
		.amdhsa_exception_fp_ieee_overflow 0
		.amdhsa_exception_fp_ieee_underflow 0
		.amdhsa_exception_fp_ieee_inexact 0
		.amdhsa_exception_int_div_zero 0
	.end_amdhsa_kernel
	.section	.text._ZL30rocblas_reduction_kernel_part2ILi1024ELi4E25rocblas_finalize_identity19rocblas_complex_numIfES2_EviPT2_PT3_,"axG",@progbits,_ZL30rocblas_reduction_kernel_part2ILi1024ELi4E25rocblas_finalize_identity19rocblas_complex_numIfES2_EviPT2_PT3_,comdat
.Lfunc_end80:
	.size	_ZL30rocblas_reduction_kernel_part2ILi1024ELi4E25rocblas_finalize_identity19rocblas_complex_numIfES2_EviPT2_PT3_, .Lfunc_end80-_ZL30rocblas_reduction_kernel_part2ILi1024ELi4E25rocblas_finalize_identity19rocblas_complex_numIfES2_EviPT2_PT3_
                                        ; -- End function
	.section	.AMDGPU.csdata,"",@progbits
; Kernel info:
; codeLenInByte = 1000
; NumSgprs: 18
; NumVgprs: 14
; NumAgprs: 0
; TotalNumVgprs: 14
; ScratchSize: 0
; MemoryBound: 0
; FloatMode: 240
; IeeeMode: 1
; LDSByteSize: 512 bytes/workgroup (compile time only)
; SGPRBlocks: 2
; VGPRBlocks: 1
; NumSGPRsForWavesPerEU: 18
; NumVGPRsForWavesPerEU: 14
; AccumOffset: 16
; Occupancy: 8
; WaveLimiterHint : 0
; COMPUTE_PGM_RSRC2:SCRATCH_EN: 0
; COMPUTE_PGM_RSRC2:USER_SGPR: 6
; COMPUTE_PGM_RSRC2:TRAP_HANDLER: 0
; COMPUTE_PGM_RSRC2:TGID_X_EN: 1
; COMPUTE_PGM_RSRC2:TGID_Y_EN: 0
; COMPUTE_PGM_RSRC2:TGID_Z_EN: 0
; COMPUTE_PGM_RSRC2:TIDIG_COMP_CNT: 0
; COMPUTE_PGM_RSRC3_GFX90A:ACCUM_OFFSET: 3
; COMPUTE_PGM_RSRC3_GFX90A:TG_SPLIT: 0
	.section	.text._ZL23rocblas_dot_kernel_inc1ILb0ELi512ELi2ELb0E19rocblas_complex_numIfEPKS1_S1_EviT4_llS4_lliPT5_PT3_,"axG",@progbits,_ZL23rocblas_dot_kernel_inc1ILb0ELi512ELi2ELb0E19rocblas_complex_numIfEPKS1_S1_EviT4_llS4_lliPT5_PT3_,comdat
	.globl	_ZL23rocblas_dot_kernel_inc1ILb0ELi512ELi2ELb0E19rocblas_complex_numIfEPKS1_S1_EviT4_llS4_lliPT5_PT3_ ; -- Begin function _ZL23rocblas_dot_kernel_inc1ILb0ELi512ELi2ELb0E19rocblas_complex_numIfEPKS1_S1_EviT4_llS4_lliPT5_PT3_
	.p2align	8
	.type	_ZL23rocblas_dot_kernel_inc1ILb0ELi512ELi2ELb0E19rocblas_complex_numIfEPKS1_S1_EviT4_llS4_lliPT5_PT3_,@function
_ZL23rocblas_dot_kernel_inc1ILb0ELi512ELi2ELb0E19rocblas_complex_numIfEPKS1_S1_EviT4_llS4_lliPT5_PT3_: ; @_ZL23rocblas_dot_kernel_inc1ILb0ELi512ELi2ELb0E19rocblas_complex_numIfEPKS1_S1_EviT4_llS4_lliPT5_PT3_
; %bb.0:
	s_mov_b32 s2, s7
	s_load_dword s7, s[4:5], 0x0
	s_load_dword s10, s[4:5], 0x50
	v_lshl_or_b32 v4, s6, 9, v0
	v_mov_b32_e32 v2, 0
	s_mov_b32 s3, 0
	s_waitcnt lgkmcnt(0)
	v_cmp_gt_i32_e32 vcc, s7, v4
	v_mov_b32_e32 v3, v2
	s_and_saveexec_b64 s[0:1], vcc
	s_cbranch_execz .LBB81_4
; %bb.1:
	s_load_dwordx4 s[12:15], s[4:5], 0x10
	s_load_dwordx2 s[8:9], s[4:5], 0x8
	s_load_dwordx2 s[20:21], s[4:5], 0x20
	s_load_dwordx4 s[16:19], s[4:5], 0x28
	v_ashrrev_i32_e32 v5, 31, v4
	s_waitcnt lgkmcnt(0)
	s_mul_i32 s11, s2, s15
	s_mul_hi_u32 s15, s2, s14
	s_add_i32 s15, s15, s11
	s_mul_i32 s14, s2, s14
	s_lshl_b64 s[14:15], s[14:15], 3
	s_add_u32 s11, s8, s14
	s_addc_u32 s14, s9, s15
	s_lshl_b64 s[8:9], s[12:13], 3
	s_add_u32 s11, s11, s8
	s_addc_u32 s12, s14, s9
	s_mul_i32 s8, s2, s19
	s_mul_hi_u32 s9, s2, s18
	s_add_i32 s9, s9, s8
	s_mul_i32 s8, s2, s18
	s_lshl_b64 s[8:9], s[8:9], 3
	s_add_u32 s13, s20, s8
	s_addc_u32 s14, s21, s9
	s_lshl_b64 s[8:9], s[16:17], 3
	s_add_u32 s13, s13, s8
	s_addc_u32 s14, s14, s9
	v_lshlrev_b64 v[2:3], 3, v[4:5]
	v_mov_b32_e32 v1, s14
	v_add_co_u32_e32 v4, vcc, s13, v2
	v_addc_co_u32_e32 v5, vcc, v1, v3, vcc
	v_mov_b32_e32 v1, s12
	v_add_co_u32_e32 v2, vcc, s11, v2
	v_addc_co_u32_e32 v3, vcc, v1, v3, vcc
	global_load_dwordx2 v[6:7], v[2:3], off
	global_load_dwordx2 v[8:9], v[4:5], off
	s_add_i32 s8, s6, s10
	v_lshl_or_b32 v4, s8, 9, v0
	v_cmp_gt_i32_e32 vcc, s7, v4
	s_waitcnt vmcnt(0)
	v_pk_mul_f32 v[2:3], v[6:7], v[8:9] op_sel:[0,1]
	v_pk_fma_f32 v[10:11], v[6:7], v[8:9], v[2:3] op_sel:[0,0,1] op_sel_hi:[1,1,0] neg_lo:[0,0,1] neg_hi:[0,0,1]
	v_pk_fma_f32 v[2:3], v[6:7], v[8:9], v[2:3] op_sel:[0,0,1] op_sel_hi:[1,0,0]
	v_mov_b32_e32 v11, v3
	v_pk_add_f32 v[2:3], v[10:11], 0 op_sel_hi:[1,0]
	s_and_saveexec_b64 s[8:9], vcc
	s_cbranch_execz .LBB81_3
; %bb.2:
	v_ashrrev_i32_e32 v5, 31, v4
	v_lshlrev_b64 v[4:5], 3, v[4:5]
	v_mov_b32_e32 v1, s12
	v_add_co_u32_e32 v6, vcc, s11, v4
	v_addc_co_u32_e32 v7, vcc, v1, v5, vcc
	v_mov_b32_e32 v1, s14
	v_add_co_u32_e32 v4, vcc, s13, v4
	v_addc_co_u32_e32 v5, vcc, v1, v5, vcc
	global_load_dwordx2 v[6:7], v[6:7], off
	s_nop 0
	global_load_dwordx2 v[4:5], v[4:5], off
	s_waitcnt vmcnt(0)
	v_pk_mul_f32 v[8:9], v[6:7], v[4:5] op_sel:[0,1]
	v_pk_fma_f32 v[10:11], v[6:7], v[4:5], v[8:9] op_sel:[0,0,1] op_sel_hi:[1,1,0] neg_lo:[0,0,1] neg_hi:[0,0,1]
	v_pk_fma_f32 v[4:5], v[6:7], v[4:5], v[8:9] op_sel:[0,0,1] op_sel_hi:[1,0,0]
	v_mov_b32_e32 v11, v5
	v_pk_add_f32 v[2:3], v[2:3], v[10:11]
.LBB81_3:
	s_or_b64 exec, exec, s[8:9]
.LBB81_4:
	s_or_b64 exec, exec, s[0:1]
	v_and_b32_e32 v6, 63, v0
	v_cmp_gt_u32_e32 vcc, 64, v0
	v_lshlrev_b32_e32 v1, 3, v6
	s_and_saveexec_b64 s[0:1], vcc
	s_cbranch_execz .LBB81_6
; %bb.5:
	v_mov_b32_e32 v4, 0
	v_mov_b32_e32 v5, v4
	ds_write_b64 v1, v[4:5]
.LBB81_6:
	s_or_b64 exec, exec, s[0:1]
	v_mbcnt_lo_u32_b32 v4, -1, 0
	v_mbcnt_hi_u32_b32 v9, -1, v4
	v_and_b32_e32 v10, 63, v9
	v_cmp_gt_u32_e64 s[0:1], 32, v10
	v_cndmask_b32_e64 v4, 0, 1, s[0:1]
	v_lshlrev_b32_e32 v4, 5, v4
	v_add_lshl_u32 v5, v4, v9, 2
	ds_bpermute_b32 v4, v5, v2
	ds_bpermute_b32 v5, v5, v3
	v_cmp_gt_u32_e64 s[0:1], 48, v10
	v_cndmask_b32_e64 v7, 0, 1, s[0:1]
	v_lshlrev_b32_e32 v7, 4, v7
	v_add_lshl_u32 v7, v7, v9, 2
	s_waitcnt lgkmcnt(0)
	v_pk_add_f32 v[2:3], v[2:3], v[4:5]
	ds_bpermute_b32 v4, v7, v2
	ds_bpermute_b32 v5, v7, v3
	v_cmp_gt_u32_e64 s[0:1], 56, v10
	v_cndmask_b32_e64 v7, 0, 1, s[0:1]
	v_lshlrev_b32_e32 v7, 3, v7
	v_add_lshl_u32 v7, v7, v9, 2
	s_waitcnt lgkmcnt(0)
	v_pk_add_f32 v[2:3], v[2:3], v[4:5]
	;; [unrolled: 8-line block ×4, first 2 shown]
	ds_bpermute_b32 v4, v8, v2
	ds_bpermute_b32 v5, v8, v3
	v_cmp_ne_u32_e64 s[0:1], 63, v10
	s_waitcnt lgkmcnt(0)
	s_barrier
	v_pk_add_f32 v[2:3], v[2:3], v[4:5]
	v_addc_co_u32_e64 v4, s[0:1], 0, v9, s[0:1]
	v_lshlrev_b32_e32 v9, 2, v4
	ds_bpermute_b32 v4, v9, v2
	ds_bpermute_b32 v5, v9, v3
	v_cmp_eq_u32_e64 s[0:1], 0, v6
	s_and_saveexec_b64 s[8:9], s[0:1]
	s_cbranch_execz .LBB81_8
; %bb.7:
	v_lshrrev_b32_e32 v6, 3, v0
	v_and_b32_e32 v6, 56, v6
	s_waitcnt lgkmcnt(0)
	v_pk_add_f32 v[2:3], v[2:3], v[4:5]
	ds_write_b64 v6, v[2:3]
.LBB81_8:
	s_or_b64 exec, exec, s[8:9]
	v_cmp_gt_u32_e64 s[0:1], 8, v0
	v_mov_b32_e32 v2, 0
	v_mov_b32_e32 v3, 0
	s_waitcnt lgkmcnt(0)
	s_barrier
	s_and_saveexec_b64 s[8:9], s[0:1]
	s_cbranch_execnz .LBB81_12
; %bb.9:
	s_or_b64 exec, exec, s[8:9]
	s_and_saveexec_b64 s[0:1], vcc
	s_cbranch_execnz .LBB81_13
.LBB81_10:
	s_or_b64 exec, exec, s[0:1]
	v_cmp_eq_u32_e32 vcc, 0, v0
	s_and_saveexec_b64 s[0:1], vcc
	s_cbranch_execnz .LBB81_14
.LBB81_11:
	s_endpgm
.LBB81_12:
	ds_read_b64 v[2:3], v1
	s_or_b64 exec, exec, s[8:9]
	s_and_saveexec_b64 s[0:1], vcc
	s_cbranch_execz .LBB81_10
.LBB81_13:
	s_waitcnt lgkmcnt(0)
	ds_bpermute_b32 v4, v7, v2
	ds_bpermute_b32 v5, v7, v3
	s_waitcnt lgkmcnt(0)
	v_pk_add_f32 v[2:3], v[2:3], v[4:5]
	ds_bpermute_b32 v4, v8, v2
	ds_bpermute_b32 v5, v8, v3
	s_waitcnt lgkmcnt(0)
	v_pk_add_f32 v[2:3], v[2:3], v[4:5]
	;; [unrolled: 4-line block ×3, first 2 shown]
	s_or_b64 exec, exec, s[0:1]
	v_cmp_eq_u32_e32 vcc, 0, v0
	s_and_saveexec_b64 s[0:1], vcc
	s_cbranch_execz .LBB81_11
.LBB81_14:
	s_cmp_lg_u32 s10, 1
	s_cbranch_scc0 .LBB81_16
; %bb.15:
	s_load_dwordx2 s[0:1], s[4:5], 0x40
	s_mul_hi_u32 s9, s10, s2
	s_mul_i32 s8, s10, s2
	s_lshl_b64 s[8:9], s[8:9], 3
	s_mov_b32 s7, 0
	s_waitcnt lgkmcnt(0)
	s_add_u32 s8, s0, s8
	s_addc_u32 s9, s1, s9
	s_lshl_b64 s[0:1], s[6:7], 3
	s_add_u32 s0, s8, s0
	s_addc_u32 s1, s9, s1
	s_cbranch_execz .LBB81_17
	s_branch .LBB81_18
.LBB81_16:
                                        ; implicit-def: $sgpr0_sgpr1
.LBB81_17:
	s_load_dwordx2 s[0:1], s[4:5], 0x48
	s_lshl_b64 s[2:3], s[2:3], 3
	s_waitcnt lgkmcnt(0)
	s_add_u32 s0, s0, s2
	s_addc_u32 s1, s1, s3
.LBB81_18:
	v_mov_b32_e32 v0, 0
	s_waitcnt lgkmcnt(0)
	global_store_dwordx2 v0, v[2:3], s[0:1]
	s_endpgm
	.section	.rodata,"a",@progbits
	.p2align	6, 0x0
	.amdhsa_kernel _ZL23rocblas_dot_kernel_inc1ILb0ELi512ELi2ELb0E19rocblas_complex_numIfEPKS1_S1_EviT4_llS4_lliPT5_PT3_
		.amdhsa_group_segment_fixed_size 512
		.amdhsa_private_segment_fixed_size 0
		.amdhsa_kernarg_size 336
		.amdhsa_user_sgpr_count 6
		.amdhsa_user_sgpr_private_segment_buffer 1
		.amdhsa_user_sgpr_dispatch_ptr 0
		.amdhsa_user_sgpr_queue_ptr 0
		.amdhsa_user_sgpr_kernarg_segment_ptr 1
		.amdhsa_user_sgpr_dispatch_id 0
		.amdhsa_user_sgpr_flat_scratch_init 0
		.amdhsa_user_sgpr_kernarg_preload_length 0
		.amdhsa_user_sgpr_kernarg_preload_offset 0
		.amdhsa_user_sgpr_private_segment_size 0
		.amdhsa_uses_dynamic_stack 0
		.amdhsa_system_sgpr_private_segment_wavefront_offset 0
		.amdhsa_system_sgpr_workgroup_id_x 1
		.amdhsa_system_sgpr_workgroup_id_y 0
		.amdhsa_system_sgpr_workgroup_id_z 1
		.amdhsa_system_sgpr_workgroup_info 0
		.amdhsa_system_vgpr_workitem_id 0
		.amdhsa_next_free_vgpr 12
		.amdhsa_next_free_sgpr 22
		.amdhsa_accum_offset 12
		.amdhsa_reserve_vcc 1
		.amdhsa_reserve_flat_scratch 0
		.amdhsa_float_round_mode_32 0
		.amdhsa_float_round_mode_16_64 0
		.amdhsa_float_denorm_mode_32 3
		.amdhsa_float_denorm_mode_16_64 3
		.amdhsa_dx10_clamp 1
		.amdhsa_ieee_mode 1
		.amdhsa_fp16_overflow 0
		.amdhsa_tg_split 0
		.amdhsa_exception_fp_ieee_invalid_op 0
		.amdhsa_exception_fp_denorm_src 0
		.amdhsa_exception_fp_ieee_div_zero 0
		.amdhsa_exception_fp_ieee_overflow 0
		.amdhsa_exception_fp_ieee_underflow 0
		.amdhsa_exception_fp_ieee_inexact 0
		.amdhsa_exception_int_div_zero 0
	.end_amdhsa_kernel
	.section	.text._ZL23rocblas_dot_kernel_inc1ILb0ELi512ELi2ELb0E19rocblas_complex_numIfEPKS1_S1_EviT4_llS4_lliPT5_PT3_,"axG",@progbits,_ZL23rocblas_dot_kernel_inc1ILb0ELi512ELi2ELb0E19rocblas_complex_numIfEPKS1_S1_EviT4_llS4_lliPT5_PT3_,comdat
.Lfunc_end81:
	.size	_ZL23rocblas_dot_kernel_inc1ILb0ELi512ELi2ELb0E19rocblas_complex_numIfEPKS1_S1_EviT4_llS4_lliPT5_PT3_, .Lfunc_end81-_ZL23rocblas_dot_kernel_inc1ILb0ELi512ELi2ELb0E19rocblas_complex_numIfEPKS1_S1_EviT4_llS4_lliPT5_PT3_
                                        ; -- End function
	.section	.AMDGPU.csdata,"",@progbits
; Kernel info:
; codeLenInByte = 1116
; NumSgprs: 26
; NumVgprs: 12
; NumAgprs: 0
; TotalNumVgprs: 12
; ScratchSize: 0
; MemoryBound: 0
; FloatMode: 240
; IeeeMode: 1
; LDSByteSize: 512 bytes/workgroup (compile time only)
; SGPRBlocks: 3
; VGPRBlocks: 1
; NumSGPRsForWavesPerEU: 26
; NumVGPRsForWavesPerEU: 12
; AccumOffset: 12
; Occupancy: 8
; WaveLimiterHint : 0
; COMPUTE_PGM_RSRC2:SCRATCH_EN: 0
; COMPUTE_PGM_RSRC2:USER_SGPR: 6
; COMPUTE_PGM_RSRC2:TRAP_HANDLER: 0
; COMPUTE_PGM_RSRC2:TGID_X_EN: 1
; COMPUTE_PGM_RSRC2:TGID_Y_EN: 0
; COMPUTE_PGM_RSRC2:TGID_Z_EN: 1
; COMPUTE_PGM_RSRC2:TIDIG_COMP_CNT: 0
; COMPUTE_PGM_RSRC3_GFX90A:ACCUM_OFFSET: 2
; COMPUTE_PGM_RSRC3_GFX90A:TG_SPLIT: 0
	.section	.text._ZL18rocblas_dot_kernelIiLb0ELi512ELi2ELb0E19rocblas_complex_numIfEPKS1_S1_EviT5_lT_lS4_lS5_liPT6_PT4_,"axG",@progbits,_ZL18rocblas_dot_kernelIiLb0ELi512ELi2ELb0E19rocblas_complex_numIfEPKS1_S1_EviT5_lT_lS4_lS5_liPT6_PT4_,comdat
	.globl	_ZL18rocblas_dot_kernelIiLb0ELi512ELi2ELb0E19rocblas_complex_numIfEPKS1_S1_EviT5_lT_lS4_lS5_liPT6_PT4_ ; -- Begin function _ZL18rocblas_dot_kernelIiLb0ELi512ELi2ELb0E19rocblas_complex_numIfEPKS1_S1_EviT5_lT_lS4_lS5_liPT6_PT4_
	.p2align	8
	.type	_ZL18rocblas_dot_kernelIiLb0ELi512ELi2ELb0E19rocblas_complex_numIfEPKS1_S1_EviT5_lT_lS4_lS5_liPT6_PT4_,@function
_ZL18rocblas_dot_kernelIiLb0ELi512ELi2ELb0E19rocblas_complex_numIfEPKS1_S1_EviT5_lT_lS4_lS5_liPT6_PT4_: ; @_ZL18rocblas_dot_kernelIiLb0ELi512ELi2ELb0E19rocblas_complex_numIfEPKS1_S1_EviT5_lT_lS4_lS5_liPT6_PT4_
; %bb.0:
	s_mov_b32 s2, s7
	s_load_dword s7, s[4:5], 0x0
	s_load_dword s10, s[4:5], 0x60
	v_lshl_or_b32 v1, s6, 9, v0
	v_mov_b32_e32 v2, 0
	s_mov_b32 s3, 0
	s_waitcnt lgkmcnt(0)
	v_cmp_gt_i32_e32 vcc, s7, v1
	v_mov_b32_e32 v3, v2
	s_and_saveexec_b64 s[0:1], vcc
	s_cbranch_execz .LBB82_4
; %bb.1:
	s_load_dwordx4 s[16:19], s[4:5], 0x20
	s_load_dwordx4 s[20:23], s[4:5], 0x8
	s_load_dword s12, s[4:5], 0x18
	s_load_dwordx2 s[8:9], s[4:5], 0x30
	s_load_dword s11, s[4:5], 0x38
	s_load_dwordx2 s[24:25], s[4:5], 0x40
	s_waitcnt lgkmcnt(0)
	s_mul_i32 s13, s2, s17
	s_mul_hi_u32 s14, s2, s16
	s_add_i32 s15, s14, s13
	s_mul_i32 s14, s2, s16
	s_lshl_b64 s[14:15], s[14:15], 3
	s_add_u32 s13, s20, s14
	s_addc_u32 s16, s21, s15
	s_lshl_b64 s[14:15], s[22:23], 3
	s_add_u32 s13, s13, s14
	s_addc_u32 s15, s16, s15
	s_mul_i32 s14, s2, s25
	s_mul_hi_u32 s16, s2, s24
	s_add_i32 s17, s16, s14
	s_mul_i32 s16, s2, s24
	s_lshl_b64 s[16:17], s[16:17], 3
	s_add_u32 s14, s18, s16
	s_addc_u32 s16, s19, s17
	s_lshl_b64 s[8:9], s[8:9], 3
	s_add_u32 s14, s14, s8
	s_addc_u32 s16, s16, s9
	v_mad_i64_i32 v[2:3], s[8:9], v1, s11, 0
	v_lshlrev_b64 v[2:3], 3, v[2:3]
	v_mov_b32_e32 v4, s16
	v_add_co_u32_e32 v2, vcc, s14, v2
	v_addc_co_u32_e32 v3, vcc, v4, v3, vcc
	v_mad_i64_i32 v[4:5], s[8:9], v1, s12, 0
	v_lshlrev_b64 v[4:5], 3, v[4:5]
	v_mov_b32_e32 v1, s15
	v_add_co_u32_e32 v4, vcc, s13, v4
	v_addc_co_u32_e32 v5, vcc, v1, v5, vcc
	global_load_dwordx2 v[6:7], v[4:5], off
	global_load_dwordx2 v[8:9], v[2:3], off
	s_add_i32 s8, s6, s10
	v_lshl_or_b32 v1, s8, 9, v0
	v_cmp_gt_i32_e32 vcc, s7, v1
	s_waitcnt vmcnt(0)
	v_pk_mul_f32 v[2:3], v[6:7], v[8:9] op_sel:[0,1]
	v_pk_fma_f32 v[4:5], v[6:7], v[8:9], v[2:3] op_sel:[0,0,1] op_sel_hi:[1,1,0] neg_lo:[0,0,1] neg_hi:[0,0,1]
	v_pk_fma_f32 v[2:3], v[6:7], v[8:9], v[2:3] op_sel:[0,0,1] op_sel_hi:[1,0,0]
	v_mov_b32_e32 v5, v3
	v_pk_add_f32 v[2:3], v[4:5], 0 op_sel_hi:[1,0]
	s_and_saveexec_b64 s[8:9], vcc
	s_cbranch_execz .LBB82_3
; %bb.2:
	v_mad_i64_i32 v[4:5], s[18:19], v1, s12, 0
	v_lshlrev_b64 v[4:5], 3, v[4:5]
	v_mov_b32_e32 v6, s15
	v_add_co_u32_e32 v4, vcc, s13, v4
	v_addc_co_u32_e32 v5, vcc, v6, v5, vcc
	v_mad_i64_i32 v[6:7], s[12:13], v1, s11, 0
	v_lshlrev_b64 v[6:7], 3, v[6:7]
	v_mov_b32_e32 v1, s16
	v_add_co_u32_e32 v6, vcc, s14, v6
	v_addc_co_u32_e32 v7, vcc, v1, v7, vcc
	global_load_dwordx2 v[4:5], v[4:5], off
	s_nop 0
	global_load_dwordx2 v[6:7], v[6:7], off
	s_waitcnt vmcnt(0)
	v_pk_mul_f32 v[8:9], v[4:5], v[6:7] op_sel:[0,1]
	v_pk_fma_f32 v[10:11], v[4:5], v[6:7], v[8:9] op_sel:[0,0,1] op_sel_hi:[1,1,0] neg_lo:[0,0,1] neg_hi:[0,0,1]
	v_pk_fma_f32 v[4:5], v[4:5], v[6:7], v[8:9] op_sel:[0,0,1] op_sel_hi:[1,0,0]
	v_mov_b32_e32 v11, v5
	v_pk_add_f32 v[2:3], v[2:3], v[10:11]
.LBB82_3:
	s_or_b64 exec, exec, s[8:9]
.LBB82_4:
	s_or_b64 exec, exec, s[0:1]
	v_and_b32_e32 v6, 63, v0
	v_cmp_gt_u32_e32 vcc, 64, v0
	v_lshlrev_b32_e32 v1, 3, v6
	s_and_saveexec_b64 s[0:1], vcc
	s_cbranch_execz .LBB82_6
; %bb.5:
	v_mov_b32_e32 v4, 0
	v_mov_b32_e32 v5, v4
	ds_write_b64 v1, v[4:5]
.LBB82_6:
	s_or_b64 exec, exec, s[0:1]
	v_mbcnt_lo_u32_b32 v4, -1, 0
	v_mbcnt_hi_u32_b32 v9, -1, v4
	v_and_b32_e32 v10, 63, v9
	v_cmp_gt_u32_e64 s[0:1], 32, v10
	v_cndmask_b32_e64 v4, 0, 1, s[0:1]
	v_lshlrev_b32_e32 v4, 5, v4
	v_add_lshl_u32 v5, v4, v9, 2
	ds_bpermute_b32 v4, v5, v2
	ds_bpermute_b32 v5, v5, v3
	v_cmp_gt_u32_e64 s[0:1], 48, v10
	v_cndmask_b32_e64 v7, 0, 1, s[0:1]
	v_lshlrev_b32_e32 v7, 4, v7
	v_add_lshl_u32 v7, v7, v9, 2
	s_waitcnt lgkmcnt(0)
	v_pk_add_f32 v[2:3], v[2:3], v[4:5]
	ds_bpermute_b32 v4, v7, v2
	ds_bpermute_b32 v5, v7, v3
	v_cmp_gt_u32_e64 s[0:1], 56, v10
	v_cndmask_b32_e64 v7, 0, 1, s[0:1]
	v_lshlrev_b32_e32 v7, 3, v7
	v_add_lshl_u32 v7, v7, v9, 2
	s_waitcnt lgkmcnt(0)
	v_pk_add_f32 v[2:3], v[2:3], v[4:5]
	;; [unrolled: 8-line block ×4, first 2 shown]
	ds_bpermute_b32 v4, v8, v2
	ds_bpermute_b32 v5, v8, v3
	v_cmp_ne_u32_e64 s[0:1], 63, v10
	s_waitcnt lgkmcnt(0)
	s_barrier
	v_pk_add_f32 v[2:3], v[2:3], v[4:5]
	v_addc_co_u32_e64 v4, s[0:1], 0, v9, s[0:1]
	v_lshlrev_b32_e32 v9, 2, v4
	ds_bpermute_b32 v4, v9, v2
	ds_bpermute_b32 v5, v9, v3
	v_cmp_eq_u32_e64 s[0:1], 0, v6
	s_and_saveexec_b64 s[8:9], s[0:1]
	s_cbranch_execz .LBB82_8
; %bb.7:
	v_lshrrev_b32_e32 v6, 3, v0
	v_and_b32_e32 v6, 56, v6
	s_waitcnt lgkmcnt(0)
	v_pk_add_f32 v[2:3], v[2:3], v[4:5]
	ds_write_b64 v6, v[2:3]
.LBB82_8:
	s_or_b64 exec, exec, s[8:9]
	v_cmp_gt_u32_e64 s[0:1], 8, v0
	v_mov_b32_e32 v2, 0
	v_mov_b32_e32 v3, 0
	s_waitcnt lgkmcnt(0)
	s_barrier
	s_and_saveexec_b64 s[8:9], s[0:1]
	s_cbranch_execnz .LBB82_12
; %bb.9:
	s_or_b64 exec, exec, s[8:9]
	s_and_saveexec_b64 s[0:1], vcc
	s_cbranch_execnz .LBB82_13
.LBB82_10:
	s_or_b64 exec, exec, s[0:1]
	v_cmp_eq_u32_e32 vcc, 0, v0
	s_and_saveexec_b64 s[0:1], vcc
	s_cbranch_execnz .LBB82_14
.LBB82_11:
	s_endpgm
.LBB82_12:
	ds_read_b64 v[2:3], v1
	s_or_b64 exec, exec, s[8:9]
	s_and_saveexec_b64 s[0:1], vcc
	s_cbranch_execz .LBB82_10
.LBB82_13:
	s_waitcnt lgkmcnt(0)
	ds_bpermute_b32 v4, v7, v2
	ds_bpermute_b32 v5, v7, v3
	s_waitcnt lgkmcnt(0)
	v_pk_add_f32 v[2:3], v[2:3], v[4:5]
	ds_bpermute_b32 v4, v8, v2
	ds_bpermute_b32 v5, v8, v3
	s_waitcnt lgkmcnt(0)
	v_pk_add_f32 v[2:3], v[2:3], v[4:5]
	;; [unrolled: 4-line block ×3, first 2 shown]
	s_or_b64 exec, exec, s[0:1]
	v_cmp_eq_u32_e32 vcc, 0, v0
	s_and_saveexec_b64 s[0:1], vcc
	s_cbranch_execz .LBB82_11
.LBB82_14:
	s_cmp_lg_u32 s10, 1
	s_cbranch_scc0 .LBB82_16
; %bb.15:
	s_load_dwordx2 s[0:1], s[4:5], 0x50
	s_mul_hi_u32 s9, s10, s2
	s_mul_i32 s8, s10, s2
	s_lshl_b64 s[8:9], s[8:9], 3
	s_mov_b32 s7, 0
	s_waitcnt lgkmcnt(0)
	s_add_u32 s8, s0, s8
	s_addc_u32 s9, s1, s9
	s_lshl_b64 s[0:1], s[6:7], 3
	s_add_u32 s0, s8, s0
	s_addc_u32 s1, s9, s1
	s_cbranch_execz .LBB82_17
	s_branch .LBB82_18
.LBB82_16:
                                        ; implicit-def: $sgpr0_sgpr1
.LBB82_17:
	s_load_dwordx2 s[0:1], s[4:5], 0x58
	s_lshl_b64 s[2:3], s[2:3], 3
	s_waitcnt lgkmcnt(0)
	s_add_u32 s0, s0, s2
	s_addc_u32 s1, s1, s3
.LBB82_18:
	v_mov_b32_e32 v0, 0
	s_waitcnt lgkmcnt(0)
	global_store_dwordx2 v0, v[2:3], s[0:1]
	s_endpgm
	.section	.rodata,"a",@progbits
	.p2align	6, 0x0
	.amdhsa_kernel _ZL18rocblas_dot_kernelIiLb0ELi512ELi2ELb0E19rocblas_complex_numIfEPKS1_S1_EviT5_lT_lS4_lS5_liPT6_PT4_
		.amdhsa_group_segment_fixed_size 512
		.amdhsa_private_segment_fixed_size 0
		.amdhsa_kernarg_size 352
		.amdhsa_user_sgpr_count 6
		.amdhsa_user_sgpr_private_segment_buffer 1
		.amdhsa_user_sgpr_dispatch_ptr 0
		.amdhsa_user_sgpr_queue_ptr 0
		.amdhsa_user_sgpr_kernarg_segment_ptr 1
		.amdhsa_user_sgpr_dispatch_id 0
		.amdhsa_user_sgpr_flat_scratch_init 0
		.amdhsa_user_sgpr_kernarg_preload_length 0
		.amdhsa_user_sgpr_kernarg_preload_offset 0
		.amdhsa_user_sgpr_private_segment_size 0
		.amdhsa_uses_dynamic_stack 0
		.amdhsa_system_sgpr_private_segment_wavefront_offset 0
		.amdhsa_system_sgpr_workgroup_id_x 1
		.amdhsa_system_sgpr_workgroup_id_y 0
		.amdhsa_system_sgpr_workgroup_id_z 1
		.amdhsa_system_sgpr_workgroup_info 0
		.amdhsa_system_vgpr_workitem_id 0
		.amdhsa_next_free_vgpr 12
		.amdhsa_next_free_sgpr 26
		.amdhsa_accum_offset 12
		.amdhsa_reserve_vcc 1
		.amdhsa_reserve_flat_scratch 0
		.amdhsa_float_round_mode_32 0
		.amdhsa_float_round_mode_16_64 0
		.amdhsa_float_denorm_mode_32 3
		.amdhsa_float_denorm_mode_16_64 3
		.amdhsa_dx10_clamp 1
		.amdhsa_ieee_mode 1
		.amdhsa_fp16_overflow 0
		.amdhsa_tg_split 0
		.amdhsa_exception_fp_ieee_invalid_op 0
		.amdhsa_exception_fp_denorm_src 0
		.amdhsa_exception_fp_ieee_div_zero 0
		.amdhsa_exception_fp_ieee_overflow 0
		.amdhsa_exception_fp_ieee_underflow 0
		.amdhsa_exception_fp_ieee_inexact 0
		.amdhsa_exception_int_div_zero 0
	.end_amdhsa_kernel
	.section	.text._ZL18rocblas_dot_kernelIiLb0ELi512ELi2ELb0E19rocblas_complex_numIfEPKS1_S1_EviT5_lT_lS4_lS5_liPT6_PT4_,"axG",@progbits,_ZL18rocblas_dot_kernelIiLb0ELi512ELi2ELb0E19rocblas_complex_numIfEPKS1_S1_EviT5_lT_lS4_lS5_liPT6_PT4_,comdat
.Lfunc_end82:
	.size	_ZL18rocblas_dot_kernelIiLb0ELi512ELi2ELb0E19rocblas_complex_numIfEPKS1_S1_EviT5_lT_lS4_lS5_liPT6_PT4_, .Lfunc_end82-_ZL18rocblas_dot_kernelIiLb0ELi512ELi2ELb0E19rocblas_complex_numIfEPKS1_S1_EviT5_lT_lS4_lS5_liPT6_PT4_
                                        ; -- End function
	.section	.AMDGPU.csdata,"",@progbits
; Kernel info:
; codeLenInByte = 1172
; NumSgprs: 30
; NumVgprs: 12
; NumAgprs: 0
; TotalNumVgprs: 12
; ScratchSize: 0
; MemoryBound: 0
; FloatMode: 240
; IeeeMode: 1
; LDSByteSize: 512 bytes/workgroup (compile time only)
; SGPRBlocks: 3
; VGPRBlocks: 1
; NumSGPRsForWavesPerEU: 30
; NumVGPRsForWavesPerEU: 12
; AccumOffset: 12
; Occupancy: 8
; WaveLimiterHint : 0
; COMPUTE_PGM_RSRC2:SCRATCH_EN: 0
; COMPUTE_PGM_RSRC2:USER_SGPR: 6
; COMPUTE_PGM_RSRC2:TRAP_HANDLER: 0
; COMPUTE_PGM_RSRC2:TGID_X_EN: 1
; COMPUTE_PGM_RSRC2:TGID_Y_EN: 0
; COMPUTE_PGM_RSRC2:TGID_Z_EN: 1
; COMPUTE_PGM_RSRC2:TIDIG_COMP_CNT: 0
; COMPUTE_PGM_RSRC3_GFX90A:ACCUM_OFFSET: 2
; COMPUTE_PGM_RSRC3_GFX90A:TG_SPLIT: 0
	.section	.text._ZL24rocblas_dot_kernel_magsqIiLb0ELi512ELi2ELb0E19rocblas_complex_numIfEPKS1_S1_EviT5_lT_liPT6_PT4_,"axG",@progbits,_ZL24rocblas_dot_kernel_magsqIiLb0ELi512ELi2ELb0E19rocblas_complex_numIfEPKS1_S1_EviT5_lT_liPT6_PT4_,comdat
	.globl	_ZL24rocblas_dot_kernel_magsqIiLb0ELi512ELi2ELb0E19rocblas_complex_numIfEPKS1_S1_EviT5_lT_liPT6_PT4_ ; -- Begin function _ZL24rocblas_dot_kernel_magsqIiLb0ELi512ELi2ELb0E19rocblas_complex_numIfEPKS1_S1_EviT5_lT_liPT6_PT4_
	.p2align	8
	.type	_ZL24rocblas_dot_kernel_magsqIiLb0ELi512ELi2ELb0E19rocblas_complex_numIfEPKS1_S1_EviT5_lT_liPT6_PT4_,@function
_ZL24rocblas_dot_kernel_magsqIiLb0ELi512ELi2ELb0E19rocblas_complex_numIfEPKS1_S1_EviT5_lT_liPT6_PT4_: ; @_ZL24rocblas_dot_kernel_magsqIiLb0ELi512ELi2ELb0E19rocblas_complex_numIfEPKS1_S1_EviT5_lT_liPT6_PT4_
; %bb.0:
	s_mov_b32 s2, s7
	s_load_dword s7, s[4:5], 0x0
	s_load_dword s10, s[4:5], 0x40
	v_lshl_or_b32 v1, s6, 9, v0
	v_mov_b32_e32 v2, 0
	s_mov_b32 s3, 0
	s_waitcnt lgkmcnt(0)
	v_cmp_gt_i32_e32 vcc, s7, v1
	v_mov_b32_e32 v3, v2
	s_and_saveexec_b64 s[0:1], vcc
	s_cbranch_execz .LBB83_4
; %bb.1:
	s_load_dwordx2 s[8:9], s[4:5], 0x20
	s_load_dwordx4 s[12:15], s[4:5], 0x8
	s_load_dword s11, s[4:5], 0x18
	s_waitcnt lgkmcnt(0)
	s_mul_i32 s9, s2, s9
	s_mul_hi_u32 s16, s2, s8
	s_mul_i32 s8, s2, s8
	s_add_i32 s9, s16, s9
	s_lshl_b64 s[8:9], s[8:9], 3
	s_add_u32 s12, s12, s8
	s_addc_u32 s13, s13, s9
	s_lshl_b64 s[8:9], s[14:15], 3
	s_add_u32 s12, s12, s8
	s_addc_u32 s13, s13, s9
	v_mad_i64_i32 v[2:3], s[8:9], v1, s11, 0
	v_lshlrev_b64 v[2:3], 3, v[2:3]
	v_mov_b32_e32 v1, s13
	v_add_co_u32_e32 v2, vcc, s12, v2
	v_addc_co_u32_e32 v3, vcc, v1, v3, vcc
	global_load_dwordx2 v[2:3], v[2:3], off
	s_add_i32 s8, s6, s10
	v_lshl_or_b32 v1, s8, 9, v0
	v_cmp_gt_i32_e32 vcc, s7, v1
	s_waitcnt vmcnt(0)
	v_pk_mul_f32 v[4:5], v[2:3], v[2:3]
	v_pk_mul_f32 v[6:7], v[2:3], v[2:3] op_sel_hi:[0,1]
	v_mov_b32_e32 v4, v5
	v_mov_b32_e32 v5, v7
	v_pk_add_f32 v[6:7], v[6:7], v[6:7]
	v_pk_fma_f32 v[2:3], v[2:3], v[2:3], v[4:5] op_sel_hi:[0,1,1] neg_lo:[0,0,1] neg_hi:[0,0,1]
	v_mov_b32_e32 v3, v7
	v_pk_add_f32 v[2:3], v[2:3], 0 op_sel_hi:[1,0]
	s_and_saveexec_b64 s[8:9], vcc
	s_cbranch_execz .LBB83_3
; %bb.2:
	v_mad_i64_i32 v[4:5], s[14:15], v1, s11, 0
	v_lshlrev_b64 v[4:5], 3, v[4:5]
	v_mov_b32_e32 v1, s13
	v_add_co_u32_e32 v4, vcc, s12, v4
	v_addc_co_u32_e32 v5, vcc, v1, v5, vcc
	global_load_dwordx2 v[4:5], v[4:5], off
	s_waitcnt vmcnt(0)
	v_pk_mul_f32 v[6:7], v[4:5], v[4:5] op_sel_hi:[0,1]
	v_pk_mul_f32 v[8:9], v[4:5], v[4:5]
	v_mov_b32_e32 v8, v9
	v_mov_b32_e32 v9, v7
	v_pk_fma_f32 v[4:5], v[4:5], v[4:5], v[8:9] op_sel_hi:[0,1,1] neg_lo:[0,0,1] neg_hi:[0,0,1]
	v_pk_add_f32 v[6:7], v[6:7], v[6:7]
	v_mov_b32_e32 v5, v7
	v_pk_add_f32 v[2:3], v[2:3], v[4:5]
.LBB83_3:
	s_or_b64 exec, exec, s[8:9]
.LBB83_4:
	s_or_b64 exec, exec, s[0:1]
	v_and_b32_e32 v6, 63, v0
	v_cmp_gt_u32_e32 vcc, 64, v0
	v_lshlrev_b32_e32 v1, 3, v6
	s_and_saveexec_b64 s[0:1], vcc
	s_cbranch_execz .LBB83_6
; %bb.5:
	v_mov_b32_e32 v4, 0
	v_mov_b32_e32 v5, v4
	ds_write_b64 v1, v[4:5]
.LBB83_6:
	s_or_b64 exec, exec, s[0:1]
	v_mbcnt_lo_u32_b32 v4, -1, 0
	v_mbcnt_hi_u32_b32 v9, -1, v4
	v_and_b32_e32 v10, 63, v9
	v_cmp_gt_u32_e64 s[0:1], 32, v10
	v_cndmask_b32_e64 v4, 0, 1, s[0:1]
	v_lshlrev_b32_e32 v4, 5, v4
	v_add_lshl_u32 v5, v4, v9, 2
	ds_bpermute_b32 v4, v5, v2
	ds_bpermute_b32 v5, v5, v3
	v_cmp_gt_u32_e64 s[0:1], 48, v10
	v_cndmask_b32_e64 v7, 0, 1, s[0:1]
	v_lshlrev_b32_e32 v7, 4, v7
	v_add_lshl_u32 v7, v7, v9, 2
	s_waitcnt lgkmcnt(0)
	v_pk_add_f32 v[2:3], v[2:3], v[4:5]
	ds_bpermute_b32 v4, v7, v2
	ds_bpermute_b32 v5, v7, v3
	v_cmp_gt_u32_e64 s[0:1], 56, v10
	v_cndmask_b32_e64 v7, 0, 1, s[0:1]
	v_lshlrev_b32_e32 v7, 3, v7
	v_add_lshl_u32 v7, v7, v9, 2
	s_waitcnt lgkmcnt(0)
	v_pk_add_f32 v[2:3], v[2:3], v[4:5]
	;; [unrolled: 8-line block ×4, first 2 shown]
	ds_bpermute_b32 v4, v8, v2
	ds_bpermute_b32 v5, v8, v3
	v_cmp_ne_u32_e64 s[0:1], 63, v10
	s_waitcnt lgkmcnt(0)
	s_barrier
	v_pk_add_f32 v[2:3], v[2:3], v[4:5]
	v_addc_co_u32_e64 v4, s[0:1], 0, v9, s[0:1]
	v_lshlrev_b32_e32 v9, 2, v4
	ds_bpermute_b32 v4, v9, v2
	ds_bpermute_b32 v5, v9, v3
	v_cmp_eq_u32_e64 s[0:1], 0, v6
	s_and_saveexec_b64 s[8:9], s[0:1]
	s_cbranch_execz .LBB83_8
; %bb.7:
	v_lshrrev_b32_e32 v6, 3, v0
	v_and_b32_e32 v6, 56, v6
	s_waitcnt lgkmcnt(0)
	v_pk_add_f32 v[2:3], v[2:3], v[4:5]
	ds_write_b64 v6, v[2:3]
.LBB83_8:
	s_or_b64 exec, exec, s[8:9]
	v_cmp_gt_u32_e64 s[0:1], 8, v0
	v_mov_b32_e32 v2, 0
	v_mov_b32_e32 v3, 0
	s_waitcnt lgkmcnt(0)
	s_barrier
	s_and_saveexec_b64 s[8:9], s[0:1]
	s_cbranch_execnz .LBB83_12
; %bb.9:
	s_or_b64 exec, exec, s[8:9]
	s_and_saveexec_b64 s[0:1], vcc
	s_cbranch_execnz .LBB83_13
.LBB83_10:
	s_or_b64 exec, exec, s[0:1]
	v_cmp_eq_u32_e32 vcc, 0, v0
	s_and_saveexec_b64 s[0:1], vcc
	s_cbranch_execnz .LBB83_14
.LBB83_11:
	s_endpgm
.LBB83_12:
	ds_read_b64 v[2:3], v1
	s_or_b64 exec, exec, s[8:9]
	s_and_saveexec_b64 s[0:1], vcc
	s_cbranch_execz .LBB83_10
.LBB83_13:
	s_waitcnt lgkmcnt(0)
	ds_bpermute_b32 v4, v7, v2
	ds_bpermute_b32 v5, v7, v3
	s_waitcnt lgkmcnt(0)
	v_pk_add_f32 v[2:3], v[2:3], v[4:5]
	ds_bpermute_b32 v4, v8, v2
	ds_bpermute_b32 v5, v8, v3
	s_waitcnt lgkmcnt(0)
	v_pk_add_f32 v[2:3], v[2:3], v[4:5]
	;; [unrolled: 4-line block ×3, first 2 shown]
	s_or_b64 exec, exec, s[0:1]
	v_cmp_eq_u32_e32 vcc, 0, v0
	s_and_saveexec_b64 s[0:1], vcc
	s_cbranch_execz .LBB83_11
.LBB83_14:
	s_cmp_lg_u32 s10, 1
	s_cbranch_scc0 .LBB83_16
; %bb.15:
	s_load_dwordx2 s[0:1], s[4:5], 0x30
	s_mul_hi_u32 s9, s10, s2
	s_mul_i32 s8, s10, s2
	s_lshl_b64 s[8:9], s[8:9], 3
	s_mov_b32 s7, 0
	s_waitcnt lgkmcnt(0)
	s_add_u32 s8, s0, s8
	s_addc_u32 s9, s1, s9
	s_lshl_b64 s[0:1], s[6:7], 3
	s_add_u32 s0, s8, s0
	s_addc_u32 s1, s9, s1
	s_cbranch_execz .LBB83_17
	s_branch .LBB83_18
.LBB83_16:
                                        ; implicit-def: $sgpr0_sgpr1
.LBB83_17:
	s_load_dwordx2 s[0:1], s[4:5], 0x38
	s_lshl_b64 s[2:3], s[2:3], 3
	s_waitcnt lgkmcnt(0)
	s_add_u32 s0, s0, s2
	s_addc_u32 s1, s1, s3
.LBB83_18:
	v_mov_b32_e32 v0, 0
	s_waitcnt lgkmcnt(0)
	global_store_dwordx2 v0, v[2:3], s[0:1]
	s_endpgm
	.section	.rodata,"a",@progbits
	.p2align	6, 0x0
	.amdhsa_kernel _ZL24rocblas_dot_kernel_magsqIiLb0ELi512ELi2ELb0E19rocblas_complex_numIfEPKS1_S1_EviT5_lT_liPT6_PT4_
		.amdhsa_group_segment_fixed_size 512
		.amdhsa_private_segment_fixed_size 0
		.amdhsa_kernarg_size 320
		.amdhsa_user_sgpr_count 6
		.amdhsa_user_sgpr_private_segment_buffer 1
		.amdhsa_user_sgpr_dispatch_ptr 0
		.amdhsa_user_sgpr_queue_ptr 0
		.amdhsa_user_sgpr_kernarg_segment_ptr 1
		.amdhsa_user_sgpr_dispatch_id 0
		.amdhsa_user_sgpr_flat_scratch_init 0
		.amdhsa_user_sgpr_kernarg_preload_length 0
		.amdhsa_user_sgpr_kernarg_preload_offset 0
		.amdhsa_user_sgpr_private_segment_size 0
		.amdhsa_uses_dynamic_stack 0
		.amdhsa_system_sgpr_private_segment_wavefront_offset 0
		.amdhsa_system_sgpr_workgroup_id_x 1
		.amdhsa_system_sgpr_workgroup_id_y 0
		.amdhsa_system_sgpr_workgroup_id_z 1
		.amdhsa_system_sgpr_workgroup_info 0
		.amdhsa_system_vgpr_workitem_id 0
		.amdhsa_next_free_vgpr 11
		.amdhsa_next_free_sgpr 17
		.amdhsa_accum_offset 12
		.amdhsa_reserve_vcc 1
		.amdhsa_reserve_flat_scratch 0
		.amdhsa_float_round_mode_32 0
		.amdhsa_float_round_mode_16_64 0
		.amdhsa_float_denorm_mode_32 3
		.amdhsa_float_denorm_mode_16_64 3
		.amdhsa_dx10_clamp 1
		.amdhsa_ieee_mode 1
		.amdhsa_fp16_overflow 0
		.amdhsa_tg_split 0
		.amdhsa_exception_fp_ieee_invalid_op 0
		.amdhsa_exception_fp_denorm_src 0
		.amdhsa_exception_fp_ieee_div_zero 0
		.amdhsa_exception_fp_ieee_overflow 0
		.amdhsa_exception_fp_ieee_underflow 0
		.amdhsa_exception_fp_ieee_inexact 0
		.amdhsa_exception_int_div_zero 0
	.end_amdhsa_kernel
	.section	.text._ZL24rocblas_dot_kernel_magsqIiLb0ELi512ELi2ELb0E19rocblas_complex_numIfEPKS1_S1_EviT5_lT_liPT6_PT4_,"axG",@progbits,_ZL24rocblas_dot_kernel_magsqIiLb0ELi512ELi2ELb0E19rocblas_complex_numIfEPKS1_S1_EviT5_lT_liPT6_PT4_,comdat
.Lfunc_end83:
	.size	_ZL24rocblas_dot_kernel_magsqIiLb0ELi512ELi2ELb0E19rocblas_complex_numIfEPKS1_S1_EviT5_lT_liPT6_PT4_, .Lfunc_end83-_ZL24rocblas_dot_kernel_magsqIiLb0ELi512ELi2ELb0E19rocblas_complex_numIfEPKS1_S1_EviT5_lT_liPT6_PT4_
                                        ; -- End function
	.section	.AMDGPU.csdata,"",@progbits
; Kernel info:
; codeLenInByte = 1064
; NumSgprs: 21
; NumVgprs: 11
; NumAgprs: 0
; TotalNumVgprs: 11
; ScratchSize: 0
; MemoryBound: 0
; FloatMode: 240
; IeeeMode: 1
; LDSByteSize: 512 bytes/workgroup (compile time only)
; SGPRBlocks: 2
; VGPRBlocks: 1
; NumSGPRsForWavesPerEU: 21
; NumVGPRsForWavesPerEU: 11
; AccumOffset: 12
; Occupancy: 8
; WaveLimiterHint : 0
; COMPUTE_PGM_RSRC2:SCRATCH_EN: 0
; COMPUTE_PGM_RSRC2:USER_SGPR: 6
; COMPUTE_PGM_RSRC2:TRAP_HANDLER: 0
; COMPUTE_PGM_RSRC2:TGID_X_EN: 1
; COMPUTE_PGM_RSRC2:TGID_Y_EN: 0
; COMPUTE_PGM_RSRC2:TGID_Z_EN: 1
; COMPUTE_PGM_RSRC2:TIDIG_COMP_CNT: 0
; COMPUTE_PGM_RSRC3_GFX90A:ACCUM_OFFSET: 2
; COMPUTE_PGM_RSRC3_GFX90A:TG_SPLIT: 0
	.section	.text._ZL30rocblas_reduction_kernel_part2ILi512ELi2E25rocblas_finalize_identity19rocblas_complex_numIfES2_EviPT2_PT3_,"axG",@progbits,_ZL30rocblas_reduction_kernel_part2ILi512ELi2E25rocblas_finalize_identity19rocblas_complex_numIfES2_EviPT2_PT3_,comdat
	.globl	_ZL30rocblas_reduction_kernel_part2ILi512ELi2E25rocblas_finalize_identity19rocblas_complex_numIfES2_EviPT2_PT3_ ; -- Begin function _ZL30rocblas_reduction_kernel_part2ILi512ELi2E25rocblas_finalize_identity19rocblas_complex_numIfES2_EviPT2_PT3_
	.p2align	8
	.type	_ZL30rocblas_reduction_kernel_part2ILi512ELi2E25rocblas_finalize_identity19rocblas_complex_numIfES2_EviPT2_PT3_,@function
_ZL30rocblas_reduction_kernel_part2ILi512ELi2E25rocblas_finalize_identity19rocblas_complex_numIfES2_EviPT2_PT3_: ; @_ZL30rocblas_reduction_kernel_part2ILi512ELi2E25rocblas_finalize_identity19rocblas_complex_numIfES2_EviPT2_PT3_
; %bb.0:
	s_load_dword s12, s[4:5], 0x0
	s_load_dwordx4 s[0:3], s[4:5], 0x8
	s_mov_b32 s7, 0
	v_lshlrev_b32_e32 v1, 1, v0
	s_mov_b32 s9, s7
	s_waitcnt lgkmcnt(0)
	s_lshr_b32 s8, s12, 31
	s_ashr_i32 s4, s12, 31
	s_add_i32 s8, s12, s8
	s_mul_hi_u32 s5, s12, s6
	s_mul_i32 s4, s4, s6
	s_and_b32 s13, s8, -2
	s_mov_b32 s8, s7
	s_add_i32 s5, s5, s4
	s_mul_i32 s4, s12, s6
	v_cmp_gt_i32_e32 vcc, s13, v1
	v_pk_mov_b32 v[2:3], s[8:9], s[8:9] op_sel:[0,1]
	s_and_saveexec_b64 s[8:9], vcc
	s_cbranch_execz .LBB84_4
; %bb.1:
	s_lshl_b64 s[10:11], s[4:5], 3
	s_add_u32 s10, s0, s10
	v_lshlrev_b32_e32 v2, 4, v0
	s_addc_u32 s11, s1, s11
	v_mov_b32_e32 v3, s11
	v_add_co_u32_e32 v2, vcc, s10, v2
	v_addc_co_u32_e32 v3, vcc, 0, v3, vcc
	v_add_co_u32_e32 v4, vcc, 8, v2
	v_addc_co_u32_e32 v5, vcc, 0, v3, vcc
	v_mov_b32_e32 v3, 0
	s_mov_b64 s[10:11], 0
	v_mov_b32_e32 v2, v3
.LBB84_2:                               ; =>This Inner Loop Header: Depth=1
	global_load_dwordx4 v[6:9], v[4:5], off offset:-8
	v_add_co_u32_e32 v4, vcc, 0x2000, v4
	v_add_u32_e32 v1, 0x400, v1
	v_addc_co_u32_e32 v5, vcc, 0, v5, vcc
	v_cmp_le_i32_e32 vcc, s13, v1
	s_or_b64 s[10:11], vcc, s[10:11]
	s_waitcnt vmcnt(0)
	v_pk_add_f32 v[2:3], v[2:3], v[6:7]
	v_pk_add_f32 v[2:3], v[2:3], v[8:9]
	s_andn2_b64 exec, exec, s[10:11]
	s_cbranch_execnz .LBB84_2
; %bb.3:
	s_or_b64 exec, exec, s[10:11]
.LBB84_4:
	s_or_b64 exec, exec, s[8:9]
	s_sub_i32 s8, s12, s13
	v_cmp_gt_u32_e32 vcc, s8, v0
	s_and_saveexec_b64 s[8:9], vcc
	s_cbranch_execz .LBB84_6
; %bb.5:
	s_lshl_b64 s[4:5], s[4:5], 3
	s_add_u32 s0, s0, s4
	v_xad_u32 v4, v0, -1, s12
	v_mov_b32_e32 v5, 0
	s_addc_u32 s1, s1, s5
	v_lshlrev_b64 v[4:5], 3, v[4:5]
	v_mov_b32_e32 v1, s1
	v_add_co_u32_e32 v4, vcc, s0, v4
	v_addc_co_u32_e32 v5, vcc, v1, v5, vcc
	global_load_dwordx2 v[4:5], v[4:5], off
	s_waitcnt vmcnt(0)
	v_pk_add_f32 v[2:3], v[2:3], v[4:5]
.LBB84_6:
	s_or_b64 exec, exec, s[8:9]
	v_and_b32_e32 v6, 63, v0
	v_cmp_gt_u32_e32 vcc, 64, v0
	v_lshlrev_b32_e32 v1, 3, v6
	s_and_saveexec_b64 s[0:1], vcc
	s_cbranch_execz .LBB84_8
; %bb.7:
	v_mov_b32_e32 v4, 0
	v_mov_b32_e32 v5, v4
	ds_write_b64 v1, v[4:5]
.LBB84_8:
	s_or_b64 exec, exec, s[0:1]
	v_mbcnt_lo_u32_b32 v4, -1, 0
	v_mbcnt_hi_u32_b32 v9, -1, v4
	v_and_b32_e32 v10, 63, v9
	v_cmp_gt_u32_e64 s[0:1], 32, v10
	v_cndmask_b32_e64 v4, 0, 1, s[0:1]
	v_lshlrev_b32_e32 v4, 5, v4
	v_add_lshl_u32 v5, v4, v9, 2
	ds_bpermute_b32 v4, v5, v2
	ds_bpermute_b32 v5, v5, v3
	v_cmp_gt_u32_e64 s[0:1], 48, v10
	v_cndmask_b32_e64 v7, 0, 1, s[0:1]
	v_lshlrev_b32_e32 v7, 4, v7
	v_add_lshl_u32 v7, v7, v9, 2
	s_waitcnt lgkmcnt(0)
	v_pk_add_f32 v[2:3], v[2:3], v[4:5]
	ds_bpermute_b32 v4, v7, v2
	ds_bpermute_b32 v5, v7, v3
	v_cmp_gt_u32_e64 s[0:1], 56, v10
	v_cndmask_b32_e64 v7, 0, 1, s[0:1]
	v_lshlrev_b32_e32 v7, 3, v7
	v_add_lshl_u32 v7, v7, v9, 2
	s_waitcnt lgkmcnt(0)
	v_pk_add_f32 v[2:3], v[2:3], v[4:5]
	ds_bpermute_b32 v4, v7, v2
	ds_bpermute_b32 v5, v7, v3
	v_cmp_gt_u32_e64 s[0:1], 60, v10
	v_cndmask_b32_e64 v7, 0, 1, s[0:1]
	v_lshlrev_b32_e32 v7, 2, v7
	v_add_lshl_u32 v7, v7, v9, 2
	s_waitcnt lgkmcnt(0)
	v_pk_add_f32 v[2:3], v[2:3], v[4:5]
	ds_bpermute_b32 v4, v7, v2
	ds_bpermute_b32 v5, v7, v3
	v_cmp_gt_u32_e64 s[0:1], 62, v10
	v_cndmask_b32_e64 v8, 0, 1, s[0:1]
	v_lshlrev_b32_e32 v8, 1, v8
	v_add_lshl_u32 v8, v8, v9, 2
	s_waitcnt lgkmcnt(0)
	v_pk_add_f32 v[2:3], v[2:3], v[4:5]
	ds_bpermute_b32 v4, v8, v2
	ds_bpermute_b32 v5, v8, v3
	v_cmp_ne_u32_e64 s[0:1], 63, v10
	s_waitcnt lgkmcnt(0)
	s_barrier
	v_pk_add_f32 v[2:3], v[2:3], v[4:5]
	v_addc_co_u32_e64 v4, s[0:1], 0, v9, s[0:1]
	v_lshlrev_b32_e32 v9, 2, v4
	ds_bpermute_b32 v4, v9, v2
	ds_bpermute_b32 v5, v9, v3
	v_cmp_eq_u32_e64 s[0:1], 0, v6
	s_and_saveexec_b64 s[4:5], s[0:1]
	s_cbranch_execz .LBB84_10
; %bb.9:
	v_lshrrev_b32_e32 v6, 3, v0
	v_and_b32_e32 v6, 56, v6
	s_waitcnt lgkmcnt(0)
	v_pk_add_f32 v[2:3], v[2:3], v[4:5]
	ds_write_b64 v6, v[2:3]
.LBB84_10:
	s_or_b64 exec, exec, s[4:5]
	v_cmp_gt_u32_e64 s[0:1], 8, v0
	v_mov_b32_e32 v2, 0
	v_mov_b32_e32 v3, 0
	s_waitcnt lgkmcnt(0)
	s_barrier
	s_and_saveexec_b64 s[4:5], s[0:1]
	s_cbranch_execnz .LBB84_14
; %bb.11:
	s_or_b64 exec, exec, s[4:5]
	s_and_saveexec_b64 s[0:1], vcc
	s_cbranch_execnz .LBB84_15
.LBB84_12:
	s_or_b64 exec, exec, s[0:1]
	v_cmp_eq_u32_e32 vcc, 0, v0
	s_and_saveexec_b64 s[0:1], vcc
	s_cbranch_execnz .LBB84_16
.LBB84_13:
	s_endpgm
.LBB84_14:
	ds_read_b64 v[2:3], v1
	s_or_b64 exec, exec, s[4:5]
	s_and_saveexec_b64 s[0:1], vcc
	s_cbranch_execz .LBB84_12
.LBB84_15:
	s_waitcnt lgkmcnt(0)
	ds_bpermute_b32 v4, v7, v2
	ds_bpermute_b32 v5, v7, v3
	s_waitcnt lgkmcnt(0)
	v_pk_add_f32 v[2:3], v[2:3], v[4:5]
	ds_bpermute_b32 v4, v8, v2
	ds_bpermute_b32 v5, v8, v3
	s_waitcnt lgkmcnt(0)
	v_pk_add_f32 v[2:3], v[2:3], v[4:5]
	;; [unrolled: 4-line block ×3, first 2 shown]
	s_or_b64 exec, exec, s[0:1]
	v_cmp_eq_u32_e32 vcc, 0, v0
	s_and_saveexec_b64 s[0:1], vcc
	s_cbranch_execz .LBB84_13
.LBB84_16:
	s_lshl_b64 s[0:1], s[6:7], 3
	s_add_u32 s0, s2, s0
	s_addc_u32 s1, s3, s1
	v_mov_b32_e32 v0, 0
	s_waitcnt lgkmcnt(0)
	global_store_dwordx2 v0, v[2:3], s[0:1]
	s_endpgm
	.section	.rodata,"a",@progbits
	.p2align	6, 0x0
	.amdhsa_kernel _ZL30rocblas_reduction_kernel_part2ILi512ELi2E25rocblas_finalize_identity19rocblas_complex_numIfES2_EviPT2_PT3_
		.amdhsa_group_segment_fixed_size 512
		.amdhsa_private_segment_fixed_size 0
		.amdhsa_kernarg_size 24
		.amdhsa_user_sgpr_count 6
		.amdhsa_user_sgpr_private_segment_buffer 1
		.amdhsa_user_sgpr_dispatch_ptr 0
		.amdhsa_user_sgpr_queue_ptr 0
		.amdhsa_user_sgpr_kernarg_segment_ptr 1
		.amdhsa_user_sgpr_dispatch_id 0
		.amdhsa_user_sgpr_flat_scratch_init 0
		.amdhsa_user_sgpr_kernarg_preload_length 0
		.amdhsa_user_sgpr_kernarg_preload_offset 0
		.amdhsa_user_sgpr_private_segment_size 0
		.amdhsa_uses_dynamic_stack 0
		.amdhsa_system_sgpr_private_segment_wavefront_offset 0
		.amdhsa_system_sgpr_workgroup_id_x 1
		.amdhsa_system_sgpr_workgroup_id_y 0
		.amdhsa_system_sgpr_workgroup_id_z 0
		.amdhsa_system_sgpr_workgroup_info 0
		.amdhsa_system_vgpr_workitem_id 0
		.amdhsa_next_free_vgpr 11
		.amdhsa_next_free_sgpr 14
		.amdhsa_accum_offset 12
		.amdhsa_reserve_vcc 1
		.amdhsa_reserve_flat_scratch 0
		.amdhsa_float_round_mode_32 0
		.amdhsa_float_round_mode_16_64 0
		.amdhsa_float_denorm_mode_32 3
		.amdhsa_float_denorm_mode_16_64 3
		.amdhsa_dx10_clamp 1
		.amdhsa_ieee_mode 1
		.amdhsa_fp16_overflow 0
		.amdhsa_tg_split 0
		.amdhsa_exception_fp_ieee_invalid_op 0
		.amdhsa_exception_fp_denorm_src 0
		.amdhsa_exception_fp_ieee_div_zero 0
		.amdhsa_exception_fp_ieee_overflow 0
		.amdhsa_exception_fp_ieee_underflow 0
		.amdhsa_exception_fp_ieee_inexact 0
		.amdhsa_exception_int_div_zero 0
	.end_amdhsa_kernel
	.section	.text._ZL30rocblas_reduction_kernel_part2ILi512ELi2E25rocblas_finalize_identity19rocblas_complex_numIfES2_EviPT2_PT3_,"axG",@progbits,_ZL30rocblas_reduction_kernel_part2ILi512ELi2E25rocblas_finalize_identity19rocblas_complex_numIfES2_EviPT2_PT3_,comdat
.Lfunc_end84:
	.size	_ZL30rocblas_reduction_kernel_part2ILi512ELi2E25rocblas_finalize_identity19rocblas_complex_numIfES2_EviPT2_PT3_, .Lfunc_end84-_ZL30rocblas_reduction_kernel_part2ILi512ELi2E25rocblas_finalize_identity19rocblas_complex_numIfES2_EviPT2_PT3_
                                        ; -- End function
	.section	.AMDGPU.csdata,"",@progbits
; Kernel info:
; codeLenInByte = 940
; NumSgprs: 18
; NumVgprs: 11
; NumAgprs: 0
; TotalNumVgprs: 11
; ScratchSize: 0
; MemoryBound: 0
; FloatMode: 240
; IeeeMode: 1
; LDSByteSize: 512 bytes/workgroup (compile time only)
; SGPRBlocks: 2
; VGPRBlocks: 1
; NumSGPRsForWavesPerEU: 18
; NumVGPRsForWavesPerEU: 11
; AccumOffset: 12
; Occupancy: 8
; WaveLimiterHint : 0
; COMPUTE_PGM_RSRC2:SCRATCH_EN: 0
; COMPUTE_PGM_RSRC2:USER_SGPR: 6
; COMPUTE_PGM_RSRC2:TRAP_HANDLER: 0
; COMPUTE_PGM_RSRC2:TGID_X_EN: 1
; COMPUTE_PGM_RSRC2:TGID_Y_EN: 0
; COMPUTE_PGM_RSRC2:TGID_Z_EN: 0
; COMPUTE_PGM_RSRC2:TIDIG_COMP_CNT: 0
; COMPUTE_PGM_RSRC3_GFX90A:ACCUM_OFFSET: 2
; COMPUTE_PGM_RSRC3_GFX90A:TG_SPLIT: 0
	.section	.text._ZL28rocblas_dot_batched_4_kernelIlLi32ELi4ELb0E19rocblas_complex_numIfES1_PKS1_EviT5_lT_lS4_lS5_liPT4_,"axG",@progbits,_ZL28rocblas_dot_batched_4_kernelIlLi32ELi4ELb0E19rocblas_complex_numIfES1_PKS1_EviT5_lT_lS4_lS5_liPT4_,comdat
	.globl	_ZL28rocblas_dot_batched_4_kernelIlLi32ELi4ELb0E19rocblas_complex_numIfES1_PKS1_EviT5_lT_lS4_lS5_liPT4_ ; -- Begin function _ZL28rocblas_dot_batched_4_kernelIlLi32ELi4ELb0E19rocblas_complex_numIfES1_PKS1_EviT5_lT_lS4_lS5_liPT4_
	.p2align	8
	.type	_ZL28rocblas_dot_batched_4_kernelIlLi32ELi4ELb0E19rocblas_complex_numIfES1_PKS1_EviT5_lT_lS4_lS5_liPT4_,@function
_ZL28rocblas_dot_batched_4_kernelIlLi32ELi4ELb0E19rocblas_complex_numIfES1_PKS1_EviT5_lT_lS4_lS5_liPT4_: ; @_ZL28rocblas_dot_batched_4_kernelIlLi32ELi4ELb0E19rocblas_complex_numIfES1_PKS1_EviT5_lT_lS4_lS5_liPT4_
; %bb.0:
	s_load_dword s0, s[4:5], 0x48
	v_bfe_u32 v1, v0, 10, 10
	v_lshl_add_u32 v2, s6, 2, v1
	s_waitcnt lgkmcnt(0)
	v_cmp_gt_u32_e32 vcc, s0, v2
	s_and_saveexec_b64 s[0:1], vcc
	s_cbranch_execz .LBB85_7
; %bb.1:
	s_load_dword s16, s[4:5], 0x0
	s_load_dwordx2 s[0:1], s[4:5], 0x50
	v_mov_b32_e32 v3, 0
	v_and_b32_e32 v8, 0x3ff, v0
	v_mov_b32_e32 v1, v3
	s_waitcnt lgkmcnt(0)
	v_cmp_gt_i32_e32 vcc, s16, v8
	v_mov_b32_e32 v0, v3
	s_and_saveexec_b64 s[2:3], vcc
	s_cbranch_execz .LBB85_5
; %bb.2:
	s_load_dwordx4 s[20:23], s[4:5], 0x10
	s_load_dwordx2 s[6:7], s[4:5], 0x8
	s_load_dwordx8 s[8:15], s[4:5], 0x20
	s_load_dwordx2 s[18:19], s[4:5], 0x40
	s_waitcnt lgkmcnt(0)
	v_mad_u64_u32 v[0:1], s[4:5], s22, v8, 0
	v_mov_b32_e32 v4, v1
	v_mad_u64_u32 v[4:5], s[4:5], s23, v8, v[4:5]
	v_mov_b32_e32 v1, v4
	;; [unrolled: 2-line block ×4, first 2 shown]
	v_lshlrev_b64 v[0:1], 3, v[0:1]
	v_lshlrev_b64 v[4:5], 3, v[4:5]
	s_lshl_b64 s[4:5], s[20:21], 3
	v_add_co_u32_e32 v0, vcc, v0, v4
	s_add_u32 s4, s6, s4
	v_addc_co_u32_e32 v1, vcc, v1, v5, vcc
	s_addc_u32 s5, s7, s5
	v_mov_b32_e32 v5, s5
	v_add_co_u32_e32 v4, vcc, s4, v0
	v_addc_co_u32_e32 v5, vcc, v5, v1, vcc
	v_mad_u64_u32 v[0:1], s[6:7], s14, v8, 0
	v_mov_b32_e32 v6, v1
	v_mad_u64_u32 v[6:7], s[6:7], s15, v8, v[6:7]
	v_mov_b32_e32 v1, v6
	;; [unrolled: 2-line block ×4, first 2 shown]
	s_lshl_b64 s[4:5], s[22:23], 8
	v_lshlrev_b64 v[0:1], 3, v[0:1]
	v_lshlrev_b64 v[6:7], 3, v[6:7]
	s_lshl_b64 s[6:7], s[12:13], 3
	v_add_co_u32_e32 v0, vcc, v0, v6
	s_add_u32 s6, s10, s6
	v_addc_co_u32_e32 v1, vcc, v1, v7, vcc
	s_addc_u32 s7, s11, s7
	v_mov_b32_e32 v6, s7
	v_add_co_u32_e32 v0, vcc, s6, v0
	v_addc_co_u32_e32 v1, vcc, v6, v1, vcc
	v_add_co_u32_e32 v6, vcc, 4, v0
	s_lshl_b64 s[8:9], s[14:15], 8
	v_mov_b32_e32 v0, 0
	v_addc_co_u32_e32 v7, vcc, 0, v1, vcc
	s_mov_b64 s[6:7], 0
	v_mov_b32_e32 v9, s5
	v_mov_b32_e32 v10, s9
	;; [unrolled: 1-line block ×4, first 2 shown]
.LBB85_3:                               ; =>This Inner Loop Header: Depth=1
	global_load_dwordx2 v[12:13], v[6:7], off offset:-4
	global_load_dwordx2 v[14:15], v[4:5], off
	v_add_co_u32_e32 v4, vcc, s4, v4
	v_addc_co_u32_e32 v5, vcc, v5, v9, vcc
	v_add_co_u32_e32 v6, vcc, s8, v6
	v_add_u32_e32 v11, 32, v11
	v_addc_co_u32_e32 v7, vcc, v7, v10, vcc
	v_cmp_le_i32_e32 vcc, s16, v11
	s_or_b64 s[6:7], vcc, s[6:7]
	s_waitcnt vmcnt(0)
	v_pk_mul_f32 v[16:17], v[14:15], v[12:13] op_sel:[0,1]
	v_pk_fma_f32 v[18:19], v[14:15], v[12:13], v[16:17] op_sel:[0,0,1] op_sel_hi:[1,1,0] neg_lo:[0,0,1] neg_hi:[0,0,1]
	v_pk_fma_f32 v[12:13], v[14:15], v[12:13], v[16:17] op_sel:[0,0,1] op_sel_hi:[1,0,0]
	v_mov_b32_e32 v19, v13
	v_pk_add_f32 v[0:1], v[0:1], v[18:19]
	s_andn2_b64 exec, exec, s[6:7]
	s_cbranch_execnz .LBB85_3
; %bb.4:
	s_or_b64 exec, exec, s[6:7]
.LBB85_5:
	s_or_b64 exec, exec, s[2:3]
	v_mbcnt_lo_u32_b32 v4, -1, 0
	v_mbcnt_hi_u32_b32 v6, -1, v4
	v_and_b32_e32 v7, 63, v6
	v_cmp_gt_u32_e32 vcc, 48, v7
	v_cndmask_b32_e64 v4, 0, 1, vcc
	v_lshlrev_b32_e32 v4, 4, v4
	v_add_lshl_u32 v5, v4, v6, 2
	ds_bpermute_b32 v4, v5, v0
	ds_bpermute_b32 v5, v5, v1
	v_cmp_gt_u32_e32 vcc, 56, v7
	v_cndmask_b32_e64 v9, 0, 1, vcc
	v_lshlrev_b32_e32 v9, 3, v9
	v_add_lshl_u32 v9, v9, v6, 2
	s_waitcnt lgkmcnt(0)
	v_pk_add_f32 v[0:1], v[0:1], v[4:5]
	ds_bpermute_b32 v4, v9, v0
	ds_bpermute_b32 v5, v9, v1
	v_cmp_gt_u32_e32 vcc, 60, v7
	v_cndmask_b32_e64 v9, 0, 1, vcc
	v_lshlrev_b32_e32 v9, 2, v9
	v_add_lshl_u32 v9, v9, v6, 2
	s_waitcnt lgkmcnt(0)
	v_pk_add_f32 v[0:1], v[0:1], v[4:5]
	;; [unrolled: 8-line block ×3, first 2 shown]
	ds_bpermute_b32 v4, v9, v0
	ds_bpermute_b32 v5, v9, v1
	v_cmp_ne_u32_e32 vcc, 63, v7
	s_waitcnt lgkmcnt(0)
	s_barrier
	v_pk_add_f32 v[0:1], v[0:1], v[4:5]
	v_addc_co_u32_e32 v4, vcc, 0, v6, vcc
	v_lshlrev_b32_e32 v5, 2, v4
	ds_bpermute_b32 v4, v5, v0
	ds_bpermute_b32 v5, v5, v1
	v_cmp_eq_u32_e32 vcc, 0, v8
	s_and_b64 exec, exec, vcc
	s_cbranch_execz .LBB85_7
; %bb.6:
	v_lshlrev_b64 v[2:3], 3, v[2:3]
	v_mov_b32_e32 v6, s1
	v_add_co_u32_e32 v2, vcc, s0, v2
	v_addc_co_u32_e32 v3, vcc, v6, v3, vcc
	s_waitcnt lgkmcnt(0)
	v_pk_add_f32 v[0:1], v[0:1], v[4:5]
	global_store_dwordx2 v[2:3], v[0:1], off
.LBB85_7:
	s_endpgm
	.section	.rodata,"a",@progbits
	.p2align	6, 0x0
	.amdhsa_kernel _ZL28rocblas_dot_batched_4_kernelIlLi32ELi4ELb0E19rocblas_complex_numIfES1_PKS1_EviT5_lT_lS4_lS5_liPT4_
		.amdhsa_group_segment_fixed_size 0
		.amdhsa_private_segment_fixed_size 0
		.amdhsa_kernarg_size 88
		.amdhsa_user_sgpr_count 6
		.amdhsa_user_sgpr_private_segment_buffer 1
		.amdhsa_user_sgpr_dispatch_ptr 0
		.amdhsa_user_sgpr_queue_ptr 0
		.amdhsa_user_sgpr_kernarg_segment_ptr 1
		.amdhsa_user_sgpr_dispatch_id 0
		.amdhsa_user_sgpr_flat_scratch_init 0
		.amdhsa_user_sgpr_kernarg_preload_length 0
		.amdhsa_user_sgpr_kernarg_preload_offset 0
		.amdhsa_user_sgpr_private_segment_size 0
		.amdhsa_uses_dynamic_stack 0
		.amdhsa_system_sgpr_private_segment_wavefront_offset 0
		.amdhsa_system_sgpr_workgroup_id_x 1
		.amdhsa_system_sgpr_workgroup_id_y 0
		.amdhsa_system_sgpr_workgroup_id_z 0
		.amdhsa_system_sgpr_workgroup_info 0
		.amdhsa_system_vgpr_workitem_id 1
		.amdhsa_next_free_vgpr 20
		.amdhsa_next_free_sgpr 24
		.amdhsa_accum_offset 20
		.amdhsa_reserve_vcc 1
		.amdhsa_reserve_flat_scratch 0
		.amdhsa_float_round_mode_32 0
		.amdhsa_float_round_mode_16_64 0
		.amdhsa_float_denorm_mode_32 3
		.amdhsa_float_denorm_mode_16_64 3
		.amdhsa_dx10_clamp 1
		.amdhsa_ieee_mode 1
		.amdhsa_fp16_overflow 0
		.amdhsa_tg_split 0
		.amdhsa_exception_fp_ieee_invalid_op 0
		.amdhsa_exception_fp_denorm_src 0
		.amdhsa_exception_fp_ieee_div_zero 0
		.amdhsa_exception_fp_ieee_overflow 0
		.amdhsa_exception_fp_ieee_underflow 0
		.amdhsa_exception_fp_ieee_inexact 0
		.amdhsa_exception_int_div_zero 0
	.end_amdhsa_kernel
	.section	.text._ZL28rocblas_dot_batched_4_kernelIlLi32ELi4ELb0E19rocblas_complex_numIfES1_PKS1_EviT5_lT_lS4_lS5_liPT4_,"axG",@progbits,_ZL28rocblas_dot_batched_4_kernelIlLi32ELi4ELb0E19rocblas_complex_numIfES1_PKS1_EviT5_lT_lS4_lS5_liPT4_,comdat
.Lfunc_end85:
	.size	_ZL28rocblas_dot_batched_4_kernelIlLi32ELi4ELb0E19rocblas_complex_numIfES1_PKS1_EviT5_lT_lS4_lS5_liPT4_, .Lfunc_end85-_ZL28rocblas_dot_batched_4_kernelIlLi32ELi4ELb0E19rocblas_complex_numIfES1_PKS1_EviT5_lT_lS4_lS5_liPT4_
                                        ; -- End function
	.section	.AMDGPU.csdata,"",@progbits
; Kernel info:
; codeLenInByte = 776
; NumSgprs: 28
; NumVgprs: 20
; NumAgprs: 0
; TotalNumVgprs: 20
; ScratchSize: 0
; MemoryBound: 0
; FloatMode: 240
; IeeeMode: 1
; LDSByteSize: 0 bytes/workgroup (compile time only)
; SGPRBlocks: 3
; VGPRBlocks: 2
; NumSGPRsForWavesPerEU: 28
; NumVGPRsForWavesPerEU: 20
; AccumOffset: 20
; Occupancy: 8
; WaveLimiterHint : 0
; COMPUTE_PGM_RSRC2:SCRATCH_EN: 0
; COMPUTE_PGM_RSRC2:USER_SGPR: 6
; COMPUTE_PGM_RSRC2:TRAP_HANDLER: 0
; COMPUTE_PGM_RSRC2:TGID_X_EN: 1
; COMPUTE_PGM_RSRC2:TGID_Y_EN: 0
; COMPUTE_PGM_RSRC2:TGID_Z_EN: 0
; COMPUTE_PGM_RSRC2:TIDIG_COMP_CNT: 1
; COMPUTE_PGM_RSRC3_GFX90A:ACCUM_OFFSET: 4
; COMPUTE_PGM_RSRC3_GFX90A:TG_SPLIT: 0
	.section	.text._ZL28rocblas_dot_batched_4_kernelIlLi64ELi4ELb0E19rocblas_complex_numIfES1_PKS1_EviT5_lT_lS4_lS5_liPT4_,"axG",@progbits,_ZL28rocblas_dot_batched_4_kernelIlLi64ELi4ELb0E19rocblas_complex_numIfES1_PKS1_EviT5_lT_lS4_lS5_liPT4_,comdat
	.globl	_ZL28rocblas_dot_batched_4_kernelIlLi64ELi4ELb0E19rocblas_complex_numIfES1_PKS1_EviT5_lT_lS4_lS5_liPT4_ ; -- Begin function _ZL28rocblas_dot_batched_4_kernelIlLi64ELi4ELb0E19rocblas_complex_numIfES1_PKS1_EviT5_lT_lS4_lS5_liPT4_
	.p2align	8
	.type	_ZL28rocblas_dot_batched_4_kernelIlLi64ELi4ELb0E19rocblas_complex_numIfES1_PKS1_EviT5_lT_lS4_lS5_liPT4_,@function
_ZL28rocblas_dot_batched_4_kernelIlLi64ELi4ELb0E19rocblas_complex_numIfES1_PKS1_EviT5_lT_lS4_lS5_liPT4_: ; @_ZL28rocblas_dot_batched_4_kernelIlLi64ELi4ELb0E19rocblas_complex_numIfES1_PKS1_EviT5_lT_lS4_lS5_liPT4_
; %bb.0:
	s_load_dword s0, s[4:5], 0x48
	v_bfe_u32 v1, v0, 10, 10
	v_lshl_add_u32 v2, s6, 2, v1
	s_waitcnt lgkmcnt(0)
	v_cmp_gt_u32_e32 vcc, s0, v2
	s_and_saveexec_b64 s[0:1], vcc
	s_cbranch_execz .LBB86_7
; %bb.1:
	s_load_dword s16, s[4:5], 0x0
	s_load_dwordx2 s[0:1], s[4:5], 0x50
	v_mov_b32_e32 v3, 0
	v_and_b32_e32 v8, 0x3ff, v0
	v_mov_b32_e32 v1, v3
	s_waitcnt lgkmcnt(0)
	v_cmp_gt_i32_e32 vcc, s16, v8
	v_mov_b32_e32 v0, v3
	s_and_saveexec_b64 s[2:3], vcc
	s_cbranch_execz .LBB86_5
; %bb.2:
	s_load_dwordx4 s[20:23], s[4:5], 0x10
	s_load_dwordx2 s[6:7], s[4:5], 0x8
	s_load_dwordx8 s[8:15], s[4:5], 0x20
	s_load_dwordx2 s[18:19], s[4:5], 0x40
	s_waitcnt lgkmcnt(0)
	v_mad_u64_u32 v[0:1], s[4:5], s22, v8, 0
	v_mov_b32_e32 v4, v1
	v_mad_u64_u32 v[4:5], s[4:5], s23, v8, v[4:5]
	v_mov_b32_e32 v1, v4
	;; [unrolled: 2-line block ×4, first 2 shown]
	v_lshlrev_b64 v[0:1], 3, v[0:1]
	v_lshlrev_b64 v[4:5], 3, v[4:5]
	s_lshl_b64 s[4:5], s[20:21], 3
	v_add_co_u32_e32 v0, vcc, v0, v4
	s_add_u32 s4, s6, s4
	v_addc_co_u32_e32 v1, vcc, v1, v5, vcc
	s_addc_u32 s5, s7, s5
	v_mov_b32_e32 v5, s5
	v_add_co_u32_e32 v4, vcc, s4, v0
	v_addc_co_u32_e32 v5, vcc, v5, v1, vcc
	v_mad_u64_u32 v[0:1], s[6:7], s14, v8, 0
	v_mov_b32_e32 v6, v1
	v_mad_u64_u32 v[6:7], s[6:7], s15, v8, v[6:7]
	v_mov_b32_e32 v1, v6
	;; [unrolled: 2-line block ×4, first 2 shown]
	s_lshl_b64 s[4:5], s[22:23], 9
	v_lshlrev_b64 v[0:1], 3, v[0:1]
	v_lshlrev_b64 v[6:7], 3, v[6:7]
	s_lshl_b64 s[6:7], s[12:13], 3
	v_add_co_u32_e32 v0, vcc, v0, v6
	s_add_u32 s6, s10, s6
	v_addc_co_u32_e32 v1, vcc, v1, v7, vcc
	s_addc_u32 s7, s11, s7
	v_mov_b32_e32 v6, s7
	v_add_co_u32_e32 v0, vcc, s6, v0
	v_addc_co_u32_e32 v1, vcc, v6, v1, vcc
	v_add_co_u32_e32 v6, vcc, 4, v0
	s_lshl_b64 s[8:9], s[14:15], 9
	v_mov_b32_e32 v0, 0
	v_addc_co_u32_e32 v7, vcc, 0, v1, vcc
	s_mov_b64 s[6:7], 0
	v_mov_b32_e32 v9, s5
	v_mov_b32_e32 v10, s9
	;; [unrolled: 1-line block ×4, first 2 shown]
.LBB86_3:                               ; =>This Inner Loop Header: Depth=1
	global_load_dwordx2 v[12:13], v[6:7], off offset:-4
	global_load_dwordx2 v[14:15], v[4:5], off
	v_add_co_u32_e32 v4, vcc, s4, v4
	v_addc_co_u32_e32 v5, vcc, v5, v9, vcc
	v_add_co_u32_e32 v6, vcc, s8, v6
	v_add_u32_e32 v11, 64, v11
	v_addc_co_u32_e32 v7, vcc, v7, v10, vcc
	v_cmp_le_i32_e32 vcc, s16, v11
	s_or_b64 s[6:7], vcc, s[6:7]
	s_waitcnt vmcnt(0)
	v_pk_mul_f32 v[16:17], v[14:15], v[12:13] op_sel:[0,1]
	v_pk_fma_f32 v[18:19], v[14:15], v[12:13], v[16:17] op_sel:[0,0,1] op_sel_hi:[1,1,0] neg_lo:[0,0,1] neg_hi:[0,0,1]
	v_pk_fma_f32 v[12:13], v[14:15], v[12:13], v[16:17] op_sel:[0,0,1] op_sel_hi:[1,0,0]
	v_mov_b32_e32 v19, v13
	v_pk_add_f32 v[0:1], v[0:1], v[18:19]
	s_andn2_b64 exec, exec, s[6:7]
	s_cbranch_execnz .LBB86_3
; %bb.4:
	s_or_b64 exec, exec, s[6:7]
.LBB86_5:
	s_or_b64 exec, exec, s[2:3]
	v_mbcnt_lo_u32_b32 v4, -1, 0
	v_mbcnt_hi_u32_b32 v6, -1, v4
	v_and_b32_e32 v7, 63, v6
	v_cmp_gt_u32_e32 vcc, 32, v7
	v_cndmask_b32_e64 v4, 0, 1, vcc
	v_lshlrev_b32_e32 v4, 5, v4
	v_add_lshl_u32 v5, v4, v6, 2
	ds_bpermute_b32 v4, v5, v0
	ds_bpermute_b32 v5, v5, v1
	v_cmp_gt_u32_e32 vcc, 48, v7
	v_cndmask_b32_e64 v9, 0, 1, vcc
	v_lshlrev_b32_e32 v9, 4, v9
	v_add_lshl_u32 v9, v9, v6, 2
	s_waitcnt lgkmcnt(0)
	v_pk_add_f32 v[0:1], v[0:1], v[4:5]
	ds_bpermute_b32 v4, v9, v0
	ds_bpermute_b32 v5, v9, v1
	v_cmp_gt_u32_e32 vcc, 56, v7
	v_cndmask_b32_e64 v9, 0, 1, vcc
	v_lshlrev_b32_e32 v9, 3, v9
	v_add_lshl_u32 v9, v9, v6, 2
	s_waitcnt lgkmcnt(0)
	v_pk_add_f32 v[0:1], v[0:1], v[4:5]
	;; [unrolled: 8-line block ×4, first 2 shown]
	ds_bpermute_b32 v4, v9, v0
	ds_bpermute_b32 v5, v9, v1
	v_cmp_ne_u32_e32 vcc, 63, v7
	s_waitcnt lgkmcnt(0)
	s_barrier
	v_pk_add_f32 v[0:1], v[0:1], v[4:5]
	v_addc_co_u32_e32 v4, vcc, 0, v6, vcc
	v_lshlrev_b32_e32 v5, 2, v4
	ds_bpermute_b32 v4, v5, v0
	ds_bpermute_b32 v5, v5, v1
	v_cmp_eq_u32_e32 vcc, 0, v8
	s_and_b64 exec, exec, vcc
	s_cbranch_execz .LBB86_7
; %bb.6:
	v_lshlrev_b64 v[2:3], 3, v[2:3]
	v_mov_b32_e32 v6, s1
	v_add_co_u32_e32 v2, vcc, s0, v2
	v_addc_co_u32_e32 v3, vcc, v6, v3, vcc
	s_waitcnt lgkmcnt(0)
	v_pk_add_f32 v[0:1], v[0:1], v[4:5]
	global_store_dwordx2 v[2:3], v[0:1], off
.LBB86_7:
	s_endpgm
	.section	.rodata,"a",@progbits
	.p2align	6, 0x0
	.amdhsa_kernel _ZL28rocblas_dot_batched_4_kernelIlLi64ELi4ELb0E19rocblas_complex_numIfES1_PKS1_EviT5_lT_lS4_lS5_liPT4_
		.amdhsa_group_segment_fixed_size 0
		.amdhsa_private_segment_fixed_size 0
		.amdhsa_kernarg_size 88
		.amdhsa_user_sgpr_count 6
		.amdhsa_user_sgpr_private_segment_buffer 1
		.amdhsa_user_sgpr_dispatch_ptr 0
		.amdhsa_user_sgpr_queue_ptr 0
		.amdhsa_user_sgpr_kernarg_segment_ptr 1
		.amdhsa_user_sgpr_dispatch_id 0
		.amdhsa_user_sgpr_flat_scratch_init 0
		.amdhsa_user_sgpr_kernarg_preload_length 0
		.amdhsa_user_sgpr_kernarg_preload_offset 0
		.amdhsa_user_sgpr_private_segment_size 0
		.amdhsa_uses_dynamic_stack 0
		.amdhsa_system_sgpr_private_segment_wavefront_offset 0
		.amdhsa_system_sgpr_workgroup_id_x 1
		.amdhsa_system_sgpr_workgroup_id_y 0
		.amdhsa_system_sgpr_workgroup_id_z 0
		.amdhsa_system_sgpr_workgroup_info 0
		.amdhsa_system_vgpr_workitem_id 1
		.amdhsa_next_free_vgpr 20
		.amdhsa_next_free_sgpr 24
		.amdhsa_accum_offset 20
		.amdhsa_reserve_vcc 1
		.amdhsa_reserve_flat_scratch 0
		.amdhsa_float_round_mode_32 0
		.amdhsa_float_round_mode_16_64 0
		.amdhsa_float_denorm_mode_32 3
		.amdhsa_float_denorm_mode_16_64 3
		.amdhsa_dx10_clamp 1
		.amdhsa_ieee_mode 1
		.amdhsa_fp16_overflow 0
		.amdhsa_tg_split 0
		.amdhsa_exception_fp_ieee_invalid_op 0
		.amdhsa_exception_fp_denorm_src 0
		.amdhsa_exception_fp_ieee_div_zero 0
		.amdhsa_exception_fp_ieee_overflow 0
		.amdhsa_exception_fp_ieee_underflow 0
		.amdhsa_exception_fp_ieee_inexact 0
		.amdhsa_exception_int_div_zero 0
	.end_amdhsa_kernel
	.section	.text._ZL28rocblas_dot_batched_4_kernelIlLi64ELi4ELb0E19rocblas_complex_numIfES1_PKS1_EviT5_lT_lS4_lS5_liPT4_,"axG",@progbits,_ZL28rocblas_dot_batched_4_kernelIlLi64ELi4ELb0E19rocblas_complex_numIfES1_PKS1_EviT5_lT_lS4_lS5_liPT4_,comdat
.Lfunc_end86:
	.size	_ZL28rocblas_dot_batched_4_kernelIlLi64ELi4ELb0E19rocblas_complex_numIfES1_PKS1_EviT5_lT_lS4_lS5_liPT4_, .Lfunc_end86-_ZL28rocblas_dot_batched_4_kernelIlLi64ELi4ELb0E19rocblas_complex_numIfES1_PKS1_EviT5_lT_lS4_lS5_liPT4_
                                        ; -- End function
	.section	.AMDGPU.csdata,"",@progbits
; Kernel info:
; codeLenInByte = 828
; NumSgprs: 28
; NumVgprs: 20
; NumAgprs: 0
; TotalNumVgprs: 20
; ScratchSize: 0
; MemoryBound: 0
; FloatMode: 240
; IeeeMode: 1
; LDSByteSize: 0 bytes/workgroup (compile time only)
; SGPRBlocks: 3
; VGPRBlocks: 2
; NumSGPRsForWavesPerEU: 28
; NumVGPRsForWavesPerEU: 20
; AccumOffset: 20
; Occupancy: 8
; WaveLimiterHint : 0
; COMPUTE_PGM_RSRC2:SCRATCH_EN: 0
; COMPUTE_PGM_RSRC2:USER_SGPR: 6
; COMPUTE_PGM_RSRC2:TRAP_HANDLER: 0
; COMPUTE_PGM_RSRC2:TGID_X_EN: 1
; COMPUTE_PGM_RSRC2:TGID_Y_EN: 0
; COMPUTE_PGM_RSRC2:TGID_Z_EN: 0
; COMPUTE_PGM_RSRC2:TIDIG_COMP_CNT: 1
; COMPUTE_PGM_RSRC3_GFX90A:ACCUM_OFFSET: 4
; COMPUTE_PGM_RSRC3_GFX90A:TG_SPLIT: 0
	.section	.text._ZL18rocblas_dot_kernelIlLb1ELi1024ELi32ELb0E19rocblas_complex_numIfEPKS1_S1_EviT5_lT_lS4_lS5_liPT6_PT4_,"axG",@progbits,_ZL18rocblas_dot_kernelIlLb1ELi1024ELi32ELb0E19rocblas_complex_numIfEPKS1_S1_EviT5_lT_lS4_lS5_liPT6_PT4_,comdat
	.globl	_ZL18rocblas_dot_kernelIlLb1ELi1024ELi32ELb0E19rocblas_complex_numIfEPKS1_S1_EviT5_lT_lS4_lS5_liPT6_PT4_ ; -- Begin function _ZL18rocblas_dot_kernelIlLb1ELi1024ELi32ELb0E19rocblas_complex_numIfEPKS1_S1_EviT5_lT_lS4_lS5_liPT6_PT4_
	.p2align	8
	.type	_ZL18rocblas_dot_kernelIlLb1ELi1024ELi32ELb0E19rocblas_complex_numIfEPKS1_S1_EviT5_lT_lS4_lS5_liPT6_PT4_,@function
_ZL18rocblas_dot_kernelIlLb1ELi1024ELi32ELb0E19rocblas_complex_numIfEPKS1_S1_EviT5_lT_lS4_lS5_liPT6_PT4_: ; @_ZL18rocblas_dot_kernelIlLb1ELi1024ELi32ELb0E19rocblas_complex_numIfEPKS1_S1_EviT5_lT_lS4_lS5_liPT6_PT4_
; %bb.0:
	s_mov_b32 s2, s7
	s_load_dword s18, s[4:5], 0x0
	s_load_dwordx2 s[6:7], s[4:5], 0x58
	v_mov_b32_e32 v3, 0
	s_mov_b32 s3, 0
	v_mov_b32_e32 v2, v3
	s_waitcnt lgkmcnt(0)
	v_cmp_gt_i32_e32 vcc, s18, v0
	s_and_saveexec_b64 s[16:17], vcc
	s_cbranch_execz .LBB87_4
; %bb.1:
	s_load_dword s19, s[4:5], 0x60
	s_load_dwordx2 s[0:1], s[4:5], 0x40
	s_load_dwordx8 s[8:15], s[4:5], 0x20
	s_load_dwordx2 s[24:25], s[4:5], 0x8
	s_load_dwordx4 s[20:23], s[4:5], 0x10
	s_waitcnt lgkmcnt(0)
	s_lshl_b32 s19, s19, 10
	s_mul_i32 s1, s1, s2
	s_mul_i32 s4, s9, s2
	s_mul_hi_u32 s5, s8, s2
	s_add_i32 s5, s5, s4
	s_mul_i32 s4, s8, s2
	v_mad_u64_u32 v[2:3], s[8:9], s22, v0, 0
	v_mov_b32_e32 v4, v3
	v_mad_u64_u32 v[4:5], s[8:9], s23, v0, v[4:5]
	s_lshl_b64 s[4:5], s[4:5], 3
	s_lshl_b64 s[8:9], s[20:21], 3
	s_add_u32 s8, s24, s8
	s_addc_u32 s9, s25, s9
	v_mov_b32_e32 v3, v4
	s_add_u32 s4, s8, s4
	v_lshlrev_b64 v[2:3], 3, v[2:3]
	s_addc_u32 s5, s9, s5
	v_mov_b32_e32 v5, s5
	v_add_co_u32_e32 v4, vcc, s4, v2
	s_ashr_i32 s20, s19, 31
	s_mul_hi_u32 s8, s0, s2
	v_addc_co_u32_e32 v5, vcc, v5, v3, vcc
	s_mul_i32 s4, s22, s20
	s_mul_hi_u32 s5, s22, s19
	s_add_i32 s1, s8, s1
	v_mad_u64_u32 v[2:3], s[8:9], s14, v0, 0
	s_add_i32 s4, s5, s4
	s_mul_i32 s5, s23, s19
	v_mov_b32_e32 v6, v3
	s_add_i32 s5, s4, s5
	s_mul_i32 s4, s22, s19
	s_mul_i32 s0, s0, s2
	v_mad_u64_u32 v[6:7], s[8:9], s15, v0, v[6:7]
	s_lshl_b64 s[4:5], s[4:5], 3
	s_lshl_b64 s[0:1], s[0:1], 3
	;; [unrolled: 1-line block ×3, first 2 shown]
	s_add_u32 s8, s10, s8
	s_addc_u32 s9, s11, s9
	v_mov_b32_e32 v3, v6
	s_add_u32 s0, s8, s0
	v_lshlrev_b64 v[2:3], 3, v[2:3]
	s_addc_u32 s1, s9, s1
	v_mov_b32_e32 v7, s1
	v_add_co_u32_e32 v6, vcc, s0, v2
	s_mul_i32 s0, s14, s20
	s_mul_hi_u32 s1, s14, s19
	s_add_i32 s0, s1, s0
	s_mul_i32 s1, s15, s19
	s_add_i32 s1, s0, s1
	s_mul_i32 s0, s14, s19
	s_lshl_b64 s[10:11], s[0:1], 3
	v_mov_b32_e32 v2, 0
	v_or_b32_e32 v1, s19, v0
	v_addc_co_u32_e32 v7, vcc, v7, v3, vcc
	s_mov_b64 s[8:9], 0
	v_mov_b32_e32 v8, s5
	v_mov_b32_e32 v9, s11
	s_mov_b32 s5, s3
	v_mov_b32_e32 v3, v2
.LBB87_2:                               ; =>This Inner Loop Header: Depth=1
	global_load_dwordx2 v[10:11], v[6:7], off
	global_load_dwordx2 v[12:13], v[4:5], off
	v_add_co_u32_e64 v4, s[0:1], s4, v4
	v_addc_co_u32_e64 v5, s[0:1], v5, v8, s[0:1]
	s_add_i32 s11, s5, 1
	v_add_co_u32_e64 v6, s[0:1], s10, v6
	v_addc_co_u32_e64 v7, s[0:1], v7, v9, s[0:1]
	s_cmp_gt_u32 s5, 30
	v_cmp_le_i32_e32 vcc, s18, v1
	s_cselect_b64 s[0:1], -1, 0
	s_or_b64 s[0:1], s[0:1], vcc
	s_and_b64 s[0:1], exec, s[0:1]
	v_add_u32_e32 v1, s19, v1
	s_mov_b32 s5, s11
	s_or_b64 s[8:9], s[0:1], s[8:9]
	s_waitcnt vmcnt(0)
	v_pk_mul_f32 v[14:15], v[12:13], v[10:11] op_sel:[0,1]
	v_pk_fma_f32 v[16:17], v[12:13], v[10:11], v[14:15] op_sel:[0,0,1] op_sel_hi:[1,1,0] neg_lo:[0,0,1] neg_hi:[0,0,1]
	v_pk_fma_f32 v[10:11], v[12:13], v[10:11], v[14:15] op_sel:[0,0,1] op_sel_hi:[1,0,0]
	v_mov_b32_e32 v17, v11
	v_pk_add_f32 v[2:3], v[2:3], v[16:17]
	s_andn2_b64 exec, exec, s[8:9]
	s_cbranch_execnz .LBB87_2
; %bb.3:
	s_or_b64 exec, exec, s[8:9]
.LBB87_4:
	s_or_b64 exec, exec, s[16:17]
	v_and_b32_e32 v6, 63, v0
	v_cmp_gt_u32_e32 vcc, 64, v0
	v_lshlrev_b32_e32 v1, 3, v6
	s_and_saveexec_b64 s[0:1], vcc
	s_cbranch_execz .LBB87_6
; %bb.5:
	v_mov_b32_e32 v4, 0
	v_mov_b32_e32 v5, v4
	ds_write_b64 v1, v[4:5]
.LBB87_6:
	s_or_b64 exec, exec, s[0:1]
	v_mbcnt_lo_u32_b32 v4, -1, 0
	v_mbcnt_hi_u32_b32 v10, -1, v4
	v_and_b32_e32 v11, 63, v10
	v_cmp_gt_u32_e64 s[0:1], 32, v11
	v_cndmask_b32_e64 v4, 0, 1, s[0:1]
	v_lshlrev_b32_e32 v4, 5, v4
	v_add_lshl_u32 v5, v4, v10, 2
	ds_bpermute_b32 v4, v5, v2
	ds_bpermute_b32 v5, v5, v3
	v_cmp_gt_u32_e64 s[0:1], 48, v11
	v_cndmask_b32_e64 v7, 0, 1, s[0:1]
	v_lshlrev_b32_e32 v7, 4, v7
	v_add_lshl_u32 v7, v7, v10, 2
	s_waitcnt lgkmcnt(0)
	v_pk_add_f32 v[2:3], v[2:3], v[4:5]
	ds_bpermute_b32 v4, v7, v2
	ds_bpermute_b32 v5, v7, v3
	v_cmp_gt_u32_e64 s[0:1], 56, v11
	v_cndmask_b32_e64 v7, 0, 1, s[0:1]
	v_lshlrev_b32_e32 v7, 3, v7
	v_add_lshl_u32 v7, v7, v10, 2
	s_waitcnt lgkmcnt(0)
	v_pk_add_f32 v[2:3], v[2:3], v[4:5]
	;; [unrolled: 8-line block ×4, first 2 shown]
	ds_bpermute_b32 v4, v9, v2
	ds_bpermute_b32 v5, v9, v3
	v_cmp_ne_u32_e64 s[0:1], 63, v11
	s_waitcnt lgkmcnt(0)
	s_barrier
	v_pk_add_f32 v[2:3], v[2:3], v[4:5]
	v_addc_co_u32_e64 v4, s[0:1], 0, v10, s[0:1]
	v_lshlrev_b32_e32 v10, 2, v4
	ds_bpermute_b32 v4, v10, v2
	ds_bpermute_b32 v5, v10, v3
	v_cmp_eq_u32_e64 s[0:1], 0, v6
	s_and_saveexec_b64 s[4:5], s[0:1]
	s_cbranch_execz .LBB87_8
; %bb.7:
	v_lshrrev_b32_e32 v6, 3, v0
	v_and_b32_e32 v6, 0x78, v6
	s_waitcnt lgkmcnt(0)
	v_pk_add_f32 v[2:3], v[2:3], v[4:5]
	ds_write_b64 v6, v[2:3]
.LBB87_8:
	s_or_b64 exec, exec, s[4:5]
	v_cmp_gt_u32_e64 s[0:1], 16, v0
	v_mov_b32_e32 v2, 0
	v_mov_b32_e32 v3, 0
	s_waitcnt lgkmcnt(0)
	s_barrier
	s_and_saveexec_b64 s[4:5], s[0:1]
	s_cbranch_execnz .LBB87_12
; %bb.9:
	s_or_b64 exec, exec, s[4:5]
	s_and_saveexec_b64 s[0:1], vcc
	s_cbranch_execnz .LBB87_13
.LBB87_10:
	s_or_b64 exec, exec, s[0:1]
	v_cmp_eq_u32_e32 vcc, 0, v0
	s_and_saveexec_b64 s[0:1], vcc
	s_cbranch_execnz .LBB87_14
.LBB87_11:
	s_endpgm
.LBB87_12:
	ds_read_b64 v[2:3], v1
	s_or_b64 exec, exec, s[4:5]
	s_and_saveexec_b64 s[0:1], vcc
	s_cbranch_execz .LBB87_10
.LBB87_13:
	s_waitcnt lgkmcnt(0)
	ds_bpermute_b32 v4, v7, v2
	ds_bpermute_b32 v5, v7, v3
	s_waitcnt lgkmcnt(0)
	v_pk_add_f32 v[2:3], v[2:3], v[4:5]
	ds_bpermute_b32 v4, v8, v2
	ds_bpermute_b32 v5, v8, v3
	s_waitcnt lgkmcnt(0)
	v_pk_add_f32 v[2:3], v[2:3], v[4:5]
	;; [unrolled: 4-line block ×4, first 2 shown]
	s_or_b64 exec, exec, s[0:1]
	v_cmp_eq_u32_e32 vcc, 0, v0
	s_and_saveexec_b64 s[0:1], vcc
	s_cbranch_execz .LBB87_11
.LBB87_14:
	s_lshl_b64 s[0:1], s[2:3], 3
	s_add_u32 s0, s6, s0
	s_addc_u32 s1, s7, s1
	v_mov_b32_e32 v0, 0
	s_waitcnt lgkmcnt(0)
	global_store_dwordx2 v0, v[2:3], s[0:1]
	s_endpgm
	.section	.rodata,"a",@progbits
	.p2align	6, 0x0
	.amdhsa_kernel _ZL18rocblas_dot_kernelIlLb1ELi1024ELi32ELb0E19rocblas_complex_numIfEPKS1_S1_EviT5_lT_lS4_lS5_liPT6_PT4_
		.amdhsa_group_segment_fixed_size 512
		.amdhsa_private_segment_fixed_size 0
		.amdhsa_kernarg_size 352
		.amdhsa_user_sgpr_count 6
		.amdhsa_user_sgpr_private_segment_buffer 1
		.amdhsa_user_sgpr_dispatch_ptr 0
		.amdhsa_user_sgpr_queue_ptr 0
		.amdhsa_user_sgpr_kernarg_segment_ptr 1
		.amdhsa_user_sgpr_dispatch_id 0
		.amdhsa_user_sgpr_flat_scratch_init 0
		.amdhsa_user_sgpr_kernarg_preload_length 0
		.amdhsa_user_sgpr_kernarg_preload_offset 0
		.amdhsa_user_sgpr_private_segment_size 0
		.amdhsa_uses_dynamic_stack 0
		.amdhsa_system_sgpr_private_segment_wavefront_offset 0
		.amdhsa_system_sgpr_workgroup_id_x 1
		.amdhsa_system_sgpr_workgroup_id_y 0
		.amdhsa_system_sgpr_workgroup_id_z 1
		.amdhsa_system_sgpr_workgroup_info 0
		.amdhsa_system_vgpr_workitem_id 0
		.amdhsa_next_free_vgpr 18
		.amdhsa_next_free_sgpr 26
		.amdhsa_accum_offset 20
		.amdhsa_reserve_vcc 1
		.amdhsa_reserve_flat_scratch 0
		.amdhsa_float_round_mode_32 0
		.amdhsa_float_round_mode_16_64 0
		.amdhsa_float_denorm_mode_32 3
		.amdhsa_float_denorm_mode_16_64 3
		.amdhsa_dx10_clamp 1
		.amdhsa_ieee_mode 1
		.amdhsa_fp16_overflow 0
		.amdhsa_tg_split 0
		.amdhsa_exception_fp_ieee_invalid_op 0
		.amdhsa_exception_fp_denorm_src 0
		.amdhsa_exception_fp_ieee_div_zero 0
		.amdhsa_exception_fp_ieee_overflow 0
		.amdhsa_exception_fp_ieee_underflow 0
		.amdhsa_exception_fp_ieee_inexact 0
		.amdhsa_exception_int_div_zero 0
	.end_amdhsa_kernel
	.section	.text._ZL18rocblas_dot_kernelIlLb1ELi1024ELi32ELb0E19rocblas_complex_numIfEPKS1_S1_EviT5_lT_lS4_lS5_liPT6_PT4_,"axG",@progbits,_ZL18rocblas_dot_kernelIlLb1ELi1024ELi32ELb0E19rocblas_complex_numIfEPKS1_S1_EviT5_lT_lS4_lS5_liPT6_PT4_,comdat
.Lfunc_end87:
	.size	_ZL18rocblas_dot_kernelIlLb1ELi1024ELi32ELb0E19rocblas_complex_numIfEPKS1_S1_EviT5_lT_lS4_lS5_liPT6_PT4_, .Lfunc_end87-_ZL18rocblas_dot_kernelIlLb1ELi1024ELi32ELb0E19rocblas_complex_numIfEPKS1_S1_EviT5_lT_lS4_lS5_liPT6_PT4_
                                        ; -- End function
	.section	.AMDGPU.csdata,"",@progbits
; Kernel info:
; codeLenInByte = 1172
; NumSgprs: 30
; NumVgprs: 18
; NumAgprs: 0
; TotalNumVgprs: 18
; ScratchSize: 0
; MemoryBound: 0
; FloatMode: 240
; IeeeMode: 1
; LDSByteSize: 512 bytes/workgroup (compile time only)
; SGPRBlocks: 3
; VGPRBlocks: 2
; NumSGPRsForWavesPerEU: 30
; NumVGPRsForWavesPerEU: 18
; AccumOffset: 20
; Occupancy: 8
; WaveLimiterHint : 0
; COMPUTE_PGM_RSRC2:SCRATCH_EN: 0
; COMPUTE_PGM_RSRC2:USER_SGPR: 6
; COMPUTE_PGM_RSRC2:TRAP_HANDLER: 0
; COMPUTE_PGM_RSRC2:TGID_X_EN: 1
; COMPUTE_PGM_RSRC2:TGID_Y_EN: 0
; COMPUTE_PGM_RSRC2:TGID_Z_EN: 1
; COMPUTE_PGM_RSRC2:TIDIG_COMP_CNT: 0
; COMPUTE_PGM_RSRC3_GFX90A:ACCUM_OFFSET: 4
; COMPUTE_PGM_RSRC3_GFX90A:TG_SPLIT: 0
	.section	.text._ZL24rocblas_dot_kernel_magsqIlLb1ELi1024ELi32ELb0E19rocblas_complex_numIfEPKS1_S1_EviT5_lT_liPT6_PT4_,"axG",@progbits,_ZL24rocblas_dot_kernel_magsqIlLb1ELi1024ELi32ELb0E19rocblas_complex_numIfEPKS1_S1_EviT5_lT_liPT6_PT4_,comdat
	.globl	_ZL24rocblas_dot_kernel_magsqIlLb1ELi1024ELi32ELb0E19rocblas_complex_numIfEPKS1_S1_EviT5_lT_liPT6_PT4_ ; -- Begin function _ZL24rocblas_dot_kernel_magsqIlLb1ELi1024ELi32ELb0E19rocblas_complex_numIfEPKS1_S1_EviT5_lT_liPT6_PT4_
	.p2align	8
	.type	_ZL24rocblas_dot_kernel_magsqIlLb1ELi1024ELi32ELb0E19rocblas_complex_numIfEPKS1_S1_EviT5_lT_liPT6_PT4_,@function
_ZL24rocblas_dot_kernel_magsqIlLb1ELi1024ELi32ELb0E19rocblas_complex_numIfEPKS1_S1_EviT5_lT_liPT6_PT4_: ; @_ZL24rocblas_dot_kernel_magsqIlLb1ELi1024ELi32ELb0E19rocblas_complex_numIfEPKS1_S1_EviT5_lT_liPT6_PT4_
; %bb.0:
	s_mov_b32 s2, s7
	s_load_dword s12, s[4:5], 0x0
	s_load_dwordx2 s[6:7], s[4:5], 0x38
	v_mov_b32_e32 v3, 0
	s_mov_b32 s3, 0
	v_mov_b32_e32 v2, v3
	s_waitcnt lgkmcnt(0)
	v_cmp_gt_i32_e32 vcc, s12, v0
	s_and_saveexec_b64 s[8:9], vcc
	s_cbranch_execz .LBB88_4
; %bb.1:
	s_load_dword s13, s[4:5], 0x40
	s_load_dwordx2 s[0:1], s[4:5], 0x20
	s_load_dwordx2 s[10:11], s[4:5], 0x8
	s_load_dwordx4 s[16:19], s[4:5], 0x10
	s_waitcnt lgkmcnt(0)
	s_lshl_b32 s13, s13, 10
	s_mul_i32 s1, s1, s2
	s_mul_hi_u32 s4, s0, s2
	s_add_i32 s1, s4, s1
	v_mad_u64_u32 v[2:3], s[4:5], s18, v0, 0
	v_mov_b32_e32 v4, v3
	s_mul_i32 s0, s0, s2
	v_mad_u64_u32 v[4:5], s[4:5], s19, v0, v[4:5]
	s_lshl_b64 s[0:1], s[0:1], 3
	s_lshl_b64 s[4:5], s[16:17], 3
	s_add_u32 s4, s10, s4
	v_mov_b32_e32 v3, v4
	s_addc_u32 s5, s11, s5
	v_lshlrev_b64 v[2:3], 3, v[2:3]
	s_add_u32 s0, s4, s0
	s_addc_u32 s1, s5, s1
	v_add_co_u32_e32 v4, vcc, s0, v2
	s_ashr_i32 s0, s13, 31
	v_mov_b32_e32 v5, s1
	s_mul_i32 s0, s18, s0
	s_mul_hi_u32 s1, s18, s13
	s_add_i32 s0, s1, s0
	s_mul_i32 s1, s19, s13
	s_add_i32 s1, s0, s1
	s_mul_i32 s0, s18, s13
	s_lshl_b64 s[10:11], s[0:1], 3
	v_mov_b32_e32 v2, 0
	v_or_b32_e32 v1, s13, v0
	v_addc_co_u32_e32 v5, vcc, v5, v3, vcc
	s_mov_b64 s[4:5], 0
	v_mov_b32_e32 v6, s11
	s_mov_b32 s11, s3
	v_mov_b32_e32 v3, v2
.LBB88_2:                               ; =>This Inner Loop Header: Depth=1
	global_load_dwordx2 v[8:9], v[4:5], off
	s_add_i32 s14, s11, 1
	v_add_co_u32_e64 v4, s[0:1], s10, v4
	v_addc_co_u32_e64 v5, s[0:1], v5, v6, s[0:1]
	s_cmp_gt_u32 s11, 30
	v_cmp_le_i32_e32 vcc, s12, v1
	s_cselect_b64 s[0:1], -1, 0
	s_or_b64 s[0:1], s[0:1], vcc
	s_and_b64 s[0:1], exec, s[0:1]
	v_add_u32_e32 v1, s13, v1
	s_mov_b32 s11, s14
	s_or_b64 s[4:5], s[0:1], s[4:5]
	s_waitcnt vmcnt(0)
	v_pk_mul_f32 v[10:11], v[8:9], v[8:9]
	v_pk_mul_f32 v[12:13], v[8:9], v[8:9] op_sel_hi:[0,1]
	v_mov_b32_e32 v10, v11
	v_mov_b32_e32 v11, v13
	v_pk_add_f32 v[12:13], v[12:13], v[12:13]
	v_pk_fma_f32 v[8:9], v[8:9], v[8:9], v[10:11] op_sel_hi:[0,1,1] neg_lo:[0,0,1] neg_hi:[0,0,1]
	v_mov_b32_e32 v9, v13
	v_pk_add_f32 v[2:3], v[2:3], v[8:9]
	s_andn2_b64 exec, exec, s[4:5]
	s_cbranch_execnz .LBB88_2
; %bb.3:
	s_or_b64 exec, exec, s[4:5]
.LBB88_4:
	s_or_b64 exec, exec, s[8:9]
	v_and_b32_e32 v6, 63, v0
	v_cmp_gt_u32_e32 vcc, 64, v0
	v_lshlrev_b32_e32 v1, 3, v6
	s_and_saveexec_b64 s[0:1], vcc
	s_cbranch_execz .LBB88_6
; %bb.5:
	v_mov_b32_e32 v4, 0
	v_mov_b32_e32 v5, v4
	ds_write_b64 v1, v[4:5]
.LBB88_6:
	s_or_b64 exec, exec, s[0:1]
	v_mbcnt_lo_u32_b32 v4, -1, 0
	v_mbcnt_hi_u32_b32 v10, -1, v4
	v_and_b32_e32 v11, 63, v10
	v_cmp_gt_u32_e64 s[0:1], 32, v11
	v_cndmask_b32_e64 v4, 0, 1, s[0:1]
	v_lshlrev_b32_e32 v4, 5, v4
	v_add_lshl_u32 v5, v4, v10, 2
	ds_bpermute_b32 v4, v5, v2
	ds_bpermute_b32 v5, v5, v3
	v_cmp_gt_u32_e64 s[0:1], 48, v11
	v_cndmask_b32_e64 v7, 0, 1, s[0:1]
	v_lshlrev_b32_e32 v7, 4, v7
	v_add_lshl_u32 v7, v7, v10, 2
	s_waitcnt lgkmcnt(0)
	v_pk_add_f32 v[2:3], v[2:3], v[4:5]
	ds_bpermute_b32 v4, v7, v2
	ds_bpermute_b32 v5, v7, v3
	v_cmp_gt_u32_e64 s[0:1], 56, v11
	v_cndmask_b32_e64 v7, 0, 1, s[0:1]
	v_lshlrev_b32_e32 v7, 3, v7
	v_add_lshl_u32 v7, v7, v10, 2
	s_waitcnt lgkmcnt(0)
	v_pk_add_f32 v[2:3], v[2:3], v[4:5]
	;; [unrolled: 8-line block ×4, first 2 shown]
	ds_bpermute_b32 v4, v9, v2
	ds_bpermute_b32 v5, v9, v3
	v_cmp_ne_u32_e64 s[0:1], 63, v11
	s_waitcnt lgkmcnt(0)
	s_barrier
	v_pk_add_f32 v[2:3], v[2:3], v[4:5]
	v_addc_co_u32_e64 v4, s[0:1], 0, v10, s[0:1]
	v_lshlrev_b32_e32 v10, 2, v4
	ds_bpermute_b32 v4, v10, v2
	ds_bpermute_b32 v5, v10, v3
	v_cmp_eq_u32_e64 s[0:1], 0, v6
	s_and_saveexec_b64 s[4:5], s[0:1]
	s_cbranch_execz .LBB88_8
; %bb.7:
	v_lshrrev_b32_e32 v6, 3, v0
	v_and_b32_e32 v6, 0x78, v6
	s_waitcnt lgkmcnt(0)
	v_pk_add_f32 v[2:3], v[2:3], v[4:5]
	ds_write_b64 v6, v[2:3]
.LBB88_8:
	s_or_b64 exec, exec, s[4:5]
	v_cmp_gt_u32_e64 s[0:1], 16, v0
	v_mov_b32_e32 v2, 0
	v_mov_b32_e32 v3, 0
	s_waitcnt lgkmcnt(0)
	s_barrier
	s_and_saveexec_b64 s[4:5], s[0:1]
	s_cbranch_execnz .LBB88_12
; %bb.9:
	s_or_b64 exec, exec, s[4:5]
	s_and_saveexec_b64 s[0:1], vcc
	s_cbranch_execnz .LBB88_13
.LBB88_10:
	s_or_b64 exec, exec, s[0:1]
	v_cmp_eq_u32_e32 vcc, 0, v0
	s_and_saveexec_b64 s[0:1], vcc
	s_cbranch_execnz .LBB88_14
.LBB88_11:
	s_endpgm
.LBB88_12:
	ds_read_b64 v[2:3], v1
	s_or_b64 exec, exec, s[4:5]
	s_and_saveexec_b64 s[0:1], vcc
	s_cbranch_execz .LBB88_10
.LBB88_13:
	s_waitcnt lgkmcnt(0)
	ds_bpermute_b32 v4, v7, v2
	ds_bpermute_b32 v5, v7, v3
	s_waitcnt lgkmcnt(0)
	v_pk_add_f32 v[2:3], v[2:3], v[4:5]
	ds_bpermute_b32 v4, v8, v2
	ds_bpermute_b32 v5, v8, v3
	s_waitcnt lgkmcnt(0)
	v_pk_add_f32 v[2:3], v[2:3], v[4:5]
	;; [unrolled: 4-line block ×4, first 2 shown]
	s_or_b64 exec, exec, s[0:1]
	v_cmp_eq_u32_e32 vcc, 0, v0
	s_and_saveexec_b64 s[0:1], vcc
	s_cbranch_execz .LBB88_11
.LBB88_14:
	s_lshl_b64 s[0:1], s[2:3], 3
	s_add_u32 s0, s6, s0
	s_addc_u32 s1, s7, s1
	v_mov_b32_e32 v0, 0
	s_waitcnt lgkmcnt(0)
	global_store_dwordx2 v0, v[2:3], s[0:1]
	s_endpgm
	.section	.rodata,"a",@progbits
	.p2align	6, 0x0
	.amdhsa_kernel _ZL24rocblas_dot_kernel_magsqIlLb1ELi1024ELi32ELb0E19rocblas_complex_numIfEPKS1_S1_EviT5_lT_liPT6_PT4_
		.amdhsa_group_segment_fixed_size 512
		.amdhsa_private_segment_fixed_size 0
		.amdhsa_kernarg_size 320
		.amdhsa_user_sgpr_count 6
		.amdhsa_user_sgpr_private_segment_buffer 1
		.amdhsa_user_sgpr_dispatch_ptr 0
		.amdhsa_user_sgpr_queue_ptr 0
		.amdhsa_user_sgpr_kernarg_segment_ptr 1
		.amdhsa_user_sgpr_dispatch_id 0
		.amdhsa_user_sgpr_flat_scratch_init 0
		.amdhsa_user_sgpr_kernarg_preload_length 0
		.amdhsa_user_sgpr_kernarg_preload_offset 0
		.amdhsa_user_sgpr_private_segment_size 0
		.amdhsa_uses_dynamic_stack 0
		.amdhsa_system_sgpr_private_segment_wavefront_offset 0
		.amdhsa_system_sgpr_workgroup_id_x 1
		.amdhsa_system_sgpr_workgroup_id_y 0
		.amdhsa_system_sgpr_workgroup_id_z 1
		.amdhsa_system_sgpr_workgroup_info 0
		.amdhsa_system_vgpr_workitem_id 0
		.amdhsa_next_free_vgpr 14
		.amdhsa_next_free_sgpr 20
		.amdhsa_accum_offset 16
		.amdhsa_reserve_vcc 1
		.amdhsa_reserve_flat_scratch 0
		.amdhsa_float_round_mode_32 0
		.amdhsa_float_round_mode_16_64 0
		.amdhsa_float_denorm_mode_32 3
		.amdhsa_float_denorm_mode_16_64 3
		.amdhsa_dx10_clamp 1
		.amdhsa_ieee_mode 1
		.amdhsa_fp16_overflow 0
		.amdhsa_tg_split 0
		.amdhsa_exception_fp_ieee_invalid_op 0
		.amdhsa_exception_fp_denorm_src 0
		.amdhsa_exception_fp_ieee_div_zero 0
		.amdhsa_exception_fp_ieee_overflow 0
		.amdhsa_exception_fp_ieee_underflow 0
		.amdhsa_exception_fp_ieee_inexact 0
		.amdhsa_exception_int_div_zero 0
	.end_amdhsa_kernel
	.section	.text._ZL24rocblas_dot_kernel_magsqIlLb1ELi1024ELi32ELb0E19rocblas_complex_numIfEPKS1_S1_EviT5_lT_liPT6_PT4_,"axG",@progbits,_ZL24rocblas_dot_kernel_magsqIlLb1ELi1024ELi32ELb0E19rocblas_complex_numIfEPKS1_S1_EviT5_lT_liPT6_PT4_,comdat
.Lfunc_end88:
	.size	_ZL24rocblas_dot_kernel_magsqIlLb1ELi1024ELi32ELb0E19rocblas_complex_numIfEPKS1_S1_EviT5_lT_liPT6_PT4_, .Lfunc_end88-_ZL24rocblas_dot_kernel_magsqIlLb1ELi1024ELi32ELb0E19rocblas_complex_numIfEPKS1_S1_EviT5_lT_liPT6_PT4_
                                        ; -- End function
	.section	.AMDGPU.csdata,"",@progbits
; Kernel info:
; codeLenInByte = 1040
; NumSgprs: 24
; NumVgprs: 14
; NumAgprs: 0
; TotalNumVgprs: 14
; ScratchSize: 0
; MemoryBound: 0
; FloatMode: 240
; IeeeMode: 1
; LDSByteSize: 512 bytes/workgroup (compile time only)
; SGPRBlocks: 2
; VGPRBlocks: 1
; NumSGPRsForWavesPerEU: 24
; NumVGPRsForWavesPerEU: 14
; AccumOffset: 16
; Occupancy: 8
; WaveLimiterHint : 0
; COMPUTE_PGM_RSRC2:SCRATCH_EN: 0
; COMPUTE_PGM_RSRC2:USER_SGPR: 6
; COMPUTE_PGM_RSRC2:TRAP_HANDLER: 0
; COMPUTE_PGM_RSRC2:TGID_X_EN: 1
; COMPUTE_PGM_RSRC2:TGID_Y_EN: 0
; COMPUTE_PGM_RSRC2:TGID_Z_EN: 1
; COMPUTE_PGM_RSRC2:TIDIG_COMP_CNT: 0
; COMPUTE_PGM_RSRC3_GFX90A:ACCUM_OFFSET: 3
; COMPUTE_PGM_RSRC3_GFX90A:TG_SPLIT: 0
	.section	.text._ZL38rocblas_dot_kernel_gfx942_float_doubleIlLi1024E19rocblas_complex_numIfEPKS1_S1_EviT2_lT_lS4_lS5_lPT3_PT1_,"axG",@progbits,_ZL38rocblas_dot_kernel_gfx942_float_doubleIlLi1024E19rocblas_complex_numIfEPKS1_S1_EviT2_lT_lS4_lS5_lPT3_PT1_,comdat
	.globl	_ZL38rocblas_dot_kernel_gfx942_float_doubleIlLi1024E19rocblas_complex_numIfEPKS1_S1_EviT2_lT_lS4_lS5_lPT3_PT1_ ; -- Begin function _ZL38rocblas_dot_kernel_gfx942_float_doubleIlLi1024E19rocblas_complex_numIfEPKS1_S1_EviT2_lT_lS4_lS5_lPT3_PT1_
	.p2align	8
	.type	_ZL38rocblas_dot_kernel_gfx942_float_doubleIlLi1024E19rocblas_complex_numIfEPKS1_S1_EviT2_lT_lS4_lS5_lPT3_PT1_,@function
_ZL38rocblas_dot_kernel_gfx942_float_doubleIlLi1024E19rocblas_complex_numIfEPKS1_S1_EviT2_lT_lS4_lS5_lPT3_PT1_: ; @_ZL38rocblas_dot_kernel_gfx942_float_doubleIlLi1024E19rocblas_complex_numIfEPKS1_S1_EviT2_lT_lS4_lS5_lPT3_PT1_
; %bb.0:
	s_endpgm
	.section	.rodata,"a",@progbits
	.p2align	6, 0x0
	.amdhsa_kernel _ZL38rocblas_dot_kernel_gfx942_float_doubleIlLi1024E19rocblas_complex_numIfEPKS1_S1_EviT2_lT_lS4_lS5_lPT3_PT1_
		.amdhsa_group_segment_fixed_size 0
		.amdhsa_private_segment_fixed_size 0
		.amdhsa_kernarg_size 88
		.amdhsa_user_sgpr_count 6
		.amdhsa_user_sgpr_private_segment_buffer 1
		.amdhsa_user_sgpr_dispatch_ptr 0
		.amdhsa_user_sgpr_queue_ptr 0
		.amdhsa_user_sgpr_kernarg_segment_ptr 1
		.amdhsa_user_sgpr_dispatch_id 0
		.amdhsa_user_sgpr_flat_scratch_init 0
		.amdhsa_user_sgpr_kernarg_preload_length 0
		.amdhsa_user_sgpr_kernarg_preload_offset 0
		.amdhsa_user_sgpr_private_segment_size 0
		.amdhsa_uses_dynamic_stack 0
		.amdhsa_system_sgpr_private_segment_wavefront_offset 0
		.amdhsa_system_sgpr_workgroup_id_x 1
		.amdhsa_system_sgpr_workgroup_id_y 0
		.amdhsa_system_sgpr_workgroup_id_z 0
		.amdhsa_system_sgpr_workgroup_info 0
		.amdhsa_system_vgpr_workitem_id 0
		.amdhsa_next_free_vgpr 1
		.amdhsa_next_free_sgpr 0
		.amdhsa_accum_offset 4
		.amdhsa_reserve_vcc 0
		.amdhsa_reserve_flat_scratch 0
		.amdhsa_float_round_mode_32 0
		.amdhsa_float_round_mode_16_64 0
		.amdhsa_float_denorm_mode_32 3
		.amdhsa_float_denorm_mode_16_64 3
		.amdhsa_dx10_clamp 1
		.amdhsa_ieee_mode 1
		.amdhsa_fp16_overflow 0
		.amdhsa_tg_split 0
		.amdhsa_exception_fp_ieee_invalid_op 0
		.amdhsa_exception_fp_denorm_src 0
		.amdhsa_exception_fp_ieee_div_zero 0
		.amdhsa_exception_fp_ieee_overflow 0
		.amdhsa_exception_fp_ieee_underflow 0
		.amdhsa_exception_fp_ieee_inexact 0
		.amdhsa_exception_int_div_zero 0
	.end_amdhsa_kernel
	.section	.text._ZL38rocblas_dot_kernel_gfx942_float_doubleIlLi1024E19rocblas_complex_numIfEPKS1_S1_EviT2_lT_lS4_lS5_lPT3_PT1_,"axG",@progbits,_ZL38rocblas_dot_kernel_gfx942_float_doubleIlLi1024E19rocblas_complex_numIfEPKS1_S1_EviT2_lT_lS4_lS5_lPT3_PT1_,comdat
.Lfunc_end89:
	.size	_ZL38rocblas_dot_kernel_gfx942_float_doubleIlLi1024E19rocblas_complex_numIfEPKS1_S1_EviT2_lT_lS4_lS5_lPT3_PT1_, .Lfunc_end89-_ZL38rocblas_dot_kernel_gfx942_float_doubleIlLi1024E19rocblas_complex_numIfEPKS1_S1_EviT2_lT_lS4_lS5_lPT3_PT1_
                                        ; -- End function
	.section	.AMDGPU.csdata,"",@progbits
; Kernel info:
; codeLenInByte = 4
; NumSgprs: 4
; NumVgprs: 0
; NumAgprs: 0
; TotalNumVgprs: 0
; ScratchSize: 0
; MemoryBound: 0
; FloatMode: 240
; IeeeMode: 1
; LDSByteSize: 0 bytes/workgroup (compile time only)
; SGPRBlocks: 0
; VGPRBlocks: 0
; NumSGPRsForWavesPerEU: 4
; NumVGPRsForWavesPerEU: 1
; AccumOffset: 4
; Occupancy: 8
; WaveLimiterHint : 0
; COMPUTE_PGM_RSRC2:SCRATCH_EN: 0
; COMPUTE_PGM_RSRC2:USER_SGPR: 6
; COMPUTE_PGM_RSRC2:TRAP_HANDLER: 0
; COMPUTE_PGM_RSRC2:TGID_X_EN: 1
; COMPUTE_PGM_RSRC2:TGID_Y_EN: 0
; COMPUTE_PGM_RSRC2:TGID_Z_EN: 0
; COMPUTE_PGM_RSRC2:TIDIG_COMP_CNT: 0
; COMPUTE_PGM_RSRC3_GFX90A:ACCUM_OFFSET: 0
; COMPUTE_PGM_RSRC3_GFX90A:TG_SPLIT: 0
	.section	.text._ZL18rocblas_dot_kernelIlLb0ELi512ELi2ELb0E19rocblas_complex_numIfEPKS1_S1_EviT5_lT_lS4_lS5_liPT6_PT4_,"axG",@progbits,_ZL18rocblas_dot_kernelIlLb0ELi512ELi2ELb0E19rocblas_complex_numIfEPKS1_S1_EviT5_lT_lS4_lS5_liPT6_PT4_,comdat
	.globl	_ZL18rocblas_dot_kernelIlLb0ELi512ELi2ELb0E19rocblas_complex_numIfEPKS1_S1_EviT5_lT_lS4_lS5_liPT6_PT4_ ; -- Begin function _ZL18rocblas_dot_kernelIlLb0ELi512ELi2ELb0E19rocblas_complex_numIfEPKS1_S1_EviT5_lT_lS4_lS5_liPT6_PT4_
	.p2align	8
	.type	_ZL18rocblas_dot_kernelIlLb0ELi512ELi2ELb0E19rocblas_complex_numIfEPKS1_S1_EviT5_lT_lS4_lS5_liPT6_PT4_,@function
_ZL18rocblas_dot_kernelIlLb0ELi512ELi2ELb0E19rocblas_complex_numIfEPKS1_S1_EviT5_lT_lS4_lS5_liPT6_PT4_: ; @_ZL18rocblas_dot_kernelIlLb0ELi512ELi2ELb0E19rocblas_complex_numIfEPKS1_S1_EviT5_lT_lS4_lS5_liPT6_PT4_
; %bb.0:
	s_mov_b32 s16, s7
	s_load_dword s7, s[4:5], 0x0
	s_load_dword s20, s[4:5], 0x60
	v_lshl_or_b32 v1, s6, 9, v0
	v_mov_b32_e32 v2, 0
	s_mov_b32 s17, 0
	s_waitcnt lgkmcnt(0)
	v_cmp_gt_i32_e32 vcc, s7, v1
	v_mov_b32_e32 v3, v2
	s_and_saveexec_b64 s[18:19], vcc
	s_cbranch_execz .LBB90_4
; %bb.1:
	s_load_dwordx8 s[8:15], s[4:5], 0x20
	s_load_dwordx2 s[22:23], s[4:5], 0x8
	s_load_dwordx4 s[0:3], s[4:5], 0x10
	s_load_dwordx2 s[24:25], s[4:5], 0x40
	v_ashrrev_i32_e32 v4, 31, v1
	s_waitcnt lgkmcnt(0)
	s_mul_i32 s9, s16, s9
	s_mul_hi_u32 s21, s16, s8
	s_add_i32 s9, s21, s9
	s_mul_i32 s8, s16, s8
	s_lshl_b64 s[8:9], s[8:9], 3
	s_add_u32 s8, s22, s8
	s_addc_u32 s21, s23, s9
	s_lshl_b64 s[0:1], s[0:1], 3
	s_add_u32 s9, s8, s0
	s_addc_u32 s21, s21, s1
	s_mul_i32 s0, s16, s25
	s_mul_hi_u32 s1, s16, s24
	s_add_i32 s1, s1, s0
	s_mul_i32 s0, s16, s24
	s_lshl_b64 s[0:1], s[0:1], 3
	s_add_u32 s8, s10, s0
	s_addc_u32 s10, s11, s1
	s_lshl_b64 s[0:1], s[12:13], 3
	s_add_u32 s8, s8, s0
	s_addc_u32 s10, s10, s1
	v_mul_lo_u32 v5, v1, s15
	v_mul_lo_u32 v6, v4, s14
	v_mad_u64_u32 v[2:3], s[0:1], v1, s14, 0
	v_add3_u32 v3, v3, v5, v6
	v_lshlrev_b64 v[2:3], 3, v[2:3]
	v_mov_b32_e32 v5, s10
	v_add_co_u32_e32 v2, vcc, s8, v2
	v_addc_co_u32_e32 v3, vcc, v5, v3, vcc
	v_mul_lo_u32 v6, v1, s3
	v_mul_lo_u32 v7, v4, s2
	v_mad_u64_u32 v[4:5], s[0:1], v1, s2, 0
	v_add3_u32 v5, v5, v6, v7
	v_lshlrev_b64 v[4:5], 3, v[4:5]
	v_mov_b32_e32 v1, s21
	v_add_co_u32_e32 v4, vcc, s9, v4
	v_addc_co_u32_e32 v5, vcc, v1, v5, vcc
	global_load_dwordx2 v[6:7], v[4:5], off
	global_load_dwordx2 v[8:9], v[2:3], off
	s_add_i32 s0, s6, s20
	v_lshl_or_b32 v1, s0, 9, v0
	v_cmp_gt_i32_e32 vcc, s7, v1
	s_waitcnt vmcnt(0)
	v_pk_mul_f32 v[2:3], v[6:7], v[8:9] op_sel:[0,1]
	v_pk_fma_f32 v[4:5], v[6:7], v[8:9], v[2:3] op_sel:[0,0,1] op_sel_hi:[1,1,0] neg_lo:[0,0,1] neg_hi:[0,0,1]
	v_pk_fma_f32 v[2:3], v[6:7], v[8:9], v[2:3] op_sel:[0,0,1] op_sel_hi:[1,0,0]
	v_mov_b32_e32 v5, v3
	v_pk_add_f32 v[2:3], v[4:5], 0 op_sel_hi:[1,0]
	s_and_saveexec_b64 s[0:1], vcc
	s_cbranch_execz .LBB90_3
; %bb.2:
	v_ashrrev_i32_e32 v6, 31, v1
	v_mul_lo_u32 v7, v1, s3
	v_mul_lo_u32 v8, v6, s2
	v_mad_u64_u32 v[4:5], s[2:3], v1, s2, 0
	v_add3_u32 v5, v5, v7, v8
	v_lshlrev_b64 v[4:5], 3, v[4:5]
	v_mov_b32_e32 v7, s21
	v_add_co_u32_e32 v4, vcc, s9, v4
	v_addc_co_u32_e32 v5, vcc, v7, v5, vcc
	v_mul_lo_u32 v8, v1, s15
	v_mul_lo_u32 v9, v6, s14
	v_mad_u64_u32 v[6:7], s[2:3], v1, s14, 0
	v_add3_u32 v7, v7, v8, v9
	v_lshlrev_b64 v[6:7], 3, v[6:7]
	v_mov_b32_e32 v1, s10
	v_add_co_u32_e32 v6, vcc, s8, v6
	v_addc_co_u32_e32 v7, vcc, v1, v7, vcc
	global_load_dwordx2 v[4:5], v[4:5], off
	s_nop 0
	global_load_dwordx2 v[6:7], v[6:7], off
	s_waitcnt vmcnt(0)
	v_pk_mul_f32 v[8:9], v[4:5], v[6:7] op_sel:[0,1]
	v_pk_fma_f32 v[10:11], v[4:5], v[6:7], v[8:9] op_sel:[0,0,1] op_sel_hi:[1,1,0] neg_lo:[0,0,1] neg_hi:[0,0,1]
	v_pk_fma_f32 v[4:5], v[4:5], v[6:7], v[8:9] op_sel:[0,0,1] op_sel_hi:[1,0,0]
	v_mov_b32_e32 v11, v5
	v_pk_add_f32 v[2:3], v[2:3], v[10:11]
.LBB90_3:
	s_or_b64 exec, exec, s[0:1]
.LBB90_4:
	s_or_b64 exec, exec, s[18:19]
	v_and_b32_e32 v6, 63, v0
	v_cmp_gt_u32_e32 vcc, 64, v0
	v_lshlrev_b32_e32 v1, 3, v6
	s_and_saveexec_b64 s[0:1], vcc
	s_cbranch_execz .LBB90_6
; %bb.5:
	v_mov_b32_e32 v4, 0
	v_mov_b32_e32 v5, v4
	ds_write_b64 v1, v[4:5]
.LBB90_6:
	s_or_b64 exec, exec, s[0:1]
	v_mbcnt_lo_u32_b32 v4, -1, 0
	v_mbcnt_hi_u32_b32 v9, -1, v4
	v_and_b32_e32 v10, 63, v9
	v_cmp_gt_u32_e64 s[0:1], 32, v10
	v_cndmask_b32_e64 v4, 0, 1, s[0:1]
	v_lshlrev_b32_e32 v4, 5, v4
	v_add_lshl_u32 v5, v4, v9, 2
	ds_bpermute_b32 v4, v5, v2
	ds_bpermute_b32 v5, v5, v3
	v_cmp_gt_u32_e64 s[0:1], 48, v10
	v_cndmask_b32_e64 v7, 0, 1, s[0:1]
	v_lshlrev_b32_e32 v7, 4, v7
	v_add_lshl_u32 v7, v7, v9, 2
	s_waitcnt lgkmcnt(0)
	v_pk_add_f32 v[2:3], v[2:3], v[4:5]
	ds_bpermute_b32 v4, v7, v2
	ds_bpermute_b32 v5, v7, v3
	v_cmp_gt_u32_e64 s[0:1], 56, v10
	v_cndmask_b32_e64 v7, 0, 1, s[0:1]
	v_lshlrev_b32_e32 v7, 3, v7
	v_add_lshl_u32 v7, v7, v9, 2
	s_waitcnt lgkmcnt(0)
	v_pk_add_f32 v[2:3], v[2:3], v[4:5]
	;; [unrolled: 8-line block ×4, first 2 shown]
	ds_bpermute_b32 v4, v8, v2
	ds_bpermute_b32 v5, v8, v3
	v_cmp_ne_u32_e64 s[0:1], 63, v10
	s_waitcnt lgkmcnt(0)
	s_barrier
	v_pk_add_f32 v[2:3], v[2:3], v[4:5]
	v_addc_co_u32_e64 v4, s[0:1], 0, v9, s[0:1]
	v_lshlrev_b32_e32 v9, 2, v4
	ds_bpermute_b32 v4, v9, v2
	ds_bpermute_b32 v5, v9, v3
	v_cmp_eq_u32_e64 s[0:1], 0, v6
	s_and_saveexec_b64 s[2:3], s[0:1]
	s_cbranch_execz .LBB90_8
; %bb.7:
	v_lshrrev_b32_e32 v6, 3, v0
	v_and_b32_e32 v6, 56, v6
	s_waitcnt lgkmcnt(0)
	v_pk_add_f32 v[2:3], v[2:3], v[4:5]
	ds_write_b64 v6, v[2:3]
.LBB90_8:
	s_or_b64 exec, exec, s[2:3]
	v_cmp_gt_u32_e64 s[0:1], 8, v0
	v_mov_b32_e32 v2, 0
	v_mov_b32_e32 v3, 0
	s_waitcnt lgkmcnt(0)
	s_barrier
	s_and_saveexec_b64 s[2:3], s[0:1]
	s_cbranch_execnz .LBB90_12
; %bb.9:
	s_or_b64 exec, exec, s[2:3]
	s_and_saveexec_b64 s[0:1], vcc
	s_cbranch_execnz .LBB90_13
.LBB90_10:
	s_or_b64 exec, exec, s[0:1]
	v_cmp_eq_u32_e32 vcc, 0, v0
	s_and_saveexec_b64 s[0:1], vcc
	s_cbranch_execnz .LBB90_14
.LBB90_11:
	s_endpgm
.LBB90_12:
	ds_read_b64 v[2:3], v1
	s_or_b64 exec, exec, s[2:3]
	s_and_saveexec_b64 s[0:1], vcc
	s_cbranch_execz .LBB90_10
.LBB90_13:
	s_waitcnt lgkmcnt(0)
	ds_bpermute_b32 v4, v7, v2
	ds_bpermute_b32 v5, v7, v3
	s_waitcnt lgkmcnt(0)
	v_pk_add_f32 v[2:3], v[2:3], v[4:5]
	ds_bpermute_b32 v4, v8, v2
	ds_bpermute_b32 v5, v8, v3
	s_waitcnt lgkmcnt(0)
	v_pk_add_f32 v[2:3], v[2:3], v[4:5]
	;; [unrolled: 4-line block ×3, first 2 shown]
	s_or_b64 exec, exec, s[0:1]
	v_cmp_eq_u32_e32 vcc, 0, v0
	s_and_saveexec_b64 s[0:1], vcc
	s_cbranch_execz .LBB90_11
.LBB90_14:
	s_cmp_lg_u32 s20, 1
	s_cbranch_scc0 .LBB90_16
; %bb.15:
	s_load_dwordx2 s[0:1], s[4:5], 0x50
	s_mul_hi_u32 s3, s20, s16
	s_mul_i32 s2, s20, s16
	s_lshl_b64 s[2:3], s[2:3], 3
	s_mov_b32 s7, 0
	s_waitcnt lgkmcnt(0)
	s_add_u32 s2, s0, s2
	s_addc_u32 s3, s1, s3
	s_lshl_b64 s[0:1], s[6:7], 3
	s_add_u32 s0, s2, s0
	s_addc_u32 s1, s3, s1
	s_cbranch_execz .LBB90_17
	s_branch .LBB90_18
.LBB90_16:
                                        ; implicit-def: $sgpr0_sgpr1
.LBB90_17:
	s_load_dwordx2 s[0:1], s[4:5], 0x58
	s_lshl_b64 s[2:3], s[16:17], 3
	s_waitcnt lgkmcnt(0)
	s_add_u32 s0, s0, s2
	s_addc_u32 s1, s1, s3
.LBB90_18:
	v_mov_b32_e32 v0, 0
	s_waitcnt lgkmcnt(0)
	global_store_dwordx2 v0, v[2:3], s[0:1]
	s_endpgm
	.section	.rodata,"a",@progbits
	.p2align	6, 0x0
	.amdhsa_kernel _ZL18rocblas_dot_kernelIlLb0ELi512ELi2ELb0E19rocblas_complex_numIfEPKS1_S1_EviT5_lT_lS4_lS5_liPT6_PT4_
		.amdhsa_group_segment_fixed_size 512
		.amdhsa_private_segment_fixed_size 0
		.amdhsa_kernarg_size 352
		.amdhsa_user_sgpr_count 6
		.amdhsa_user_sgpr_private_segment_buffer 1
		.amdhsa_user_sgpr_dispatch_ptr 0
		.amdhsa_user_sgpr_queue_ptr 0
		.amdhsa_user_sgpr_kernarg_segment_ptr 1
		.amdhsa_user_sgpr_dispatch_id 0
		.amdhsa_user_sgpr_flat_scratch_init 0
		.amdhsa_user_sgpr_kernarg_preload_length 0
		.amdhsa_user_sgpr_kernarg_preload_offset 0
		.amdhsa_user_sgpr_private_segment_size 0
		.amdhsa_uses_dynamic_stack 0
		.amdhsa_system_sgpr_private_segment_wavefront_offset 0
		.amdhsa_system_sgpr_workgroup_id_x 1
		.amdhsa_system_sgpr_workgroup_id_y 0
		.amdhsa_system_sgpr_workgroup_id_z 1
		.amdhsa_system_sgpr_workgroup_info 0
		.amdhsa_system_vgpr_workitem_id 0
		.amdhsa_next_free_vgpr 12
		.amdhsa_next_free_sgpr 26
		.amdhsa_accum_offset 12
		.amdhsa_reserve_vcc 1
		.amdhsa_reserve_flat_scratch 0
		.amdhsa_float_round_mode_32 0
		.amdhsa_float_round_mode_16_64 0
		.amdhsa_float_denorm_mode_32 3
		.amdhsa_float_denorm_mode_16_64 3
		.amdhsa_dx10_clamp 1
		.amdhsa_ieee_mode 1
		.amdhsa_fp16_overflow 0
		.amdhsa_tg_split 0
		.amdhsa_exception_fp_ieee_invalid_op 0
		.amdhsa_exception_fp_denorm_src 0
		.amdhsa_exception_fp_ieee_div_zero 0
		.amdhsa_exception_fp_ieee_overflow 0
		.amdhsa_exception_fp_ieee_underflow 0
		.amdhsa_exception_fp_ieee_inexact 0
		.amdhsa_exception_int_div_zero 0
	.end_amdhsa_kernel
	.section	.text._ZL18rocblas_dot_kernelIlLb0ELi512ELi2ELb0E19rocblas_complex_numIfEPKS1_S1_EviT5_lT_lS4_lS5_liPT6_PT4_,"axG",@progbits,_ZL18rocblas_dot_kernelIlLb0ELi512ELi2ELb0E19rocblas_complex_numIfEPKS1_S1_EviT5_lT_lS4_lS5_liPT6_PT4_,comdat
.Lfunc_end90:
	.size	_ZL18rocblas_dot_kernelIlLb0ELi512ELi2ELb0E19rocblas_complex_numIfEPKS1_S1_EviT5_lT_lS4_lS5_liPT6_PT4_, .Lfunc_end90-_ZL18rocblas_dot_kernelIlLb0ELi512ELi2ELb0E19rocblas_complex_numIfEPKS1_S1_EviT5_lT_lS4_lS5_liPT6_PT4_
                                        ; -- End function
	.section	.AMDGPU.csdata,"",@progbits
; Kernel info:
; codeLenInByte = 1260
; NumSgprs: 30
; NumVgprs: 12
; NumAgprs: 0
; TotalNumVgprs: 12
; ScratchSize: 0
; MemoryBound: 0
; FloatMode: 240
; IeeeMode: 1
; LDSByteSize: 512 bytes/workgroup (compile time only)
; SGPRBlocks: 3
; VGPRBlocks: 1
; NumSGPRsForWavesPerEU: 30
; NumVGPRsForWavesPerEU: 12
; AccumOffset: 12
; Occupancy: 8
; WaveLimiterHint : 0
; COMPUTE_PGM_RSRC2:SCRATCH_EN: 0
; COMPUTE_PGM_RSRC2:USER_SGPR: 6
; COMPUTE_PGM_RSRC2:TRAP_HANDLER: 0
; COMPUTE_PGM_RSRC2:TGID_X_EN: 1
; COMPUTE_PGM_RSRC2:TGID_Y_EN: 0
; COMPUTE_PGM_RSRC2:TGID_Z_EN: 1
; COMPUTE_PGM_RSRC2:TIDIG_COMP_CNT: 0
; COMPUTE_PGM_RSRC3_GFX90A:ACCUM_OFFSET: 2
; COMPUTE_PGM_RSRC3_GFX90A:TG_SPLIT: 0
	.section	.text._ZL24rocblas_dot_kernel_magsqIlLb0ELi512ELi2ELb0E19rocblas_complex_numIfEPKS1_S1_EviT5_lT_liPT6_PT4_,"axG",@progbits,_ZL24rocblas_dot_kernel_magsqIlLb0ELi512ELi2ELb0E19rocblas_complex_numIfEPKS1_S1_EviT5_lT_liPT6_PT4_,comdat
	.globl	_ZL24rocblas_dot_kernel_magsqIlLb0ELi512ELi2ELb0E19rocblas_complex_numIfEPKS1_S1_EviT5_lT_liPT6_PT4_ ; -- Begin function _ZL24rocblas_dot_kernel_magsqIlLb0ELi512ELi2ELb0E19rocblas_complex_numIfEPKS1_S1_EviT5_lT_liPT6_PT4_
	.p2align	8
	.type	_ZL24rocblas_dot_kernel_magsqIlLb0ELi512ELi2ELb0E19rocblas_complex_numIfEPKS1_S1_EviT5_lT_liPT6_PT4_,@function
_ZL24rocblas_dot_kernel_magsqIlLb0ELi512ELi2ELb0E19rocblas_complex_numIfEPKS1_S1_EviT5_lT_liPT6_PT4_: ; @_ZL24rocblas_dot_kernel_magsqIlLb0ELi512ELi2ELb0E19rocblas_complex_numIfEPKS1_S1_EviT5_lT_liPT6_PT4_
; %bb.0:
	s_mov_b32 s8, s7
	s_load_dword s7, s[4:5], 0x0
	s_load_dword s12, s[4:5], 0x40
	v_lshl_or_b32 v1, s6, 9, v0
	v_mov_b32_e32 v2, 0
	s_mov_b32 s9, 0
	s_waitcnt lgkmcnt(0)
	v_cmp_gt_i32_e32 vcc, s7, v1
	v_mov_b32_e32 v3, v2
	s_and_saveexec_b64 s[10:11], vcc
	s_cbranch_execz .LBB91_4
; %bb.1:
	s_load_dwordx2 s[14:15], s[4:5], 0x20
	s_load_dwordx2 s[16:17], s[4:5], 0x8
	s_load_dwordx4 s[0:3], s[4:5], 0x10
	v_ashrrev_i32_e32 v2, 31, v1
	s_waitcnt lgkmcnt(0)
	s_mul_i32 s13, s8, s15
	s_mul_hi_u32 s15, s8, s14
	s_mul_i32 s14, s8, s14
	s_add_i32 s15, s15, s13
	s_lshl_b64 s[14:15], s[14:15], 3
	s_add_u32 s13, s16, s14
	s_addc_u32 s14, s17, s15
	s_lshl_b64 s[0:1], s[0:1], 3
	s_add_u32 s13, s13, s0
	s_addc_u32 s14, s14, s1
	v_mul_lo_u32 v4, v1, s3
	v_mul_lo_u32 v5, v2, s2
	v_mad_u64_u32 v[2:3], s[0:1], v1, s2, 0
	v_add3_u32 v3, v3, v4, v5
	v_lshlrev_b64 v[2:3], 3, v[2:3]
	v_mov_b32_e32 v1, s14
	v_add_co_u32_e32 v2, vcc, s13, v2
	v_addc_co_u32_e32 v3, vcc, v1, v3, vcc
	global_load_dwordx2 v[2:3], v[2:3], off
	s_add_i32 s0, s6, s12
	v_lshl_or_b32 v1, s0, 9, v0
	v_cmp_gt_i32_e32 vcc, s7, v1
	s_waitcnt vmcnt(0)
	v_pk_mul_f32 v[4:5], v[2:3], v[2:3]
	v_pk_mul_f32 v[6:7], v[2:3], v[2:3] op_sel_hi:[0,1]
	v_mov_b32_e32 v4, v5
	v_mov_b32_e32 v5, v7
	v_pk_add_f32 v[6:7], v[6:7], v[6:7]
	v_pk_fma_f32 v[2:3], v[2:3], v[2:3], v[4:5] op_sel_hi:[0,1,1] neg_lo:[0,0,1] neg_hi:[0,0,1]
	v_mov_b32_e32 v3, v7
	v_pk_add_f32 v[2:3], v[2:3], 0 op_sel_hi:[1,0]
	s_and_saveexec_b64 s[0:1], vcc
	s_cbranch_execz .LBB91_3
; %bb.2:
	v_ashrrev_i32_e32 v4, 31, v1
	v_mul_lo_u32 v6, v1, s3
	v_mul_lo_u32 v7, v4, s2
	v_mad_u64_u32 v[4:5], s[2:3], v1, s2, 0
	v_add3_u32 v5, v5, v6, v7
	v_lshlrev_b64 v[4:5], 3, v[4:5]
	v_mov_b32_e32 v1, s14
	v_add_co_u32_e32 v4, vcc, s13, v4
	v_addc_co_u32_e32 v5, vcc, v1, v5, vcc
	global_load_dwordx2 v[4:5], v[4:5], off
	s_waitcnt vmcnt(0)
	v_pk_mul_f32 v[6:7], v[4:5], v[4:5] op_sel_hi:[0,1]
	v_pk_mul_f32 v[8:9], v[4:5], v[4:5]
	v_mov_b32_e32 v8, v9
	v_mov_b32_e32 v9, v7
	v_pk_fma_f32 v[4:5], v[4:5], v[4:5], v[8:9] op_sel_hi:[0,1,1] neg_lo:[0,0,1] neg_hi:[0,0,1]
	v_pk_add_f32 v[6:7], v[6:7], v[6:7]
	v_mov_b32_e32 v5, v7
	v_pk_add_f32 v[2:3], v[2:3], v[4:5]
.LBB91_3:
	s_or_b64 exec, exec, s[0:1]
.LBB91_4:
	s_or_b64 exec, exec, s[10:11]
	v_and_b32_e32 v6, 63, v0
	v_cmp_gt_u32_e32 vcc, 64, v0
	v_lshlrev_b32_e32 v1, 3, v6
	s_and_saveexec_b64 s[0:1], vcc
	s_cbranch_execz .LBB91_6
; %bb.5:
	v_mov_b32_e32 v4, 0
	v_mov_b32_e32 v5, v4
	ds_write_b64 v1, v[4:5]
.LBB91_6:
	s_or_b64 exec, exec, s[0:1]
	v_mbcnt_lo_u32_b32 v4, -1, 0
	v_mbcnt_hi_u32_b32 v9, -1, v4
	v_and_b32_e32 v10, 63, v9
	v_cmp_gt_u32_e64 s[0:1], 32, v10
	v_cndmask_b32_e64 v4, 0, 1, s[0:1]
	v_lshlrev_b32_e32 v4, 5, v4
	v_add_lshl_u32 v5, v4, v9, 2
	ds_bpermute_b32 v4, v5, v2
	ds_bpermute_b32 v5, v5, v3
	v_cmp_gt_u32_e64 s[0:1], 48, v10
	v_cndmask_b32_e64 v7, 0, 1, s[0:1]
	v_lshlrev_b32_e32 v7, 4, v7
	v_add_lshl_u32 v7, v7, v9, 2
	s_waitcnt lgkmcnt(0)
	v_pk_add_f32 v[2:3], v[2:3], v[4:5]
	ds_bpermute_b32 v4, v7, v2
	ds_bpermute_b32 v5, v7, v3
	v_cmp_gt_u32_e64 s[0:1], 56, v10
	v_cndmask_b32_e64 v7, 0, 1, s[0:1]
	v_lshlrev_b32_e32 v7, 3, v7
	v_add_lshl_u32 v7, v7, v9, 2
	s_waitcnt lgkmcnt(0)
	v_pk_add_f32 v[2:3], v[2:3], v[4:5]
	;; [unrolled: 8-line block ×4, first 2 shown]
	ds_bpermute_b32 v4, v8, v2
	ds_bpermute_b32 v5, v8, v3
	v_cmp_ne_u32_e64 s[0:1], 63, v10
	s_waitcnt lgkmcnt(0)
	s_barrier
	v_pk_add_f32 v[2:3], v[2:3], v[4:5]
	v_addc_co_u32_e64 v4, s[0:1], 0, v9, s[0:1]
	v_lshlrev_b32_e32 v9, 2, v4
	ds_bpermute_b32 v4, v9, v2
	ds_bpermute_b32 v5, v9, v3
	v_cmp_eq_u32_e64 s[0:1], 0, v6
	s_and_saveexec_b64 s[2:3], s[0:1]
	s_cbranch_execz .LBB91_8
; %bb.7:
	v_lshrrev_b32_e32 v6, 3, v0
	v_and_b32_e32 v6, 56, v6
	s_waitcnt lgkmcnt(0)
	v_pk_add_f32 v[2:3], v[2:3], v[4:5]
	ds_write_b64 v6, v[2:3]
.LBB91_8:
	s_or_b64 exec, exec, s[2:3]
	v_cmp_gt_u32_e64 s[0:1], 8, v0
	v_mov_b32_e32 v2, 0
	v_mov_b32_e32 v3, 0
	s_waitcnt lgkmcnt(0)
	s_barrier
	s_and_saveexec_b64 s[2:3], s[0:1]
	s_cbranch_execnz .LBB91_12
; %bb.9:
	s_or_b64 exec, exec, s[2:3]
	s_and_saveexec_b64 s[0:1], vcc
	s_cbranch_execnz .LBB91_13
.LBB91_10:
	s_or_b64 exec, exec, s[0:1]
	v_cmp_eq_u32_e32 vcc, 0, v0
	s_and_saveexec_b64 s[0:1], vcc
	s_cbranch_execnz .LBB91_14
.LBB91_11:
	s_endpgm
.LBB91_12:
	ds_read_b64 v[2:3], v1
	s_or_b64 exec, exec, s[2:3]
	s_and_saveexec_b64 s[0:1], vcc
	s_cbranch_execz .LBB91_10
.LBB91_13:
	s_waitcnt lgkmcnt(0)
	ds_bpermute_b32 v4, v7, v2
	ds_bpermute_b32 v5, v7, v3
	s_waitcnt lgkmcnt(0)
	v_pk_add_f32 v[2:3], v[2:3], v[4:5]
	ds_bpermute_b32 v4, v8, v2
	ds_bpermute_b32 v5, v8, v3
	s_waitcnt lgkmcnt(0)
	v_pk_add_f32 v[2:3], v[2:3], v[4:5]
	;; [unrolled: 4-line block ×3, first 2 shown]
	s_or_b64 exec, exec, s[0:1]
	v_cmp_eq_u32_e32 vcc, 0, v0
	s_and_saveexec_b64 s[0:1], vcc
	s_cbranch_execz .LBB91_11
.LBB91_14:
	s_cmp_lg_u32 s12, 1
	s_cbranch_scc0 .LBB91_16
; %bb.15:
	s_load_dwordx2 s[0:1], s[4:5], 0x30
	s_mul_hi_u32 s3, s12, s8
	s_mul_i32 s2, s12, s8
	s_lshl_b64 s[2:3], s[2:3], 3
	s_mov_b32 s7, 0
	s_waitcnt lgkmcnt(0)
	s_add_u32 s2, s0, s2
	s_addc_u32 s3, s1, s3
	s_lshl_b64 s[0:1], s[6:7], 3
	s_add_u32 s0, s2, s0
	s_addc_u32 s1, s3, s1
	s_cbranch_execz .LBB91_17
	s_branch .LBB91_18
.LBB91_16:
                                        ; implicit-def: $sgpr0_sgpr1
.LBB91_17:
	s_load_dwordx2 s[0:1], s[4:5], 0x38
	s_lshl_b64 s[2:3], s[8:9], 3
	s_waitcnt lgkmcnt(0)
	s_add_u32 s0, s0, s2
	s_addc_u32 s1, s1, s3
.LBB91_18:
	v_mov_b32_e32 v0, 0
	s_waitcnt lgkmcnt(0)
	global_store_dwordx2 v0, v[2:3], s[0:1]
	s_endpgm
	.section	.rodata,"a",@progbits
	.p2align	6, 0x0
	.amdhsa_kernel _ZL24rocblas_dot_kernel_magsqIlLb0ELi512ELi2ELb0E19rocblas_complex_numIfEPKS1_S1_EviT5_lT_liPT6_PT4_
		.amdhsa_group_segment_fixed_size 512
		.amdhsa_private_segment_fixed_size 0
		.amdhsa_kernarg_size 320
		.amdhsa_user_sgpr_count 6
		.amdhsa_user_sgpr_private_segment_buffer 1
		.amdhsa_user_sgpr_dispatch_ptr 0
		.amdhsa_user_sgpr_queue_ptr 0
		.amdhsa_user_sgpr_kernarg_segment_ptr 1
		.amdhsa_user_sgpr_dispatch_id 0
		.amdhsa_user_sgpr_flat_scratch_init 0
		.amdhsa_user_sgpr_kernarg_preload_length 0
		.amdhsa_user_sgpr_kernarg_preload_offset 0
		.amdhsa_user_sgpr_private_segment_size 0
		.amdhsa_uses_dynamic_stack 0
		.amdhsa_system_sgpr_private_segment_wavefront_offset 0
		.amdhsa_system_sgpr_workgroup_id_x 1
		.amdhsa_system_sgpr_workgroup_id_y 0
		.amdhsa_system_sgpr_workgroup_id_z 1
		.amdhsa_system_sgpr_workgroup_info 0
		.amdhsa_system_vgpr_workitem_id 0
		.amdhsa_next_free_vgpr 11
		.amdhsa_next_free_sgpr 18
		.amdhsa_accum_offset 12
		.amdhsa_reserve_vcc 1
		.amdhsa_reserve_flat_scratch 0
		.amdhsa_float_round_mode_32 0
		.amdhsa_float_round_mode_16_64 0
		.amdhsa_float_denorm_mode_32 3
		.amdhsa_float_denorm_mode_16_64 3
		.amdhsa_dx10_clamp 1
		.amdhsa_ieee_mode 1
		.amdhsa_fp16_overflow 0
		.amdhsa_tg_split 0
		.amdhsa_exception_fp_ieee_invalid_op 0
		.amdhsa_exception_fp_denorm_src 0
		.amdhsa_exception_fp_ieee_div_zero 0
		.amdhsa_exception_fp_ieee_overflow 0
		.amdhsa_exception_fp_ieee_underflow 0
		.amdhsa_exception_fp_ieee_inexact 0
		.amdhsa_exception_int_div_zero 0
	.end_amdhsa_kernel
	.section	.text._ZL24rocblas_dot_kernel_magsqIlLb0ELi512ELi2ELb0E19rocblas_complex_numIfEPKS1_S1_EviT5_lT_liPT6_PT4_,"axG",@progbits,_ZL24rocblas_dot_kernel_magsqIlLb0ELi512ELi2ELb0E19rocblas_complex_numIfEPKS1_S1_EviT5_lT_liPT6_PT4_,comdat
.Lfunc_end91:
	.size	_ZL24rocblas_dot_kernel_magsqIlLb0ELi512ELi2ELb0E19rocblas_complex_numIfEPKS1_S1_EviT5_lT_liPT6_PT4_, .Lfunc_end91-_ZL24rocblas_dot_kernel_magsqIlLb0ELi512ELi2ELb0E19rocblas_complex_numIfEPKS1_S1_EviT5_lT_liPT6_PT4_
                                        ; -- End function
	.section	.AMDGPU.csdata,"",@progbits
; Kernel info:
; codeLenInByte = 1120
; NumSgprs: 22
; NumVgprs: 11
; NumAgprs: 0
; TotalNumVgprs: 11
; ScratchSize: 0
; MemoryBound: 0
; FloatMode: 240
; IeeeMode: 1
; LDSByteSize: 512 bytes/workgroup (compile time only)
; SGPRBlocks: 2
; VGPRBlocks: 1
; NumSGPRsForWavesPerEU: 22
; NumVGPRsForWavesPerEU: 11
; AccumOffset: 12
; Occupancy: 8
; WaveLimiterHint : 0
; COMPUTE_PGM_RSRC2:SCRATCH_EN: 0
; COMPUTE_PGM_RSRC2:USER_SGPR: 6
; COMPUTE_PGM_RSRC2:TRAP_HANDLER: 0
; COMPUTE_PGM_RSRC2:TGID_X_EN: 1
; COMPUTE_PGM_RSRC2:TGID_Y_EN: 0
; COMPUTE_PGM_RSRC2:TGID_Z_EN: 1
; COMPUTE_PGM_RSRC2:TIDIG_COMP_CNT: 0
; COMPUTE_PGM_RSRC3_GFX90A:ACCUM_OFFSET: 2
; COMPUTE_PGM_RSRC3_GFX90A:TG_SPLIT: 0
	.section	.text._ZL28rocblas_dot_batched_4_kernelIiLi32ELi4ELb0E19rocblas_complex_numIdES1_PKS1_EviT5_lT_lS4_lS5_liPT4_,"axG",@progbits,_ZL28rocblas_dot_batched_4_kernelIiLi32ELi4ELb0E19rocblas_complex_numIdES1_PKS1_EviT5_lT_lS4_lS5_liPT4_,comdat
	.globl	_ZL28rocblas_dot_batched_4_kernelIiLi32ELi4ELb0E19rocblas_complex_numIdES1_PKS1_EviT5_lT_lS4_lS5_liPT4_ ; -- Begin function _ZL28rocblas_dot_batched_4_kernelIiLi32ELi4ELb0E19rocblas_complex_numIdES1_PKS1_EviT5_lT_lS4_lS5_liPT4_
	.p2align	8
	.type	_ZL28rocblas_dot_batched_4_kernelIiLi32ELi4ELb0E19rocblas_complex_numIdES1_PKS1_EviT5_lT_lS4_lS5_liPT4_,@function
_ZL28rocblas_dot_batched_4_kernelIiLi32ELi4ELb0E19rocblas_complex_numIdES1_PKS1_EviT5_lT_lS4_lS5_liPT4_: ; @_ZL28rocblas_dot_batched_4_kernelIiLi32ELi4ELb0E19rocblas_complex_numIdES1_PKS1_EviT5_lT_lS4_lS5_liPT4_
; %bb.0:
	s_load_dword s0, s[4:5], 0x48
	v_bfe_u32 v1, v0, 10, 10
	v_lshl_add_u32 v2, s6, 2, v1
	s_waitcnt lgkmcnt(0)
	v_cmp_gt_u32_e32 vcc, s0, v2
	s_and_saveexec_b64 s[0:1], vcc
	s_cbranch_execz .LBB92_7
; %bb.1:
	s_load_dword s10, s[4:5], 0x0
	s_load_dwordx2 s[6:7], s[4:5], 0x50
	v_and_b32_e32 v10, 0x3ff, v0
	v_pk_mov_b32 v[0:1], 0, 0
	v_mov_b32_e32 v3, 0
	s_waitcnt lgkmcnt(0)
	v_cmp_gt_i32_e32 vcc, s10, v10
	v_pk_mov_b32 v[4:5], v[0:1], v[0:1] op_sel:[0,1]
	s_and_saveexec_b64 s[8:9], vcc
	s_cbranch_execz .LBB92_5
; %bb.2:
	s_load_dwordx4 s[0:3], s[4:5], 0x8
	s_load_dword s16, s[4:5], 0x18
	s_load_dword s18, s[4:5], 0x38
	s_load_dwordx4 s[12:15], s[4:5], 0x20
	s_load_dwordx2 s[20:21], s[4:5], 0x30
	s_load_dwordx2 s[22:23], s[4:5], 0x40
	s_waitcnt lgkmcnt(0)
	s_ashr_i32 s17, s16, 31
	v_mad_i64_i32 v[0:1], s[4:5], s18, v10, 0
	s_ashr_i32 s19, s18, 31
	v_mad_u64_u32 v[4:5], s[4:5], s22, v2, 0
	v_mov_b32_e32 v6, v5
	v_mad_u64_u32 v[6:7], s[4:5], s23, v2, v[6:7]
	v_mov_b32_e32 v5, v6
	v_lshlrev_b64 v[0:1], 4, v[0:1]
	v_lshlrev_b64 v[4:5], 4, v[4:5]
	s_lshl_b64 s[4:5], s[20:21], 4
	v_add_co_u32_e32 v0, vcc, v0, v4
	s_add_u32 s4, s14, s4
	v_addc_co_u32_e32 v1, vcc, v1, v5, vcc
	s_addc_u32 s5, s15, s5
	v_mov_b32_e32 v4, s5
	v_add_co_u32_e32 v0, vcc, s4, v0
	v_addc_co_u32_e32 v1, vcc, v4, v1, vcc
	v_mad_u64_u32 v[4:5], s[14:15], s12, v2, 0
	v_mov_b32_e32 v8, v5
	v_add_co_u32_e32 v6, vcc, 8, v0
	v_mad_u64_u32 v[8:9], s[12:13], s13, v2, v[8:9]
	v_addc_co_u32_e32 v7, vcc, 0, v1, vcc
	v_mad_i64_i32 v[0:1], s[14:15], s16, v10, 0
	v_mov_b32_e32 v5, v8
	s_lshl_b64 s[4:5], s[18:19], 9
	v_lshlrev_b64 v[0:1], 4, v[0:1]
	v_lshlrev_b64 v[4:5], 4, v[4:5]
	s_lshl_b64 s[2:3], s[2:3], 4
	v_add_co_u32_e32 v0, vcc, v0, v4
	s_add_u32 s0, s0, s2
	v_addc_co_u32_e32 v1, vcc, v1, v5, vcc
	s_addc_u32 s1, s1, s3
	v_mov_b32_e32 v4, s1
	v_add_co_u32_e32 v0, vcc, s0, v0
	v_addc_co_u32_e32 v1, vcc, v4, v1, vcc
	v_add_co_u32_e32 v8, vcc, 8, v0
	v_addc_co_u32_e32 v9, vcc, 0, v1, vcc
	s_lshl_b64 s[2:3], s[16:17], 9
	v_pk_mov_b32 v[0:1], 0, 0
	s_mov_b64 s[0:1], 0
	v_mov_b32_e32 v11, s5
	v_mov_b32_e32 v12, s3
	;; [unrolled: 1-line block ×3, first 2 shown]
	v_pk_mov_b32 v[4:5], v[0:1], v[0:1] op_sel:[0,1]
.LBB92_3:                               ; =>This Inner Loop Header: Depth=1
	global_load_dwordx4 v[14:17], v[8:9], off offset:-8
	global_load_dwordx4 v[18:21], v[6:7], off offset:-8
	v_add_co_u32_e32 v6, vcc, s4, v6
	v_addc_co_u32_e32 v7, vcc, v7, v11, vcc
	v_add_co_u32_e32 v8, vcc, s2, v8
	v_add_u32_e32 v13, 32, v13
	v_addc_co_u32_e32 v9, vcc, v9, v12, vcc
	v_cmp_le_i32_e32 vcc, s10, v13
	s_or_b64 s[0:1], vcc, s[0:1]
	s_waitcnt vmcnt(0)
	v_mul_f64 v[22:23], v[16:17], v[20:21]
	v_mul_f64 v[20:21], v[14:15], v[20:21]
	v_fma_f64 v[14:15], v[14:15], v[18:19], -v[22:23]
	v_fmac_f64_e32 v[20:21], v[16:17], v[18:19]
	v_add_f64 v[0:1], v[0:1], v[14:15]
	v_add_f64 v[4:5], v[4:5], v[20:21]
	s_andn2_b64 exec, exec, s[0:1]
	s_cbranch_execnz .LBB92_3
; %bb.4:
	s_or_b64 exec, exec, s[0:1]
.LBB92_5:
	s_or_b64 exec, exec, s[8:9]
	v_mbcnt_lo_u32_b32 v6, -1, 0
	v_mbcnt_hi_u32_b32 v11, -1, v6
	v_and_b32_e32 v12, 63, v11
	v_cmp_gt_u32_e32 vcc, 48, v12
	v_cndmask_b32_e64 v6, 0, 1, vcc
	v_lshlrev_b32_e32 v6, 4, v6
	v_add_lshl_u32 v9, v6, v11, 2
	ds_bpermute_b32 v6, v9, v0
	ds_bpermute_b32 v7, v9, v1
	;; [unrolled: 1-line block ×4, first 2 shown]
	v_cmp_gt_u32_e32 vcc, 56, v12
	s_waitcnt lgkmcnt(0)
	v_add_f64 v[0:1], v[0:1], v[6:7]
	v_cndmask_b32_e64 v6, 0, 1, vcc
	v_lshlrev_b32_e32 v6, 3, v6
	v_add_f64 v[4:5], v[4:5], v[8:9]
	v_add_lshl_u32 v9, v6, v11, 2
	ds_bpermute_b32 v6, v9, v0
	ds_bpermute_b32 v7, v9, v1
	;; [unrolled: 1-line block ×4, first 2 shown]
	v_cmp_gt_u32_e32 vcc, 60, v12
	s_barrier
	s_waitcnt lgkmcnt(2)
	v_add_f64 v[0:1], v[0:1], v[6:7]
	v_cndmask_b32_e64 v6, 0, 1, vcc
	v_lshlrev_b32_e32 v6, 2, v6
	s_waitcnt lgkmcnt(0)
	v_add_f64 v[4:5], v[4:5], v[8:9]
	v_add_lshl_u32 v9, v6, v11, 2
	ds_bpermute_b32 v6, v9, v0
	ds_bpermute_b32 v7, v9, v1
	;; [unrolled: 1-line block ×4, first 2 shown]
	v_cmp_gt_u32_e32 vcc, 62, v12
	s_waitcnt lgkmcnt(0)
	v_add_f64 v[0:1], v[0:1], v[6:7]
	v_cndmask_b32_e64 v6, 0, 1, vcc
	v_lshlrev_b32_e32 v6, 1, v6
	v_add_f64 v[4:5], v[4:5], v[8:9]
	v_add_lshl_u32 v9, v6, v11, 2
	ds_bpermute_b32 v6, v9, v0
	ds_bpermute_b32 v7, v9, v1
	;; [unrolled: 1-line block ×4, first 2 shown]
	v_cmp_ne_u32_e32 vcc, 63, v12
	s_waitcnt lgkmcnt(2)
	v_add_f64 v[0:1], v[0:1], v[6:7]
	s_waitcnt lgkmcnt(0)
	v_add_f64 v[6:7], v[4:5], v[8:9]
	v_addc_co_u32_e32 v4, vcc, 0, v11, vcc
	v_lshlrev_b32_e32 v9, 2, v4
	ds_bpermute_b32 v4, v9, v0
	ds_bpermute_b32 v5, v9, v1
	;; [unrolled: 1-line block ×4, first 2 shown]
	v_cmp_eq_u32_e32 vcc, 0, v10
	s_and_b64 exec, exec, vcc
	s_cbranch_execz .LBB92_7
; %bb.6:
	v_lshlrev_b64 v[2:3], 4, v[2:3]
	v_mov_b32_e32 v11, s7
	v_add_co_u32_e32 v10, vcc, s6, v2
	v_addc_co_u32_e32 v11, vcc, v11, v3, vcc
	s_waitcnt lgkmcnt(0)
	v_add_f64 v[2:3], v[6:7], v[8:9]
	v_add_f64 v[0:1], v[0:1], v[4:5]
	global_store_dwordx4 v[10:11], v[0:3], off
.LBB92_7:
	s_endpgm
	.section	.rodata,"a",@progbits
	.p2align	6, 0x0
	.amdhsa_kernel _ZL28rocblas_dot_batched_4_kernelIiLi32ELi4ELb0E19rocblas_complex_numIdES1_PKS1_EviT5_lT_lS4_lS5_liPT4_
		.amdhsa_group_segment_fixed_size 0
		.amdhsa_private_segment_fixed_size 0
		.amdhsa_kernarg_size 88
		.amdhsa_user_sgpr_count 6
		.amdhsa_user_sgpr_private_segment_buffer 1
		.amdhsa_user_sgpr_dispatch_ptr 0
		.amdhsa_user_sgpr_queue_ptr 0
		.amdhsa_user_sgpr_kernarg_segment_ptr 1
		.amdhsa_user_sgpr_dispatch_id 0
		.amdhsa_user_sgpr_flat_scratch_init 0
		.amdhsa_user_sgpr_kernarg_preload_length 0
		.amdhsa_user_sgpr_kernarg_preload_offset 0
		.amdhsa_user_sgpr_private_segment_size 0
		.amdhsa_uses_dynamic_stack 0
		.amdhsa_system_sgpr_private_segment_wavefront_offset 0
		.amdhsa_system_sgpr_workgroup_id_x 1
		.amdhsa_system_sgpr_workgroup_id_y 0
		.amdhsa_system_sgpr_workgroup_id_z 0
		.amdhsa_system_sgpr_workgroup_info 0
		.amdhsa_system_vgpr_workitem_id 1
		.amdhsa_next_free_vgpr 24
		.amdhsa_next_free_sgpr 24
		.amdhsa_accum_offset 24
		.amdhsa_reserve_vcc 1
		.amdhsa_reserve_flat_scratch 0
		.amdhsa_float_round_mode_32 0
		.amdhsa_float_round_mode_16_64 0
		.amdhsa_float_denorm_mode_32 3
		.amdhsa_float_denorm_mode_16_64 3
		.amdhsa_dx10_clamp 1
		.amdhsa_ieee_mode 1
		.amdhsa_fp16_overflow 0
		.amdhsa_tg_split 0
		.amdhsa_exception_fp_ieee_invalid_op 0
		.amdhsa_exception_fp_denorm_src 0
		.amdhsa_exception_fp_ieee_div_zero 0
		.amdhsa_exception_fp_ieee_overflow 0
		.amdhsa_exception_fp_ieee_underflow 0
		.amdhsa_exception_fp_ieee_inexact 0
		.amdhsa_exception_int_div_zero 0
	.end_amdhsa_kernel
	.section	.text._ZL28rocblas_dot_batched_4_kernelIiLi32ELi4ELb0E19rocblas_complex_numIdES1_PKS1_EviT5_lT_lS4_lS5_liPT4_,"axG",@progbits,_ZL28rocblas_dot_batched_4_kernelIiLi32ELi4ELb0E19rocblas_complex_numIdES1_PKS1_EviT5_lT_lS4_lS5_liPT4_,comdat
.Lfunc_end92:
	.size	_ZL28rocblas_dot_batched_4_kernelIiLi32ELi4ELb0E19rocblas_complex_numIdES1_PKS1_EviT5_lT_lS4_lS5_liPT4_, .Lfunc_end92-_ZL28rocblas_dot_batched_4_kernelIiLi32ELi4ELb0E19rocblas_complex_numIdES1_PKS1_EviT5_lT_lS4_lS5_liPT4_
                                        ; -- End function
	.section	.AMDGPU.csdata,"",@progbits
; Kernel info:
; codeLenInByte = 928
; NumSgprs: 28
; NumVgprs: 24
; NumAgprs: 0
; TotalNumVgprs: 24
; ScratchSize: 0
; MemoryBound: 0
; FloatMode: 240
; IeeeMode: 1
; LDSByteSize: 0 bytes/workgroup (compile time only)
; SGPRBlocks: 3
; VGPRBlocks: 2
; NumSGPRsForWavesPerEU: 28
; NumVGPRsForWavesPerEU: 24
; AccumOffset: 24
; Occupancy: 8
; WaveLimiterHint : 0
; COMPUTE_PGM_RSRC2:SCRATCH_EN: 0
; COMPUTE_PGM_RSRC2:USER_SGPR: 6
; COMPUTE_PGM_RSRC2:TRAP_HANDLER: 0
; COMPUTE_PGM_RSRC2:TGID_X_EN: 1
; COMPUTE_PGM_RSRC2:TGID_Y_EN: 0
; COMPUTE_PGM_RSRC2:TGID_Z_EN: 0
; COMPUTE_PGM_RSRC2:TIDIG_COMP_CNT: 1
; COMPUTE_PGM_RSRC3_GFX90A:ACCUM_OFFSET: 5
; COMPUTE_PGM_RSRC3_GFX90A:TG_SPLIT: 0
	.section	.text._ZL28rocblas_dot_batched_4_kernelIiLi64ELi4ELb0E19rocblas_complex_numIdES1_PKS1_EviT5_lT_lS4_lS5_liPT4_,"axG",@progbits,_ZL28rocblas_dot_batched_4_kernelIiLi64ELi4ELb0E19rocblas_complex_numIdES1_PKS1_EviT5_lT_lS4_lS5_liPT4_,comdat
	.globl	_ZL28rocblas_dot_batched_4_kernelIiLi64ELi4ELb0E19rocblas_complex_numIdES1_PKS1_EviT5_lT_lS4_lS5_liPT4_ ; -- Begin function _ZL28rocblas_dot_batched_4_kernelIiLi64ELi4ELb0E19rocblas_complex_numIdES1_PKS1_EviT5_lT_lS4_lS5_liPT4_
	.p2align	8
	.type	_ZL28rocblas_dot_batched_4_kernelIiLi64ELi4ELb0E19rocblas_complex_numIdES1_PKS1_EviT5_lT_lS4_lS5_liPT4_,@function
_ZL28rocblas_dot_batched_4_kernelIiLi64ELi4ELb0E19rocblas_complex_numIdES1_PKS1_EviT5_lT_lS4_lS5_liPT4_: ; @_ZL28rocblas_dot_batched_4_kernelIiLi64ELi4ELb0E19rocblas_complex_numIdES1_PKS1_EviT5_lT_lS4_lS5_liPT4_
; %bb.0:
	s_load_dword s0, s[4:5], 0x48
	v_bfe_u32 v1, v0, 10, 10
	v_lshl_add_u32 v2, s6, 2, v1
	s_waitcnt lgkmcnt(0)
	v_cmp_gt_u32_e32 vcc, s0, v2
	s_and_saveexec_b64 s[0:1], vcc
	s_cbranch_execz .LBB93_7
; %bb.1:
	s_load_dword s10, s[4:5], 0x0
	s_load_dwordx2 s[6:7], s[4:5], 0x50
	v_and_b32_e32 v10, 0x3ff, v0
	v_pk_mov_b32 v[0:1], 0, 0
	v_mov_b32_e32 v3, 0
	s_waitcnt lgkmcnt(0)
	v_cmp_gt_i32_e32 vcc, s10, v10
	v_pk_mov_b32 v[4:5], v[0:1], v[0:1] op_sel:[0,1]
	s_and_saveexec_b64 s[8:9], vcc
	s_cbranch_execz .LBB93_5
; %bb.2:
	s_load_dwordx4 s[0:3], s[4:5], 0x8
	s_load_dword s16, s[4:5], 0x18
	s_load_dword s18, s[4:5], 0x38
	s_load_dwordx4 s[12:15], s[4:5], 0x20
	s_load_dwordx2 s[20:21], s[4:5], 0x30
	s_load_dwordx2 s[22:23], s[4:5], 0x40
	s_waitcnt lgkmcnt(0)
	s_ashr_i32 s17, s16, 31
	v_mad_i64_i32 v[0:1], s[4:5], s18, v10, 0
	s_ashr_i32 s19, s18, 31
	v_mad_u64_u32 v[4:5], s[4:5], s22, v2, 0
	v_mov_b32_e32 v6, v5
	v_mad_u64_u32 v[6:7], s[4:5], s23, v2, v[6:7]
	v_mov_b32_e32 v5, v6
	v_lshlrev_b64 v[0:1], 4, v[0:1]
	v_lshlrev_b64 v[4:5], 4, v[4:5]
	s_lshl_b64 s[4:5], s[20:21], 4
	v_add_co_u32_e32 v0, vcc, v0, v4
	s_add_u32 s4, s14, s4
	v_addc_co_u32_e32 v1, vcc, v1, v5, vcc
	s_addc_u32 s5, s15, s5
	v_mov_b32_e32 v4, s5
	v_add_co_u32_e32 v0, vcc, s4, v0
	v_addc_co_u32_e32 v1, vcc, v4, v1, vcc
	v_mad_u64_u32 v[4:5], s[14:15], s12, v2, 0
	v_mov_b32_e32 v8, v5
	v_add_co_u32_e32 v6, vcc, 8, v0
	v_mad_u64_u32 v[8:9], s[12:13], s13, v2, v[8:9]
	v_addc_co_u32_e32 v7, vcc, 0, v1, vcc
	v_mad_i64_i32 v[0:1], s[14:15], s16, v10, 0
	v_mov_b32_e32 v5, v8
	s_lshl_b64 s[4:5], s[18:19], 10
	v_lshlrev_b64 v[0:1], 4, v[0:1]
	v_lshlrev_b64 v[4:5], 4, v[4:5]
	s_lshl_b64 s[2:3], s[2:3], 4
	v_add_co_u32_e32 v0, vcc, v0, v4
	s_add_u32 s0, s0, s2
	v_addc_co_u32_e32 v1, vcc, v1, v5, vcc
	s_addc_u32 s1, s1, s3
	v_mov_b32_e32 v4, s1
	v_add_co_u32_e32 v0, vcc, s0, v0
	v_addc_co_u32_e32 v1, vcc, v4, v1, vcc
	v_add_co_u32_e32 v8, vcc, 8, v0
	v_addc_co_u32_e32 v9, vcc, 0, v1, vcc
	s_lshl_b64 s[2:3], s[16:17], 10
	v_pk_mov_b32 v[0:1], 0, 0
	s_mov_b64 s[0:1], 0
	v_mov_b32_e32 v11, s5
	v_mov_b32_e32 v12, s3
	;; [unrolled: 1-line block ×3, first 2 shown]
	v_pk_mov_b32 v[4:5], v[0:1], v[0:1] op_sel:[0,1]
.LBB93_3:                               ; =>This Inner Loop Header: Depth=1
	global_load_dwordx4 v[14:17], v[8:9], off offset:-8
	global_load_dwordx4 v[18:21], v[6:7], off offset:-8
	v_add_co_u32_e32 v6, vcc, s4, v6
	v_addc_co_u32_e32 v7, vcc, v7, v11, vcc
	v_add_co_u32_e32 v8, vcc, s2, v8
	v_add_u32_e32 v13, 64, v13
	v_addc_co_u32_e32 v9, vcc, v9, v12, vcc
	v_cmp_le_i32_e32 vcc, s10, v13
	s_or_b64 s[0:1], vcc, s[0:1]
	s_waitcnt vmcnt(0)
	v_mul_f64 v[22:23], v[16:17], v[20:21]
	v_mul_f64 v[20:21], v[14:15], v[20:21]
	v_fma_f64 v[14:15], v[14:15], v[18:19], -v[22:23]
	v_fmac_f64_e32 v[20:21], v[16:17], v[18:19]
	v_add_f64 v[0:1], v[0:1], v[14:15]
	v_add_f64 v[4:5], v[4:5], v[20:21]
	s_andn2_b64 exec, exec, s[0:1]
	s_cbranch_execnz .LBB93_3
; %bb.4:
	s_or_b64 exec, exec, s[0:1]
.LBB93_5:
	s_or_b64 exec, exec, s[8:9]
	v_mbcnt_lo_u32_b32 v6, -1, 0
	v_mbcnt_hi_u32_b32 v11, -1, v6
	v_and_b32_e32 v12, 63, v11
	v_cmp_gt_u32_e32 vcc, 32, v12
	v_cndmask_b32_e64 v6, 0, 1, vcc
	v_lshlrev_b32_e32 v6, 5, v6
	v_add_lshl_u32 v9, v6, v11, 2
	ds_bpermute_b32 v6, v9, v0
	ds_bpermute_b32 v7, v9, v1
	;; [unrolled: 1-line block ×4, first 2 shown]
	v_cmp_gt_u32_e32 vcc, 48, v12
	s_waitcnt lgkmcnt(0)
	v_add_f64 v[0:1], v[0:1], v[6:7]
	v_cndmask_b32_e64 v6, 0, 1, vcc
	v_lshlrev_b32_e32 v6, 4, v6
	v_add_f64 v[4:5], v[4:5], v[8:9]
	v_add_lshl_u32 v9, v6, v11, 2
	ds_bpermute_b32 v6, v9, v0
	ds_bpermute_b32 v7, v9, v1
	;; [unrolled: 1-line block ×4, first 2 shown]
	v_cmp_gt_u32_e32 vcc, 56, v12
	s_barrier
	s_waitcnt lgkmcnt(2)
	v_add_f64 v[0:1], v[0:1], v[6:7]
	v_cndmask_b32_e64 v6, 0, 1, vcc
	v_lshlrev_b32_e32 v6, 3, v6
	s_waitcnt lgkmcnt(0)
	v_add_f64 v[4:5], v[4:5], v[8:9]
	v_add_lshl_u32 v9, v6, v11, 2
	ds_bpermute_b32 v6, v9, v0
	ds_bpermute_b32 v7, v9, v1
	;; [unrolled: 1-line block ×4, first 2 shown]
	v_cmp_gt_u32_e32 vcc, 60, v12
	s_waitcnt lgkmcnt(0)
	v_add_f64 v[0:1], v[0:1], v[6:7]
	v_cndmask_b32_e64 v6, 0, 1, vcc
	v_lshlrev_b32_e32 v6, 2, v6
	v_add_f64 v[4:5], v[4:5], v[8:9]
	v_add_lshl_u32 v9, v6, v11, 2
	ds_bpermute_b32 v6, v9, v0
	ds_bpermute_b32 v7, v9, v1
	;; [unrolled: 1-line block ×4, first 2 shown]
	v_cmp_gt_u32_e32 vcc, 62, v12
	s_waitcnt lgkmcnt(2)
	v_add_f64 v[0:1], v[0:1], v[6:7]
	v_cndmask_b32_e64 v6, 0, 1, vcc
	v_lshlrev_b32_e32 v6, 1, v6
	s_waitcnt lgkmcnt(0)
	v_add_f64 v[4:5], v[4:5], v[8:9]
	v_add_lshl_u32 v9, v6, v11, 2
	ds_bpermute_b32 v6, v9, v0
	ds_bpermute_b32 v7, v9, v1
	;; [unrolled: 1-line block ×4, first 2 shown]
	v_cmp_ne_u32_e32 vcc, 63, v12
	s_waitcnt lgkmcnt(2)
	v_add_f64 v[0:1], v[0:1], v[6:7]
	s_waitcnt lgkmcnt(0)
	v_add_f64 v[6:7], v[4:5], v[8:9]
	v_addc_co_u32_e32 v4, vcc, 0, v11, vcc
	v_lshlrev_b32_e32 v9, 2, v4
	ds_bpermute_b32 v4, v9, v0
	ds_bpermute_b32 v5, v9, v1
	;; [unrolled: 1-line block ×4, first 2 shown]
	v_cmp_eq_u32_e32 vcc, 0, v10
	s_and_b64 exec, exec, vcc
	s_cbranch_execz .LBB93_7
; %bb.6:
	v_lshlrev_b64 v[2:3], 4, v[2:3]
	v_mov_b32_e32 v11, s7
	v_add_co_u32_e32 v10, vcc, s6, v2
	v_addc_co_u32_e32 v11, vcc, v11, v3, vcc
	s_waitcnt lgkmcnt(0)
	v_add_f64 v[2:3], v[6:7], v[8:9]
	v_add_f64 v[0:1], v[0:1], v[4:5]
	global_store_dwordx4 v[10:11], v[0:3], off
.LBB93_7:
	s_endpgm
	.section	.rodata,"a",@progbits
	.p2align	6, 0x0
	.amdhsa_kernel _ZL28rocblas_dot_batched_4_kernelIiLi64ELi4ELb0E19rocblas_complex_numIdES1_PKS1_EviT5_lT_lS4_lS5_liPT4_
		.amdhsa_group_segment_fixed_size 0
		.amdhsa_private_segment_fixed_size 0
		.amdhsa_kernarg_size 88
		.amdhsa_user_sgpr_count 6
		.amdhsa_user_sgpr_private_segment_buffer 1
		.amdhsa_user_sgpr_dispatch_ptr 0
		.amdhsa_user_sgpr_queue_ptr 0
		.amdhsa_user_sgpr_kernarg_segment_ptr 1
		.amdhsa_user_sgpr_dispatch_id 0
		.amdhsa_user_sgpr_flat_scratch_init 0
		.amdhsa_user_sgpr_kernarg_preload_length 0
		.amdhsa_user_sgpr_kernarg_preload_offset 0
		.amdhsa_user_sgpr_private_segment_size 0
		.amdhsa_uses_dynamic_stack 0
		.amdhsa_system_sgpr_private_segment_wavefront_offset 0
		.amdhsa_system_sgpr_workgroup_id_x 1
		.amdhsa_system_sgpr_workgroup_id_y 0
		.amdhsa_system_sgpr_workgroup_id_z 0
		.amdhsa_system_sgpr_workgroup_info 0
		.amdhsa_system_vgpr_workitem_id 1
		.amdhsa_next_free_vgpr 24
		.amdhsa_next_free_sgpr 24
		.amdhsa_accum_offset 24
		.amdhsa_reserve_vcc 1
		.amdhsa_reserve_flat_scratch 0
		.amdhsa_float_round_mode_32 0
		.amdhsa_float_round_mode_16_64 0
		.amdhsa_float_denorm_mode_32 3
		.amdhsa_float_denorm_mode_16_64 3
		.amdhsa_dx10_clamp 1
		.amdhsa_ieee_mode 1
		.amdhsa_fp16_overflow 0
		.amdhsa_tg_split 0
		.amdhsa_exception_fp_ieee_invalid_op 0
		.amdhsa_exception_fp_denorm_src 0
		.amdhsa_exception_fp_ieee_div_zero 0
		.amdhsa_exception_fp_ieee_overflow 0
		.amdhsa_exception_fp_ieee_underflow 0
		.amdhsa_exception_fp_ieee_inexact 0
		.amdhsa_exception_int_div_zero 0
	.end_amdhsa_kernel
	.section	.text._ZL28rocblas_dot_batched_4_kernelIiLi64ELi4ELb0E19rocblas_complex_numIdES1_PKS1_EviT5_lT_lS4_lS5_liPT4_,"axG",@progbits,_ZL28rocblas_dot_batched_4_kernelIiLi64ELi4ELb0E19rocblas_complex_numIdES1_PKS1_EviT5_lT_lS4_lS5_liPT4_,comdat
.Lfunc_end93:
	.size	_ZL28rocblas_dot_batched_4_kernelIiLi64ELi4ELb0E19rocblas_complex_numIdES1_PKS1_EviT5_lT_lS4_lS5_liPT4_, .Lfunc_end93-_ZL28rocblas_dot_batched_4_kernelIiLi64ELi4ELb0E19rocblas_complex_numIdES1_PKS1_EviT5_lT_lS4_lS5_liPT4_
                                        ; -- End function
	.section	.AMDGPU.csdata,"",@progbits
; Kernel info:
; codeLenInByte = 1008
; NumSgprs: 28
; NumVgprs: 24
; NumAgprs: 0
; TotalNumVgprs: 24
; ScratchSize: 0
; MemoryBound: 0
; FloatMode: 240
; IeeeMode: 1
; LDSByteSize: 0 bytes/workgroup (compile time only)
; SGPRBlocks: 3
; VGPRBlocks: 2
; NumSGPRsForWavesPerEU: 28
; NumVGPRsForWavesPerEU: 24
; AccumOffset: 24
; Occupancy: 8
; WaveLimiterHint : 0
; COMPUTE_PGM_RSRC2:SCRATCH_EN: 0
; COMPUTE_PGM_RSRC2:USER_SGPR: 6
; COMPUTE_PGM_RSRC2:TRAP_HANDLER: 0
; COMPUTE_PGM_RSRC2:TGID_X_EN: 1
; COMPUTE_PGM_RSRC2:TGID_Y_EN: 0
; COMPUTE_PGM_RSRC2:TGID_Z_EN: 0
; COMPUTE_PGM_RSRC2:TIDIG_COMP_CNT: 1
; COMPUTE_PGM_RSRC3_GFX90A:ACCUM_OFFSET: 5
; COMPUTE_PGM_RSRC3_GFX90A:TG_SPLIT: 0
	.section	.text._ZL26rocblas_dot_kernel_inc1by2ILb1ELi1024ELi32ELb0E19rocblas_complex_numIdEPKS1_S1_EviT4_llS4_lliPT5_PT3_,"axG",@progbits,_ZL26rocblas_dot_kernel_inc1by2ILb1ELi1024ELi32ELb0E19rocblas_complex_numIdEPKS1_S1_EviT4_llS4_lliPT5_PT3_,comdat
	.globl	_ZL26rocblas_dot_kernel_inc1by2ILb1ELi1024ELi32ELb0E19rocblas_complex_numIdEPKS1_S1_EviT4_llS4_lliPT5_PT3_ ; -- Begin function _ZL26rocblas_dot_kernel_inc1by2ILb1ELi1024ELi32ELb0E19rocblas_complex_numIdEPKS1_S1_EviT4_llS4_lliPT5_PT3_
	.p2align	8
	.type	_ZL26rocblas_dot_kernel_inc1by2ILb1ELi1024ELi32ELb0E19rocblas_complex_numIdEPKS1_S1_EviT4_llS4_lliPT5_PT3_,@function
_ZL26rocblas_dot_kernel_inc1by2ILb1ELi1024ELi32ELb0E19rocblas_complex_numIdEPKS1_S1_EviT4_llS4_lliPT5_PT3_: ; @_ZL26rocblas_dot_kernel_inc1by2ILb1ELi1024ELi32ELb0E19rocblas_complex_numIdEPKS1_S1_EviT4_llS4_lliPT5_PT3_
; %bb.0:
	s_mov_b32 s2, s7
	s_load_dword s10, s[4:5], 0x0
	s_load_dwordx2 s[6:7], s[4:5], 0x48
	v_pk_mov_b32 v[2:3], 0, 0
	s_mov_b32 s3, 0
	v_pk_mov_b32 v[4:5], v[2:3], v[2:3] op_sel:[0,1]
	s_waitcnt lgkmcnt(0)
	v_cmp_gt_i32_e32 vcc, s10, v0
	s_and_saveexec_b64 s[8:9], vcc
	s_cbranch_execz .LBB94_4
; %bb.1:
	s_load_dwordx4 s[12:15], s[4:5], 0x28
	s_load_dwordx2 s[0:1], s[4:5], 0x20
	s_load_dwordx2 s[20:21], s[4:5], 0x8
	s_load_dwordx4 s[16:19], s[4:5], 0x10
	v_lshlrev_b32_e32 v2, 4, v0
	s_waitcnt lgkmcnt(0)
	s_mul_i32 s4, s15, s2
	s_mul_hi_u32 s5, s14, s2
	s_add_i32 s5, s5, s4
	s_mul_i32 s4, s14, s2
	s_lshl_b64 s[4:5], s[4:5], 4
	s_lshl_b64 s[12:13], s[12:13], 4
	s_add_u32 s4, s4, s12
	s_addc_u32 s5, s5, s13
	s_add_u32 s0, s0, s4
	s_addc_u32 s1, s1, s5
	v_mov_b32_e32 v3, s1
	v_add_co_u32_e32 v4, vcc, s0, v2
	s_mul_i32 s0, s19, s2
	s_mul_hi_u32 s1, s18, s2
	s_add_i32 s1, s1, s0
	s_mul_i32 s0, s18, s2
	s_lshl_b64 s[0:1], s[0:1], 4
	s_lshl_b64 s[4:5], s[16:17], 4
	s_add_u32 s0, s0, s4
	v_addc_co_u32_e32 v3, vcc, 0, v3, vcc
	s_addc_u32 s1, s1, s5
	v_add_co_u32_e32 v6, vcc, 8, v4
	s_add_u32 s0, s20, s0
	v_addc_co_u32_e32 v7, vcc, 0, v3, vcc
	s_addc_u32 s1, s21, s1
	v_mov_b32_e32 v3, s1
	v_add_co_u32_e32 v2, vcc, s0, v2
	v_addc_co_u32_e32 v3, vcc, 0, v3, vcc
	v_add_co_u32_e32 v8, vcc, 8, v2
	v_addc_co_u32_e32 v9, vcc, 0, v3, vcc
	v_pk_mov_b32 v[2:3], 0, 0
	v_or_b32_e32 v1, 0x400, v0
	s_mov_b64 s[4:5], 0
	s_mov_b32 s11, s3
	v_pk_mov_b32 v[4:5], v[2:3], v[2:3] op_sel:[0,1]
.LBB94_2:                               ; =>This Inner Loop Header: Depth=1
	global_load_dwordx4 v[10:13], v[6:7], off offset:-8
	global_load_dwordx4 v[14:17], v[8:9], off offset:-8
	s_add_i32 s12, s11, 1
	s_cmp_gt_u32 s11, 30
	v_cmp_le_i32_e64 s[0:1], s10, v1
	v_add_co_u32_e32 v6, vcc, 0x4000, v6
	s_mov_b32 s11, s12
	s_cselect_b64 s[12:13], -1, 0
	v_addc_co_u32_e32 v7, vcc, 0, v7, vcc
	s_or_b64 s[0:1], s[12:13], s[0:1]
	v_add_co_u32_e32 v8, vcc, 0x4000, v8
	s_and_b64 s[0:1], exec, s[0:1]
	v_add_u32_e32 v1, 0x400, v1
	v_addc_co_u32_e32 v9, vcc, 0, v9, vcc
	s_or_b64 s[4:5], s[0:1], s[4:5]
	s_waitcnt vmcnt(0)
	v_mul_f64 v[18:19], v[12:13], v[16:17]
	v_mul_f64 v[16:17], v[10:11], v[16:17]
	v_fma_f64 v[10:11], v[10:11], v[14:15], -v[18:19]
	v_fmac_f64_e32 v[16:17], v[12:13], v[14:15]
	v_add_f64 v[4:5], v[4:5], v[10:11]
	v_add_f64 v[2:3], v[2:3], v[16:17]
	s_andn2_b64 exec, exec, s[4:5]
	s_cbranch_execnz .LBB94_2
; %bb.3:
	s_or_b64 exec, exec, s[4:5]
.LBB94_4:
	s_or_b64 exec, exec, s[8:9]
	v_and_b32_e32 v13, 63, v0
	v_cmp_gt_u32_e32 vcc, 64, v0
	v_lshlrev_b32_e32 v1, 4, v13
	s_and_saveexec_b64 s[0:1], vcc
	s_cbranch_execz .LBB94_6
; %bb.5:
	v_mov_b32_e32 v6, 0
	v_mov_b32_e32 v7, v6
	;; [unrolled: 1-line block ×4, first 2 shown]
	ds_write_b128 v1, v[6:9]
.LBB94_6:
	s_or_b64 exec, exec, s[0:1]
	v_mbcnt_lo_u32_b32 v6, -1, 0
	v_mbcnt_hi_u32_b32 v14, -1, v6
	v_and_b32_e32 v15, 63, v14
	v_cmp_gt_u32_e64 s[0:1], 32, v15
	v_cndmask_b32_e64 v6, 0, 1, s[0:1]
	v_lshlrev_b32_e32 v6, 5, v6
	v_add_lshl_u32 v9, v6, v14, 2
	ds_bpermute_b32 v6, v9, v4
	ds_bpermute_b32 v7, v9, v5
	;; [unrolled: 1-line block ×4, first 2 shown]
	v_cmp_gt_u32_e64 s[0:1], 48, v15
	s_waitcnt lgkmcnt(0)
	v_add_f64 v[4:5], v[4:5], v[6:7]
	v_cndmask_b32_e64 v6, 0, 1, s[0:1]
	v_lshlrev_b32_e32 v6, 4, v6
	v_add_f64 v[2:3], v[2:3], v[8:9]
	v_add_lshl_u32 v9, v6, v14, 2
	ds_bpermute_b32 v6, v9, v4
	ds_bpermute_b32 v7, v9, v5
	;; [unrolled: 1-line block ×4, first 2 shown]
	v_cmp_gt_u32_e64 s[0:1], 56, v15
	s_barrier
	s_waitcnt lgkmcnt(2)
	v_add_f64 v[4:5], v[4:5], v[6:7]
	v_cndmask_b32_e64 v6, 0, 1, s[0:1]
	v_lshlrev_b32_e32 v6, 3, v6
	v_add_lshl_u32 v10, v6, v14, 2
	ds_bpermute_b32 v6, v10, v4
	ds_bpermute_b32 v7, v10, v5
	s_waitcnt lgkmcnt(2)
	v_add_f64 v[2:3], v[2:3], v[8:9]
	ds_bpermute_b32 v8, v10, v2
	ds_bpermute_b32 v9, v10, v3
	v_cmp_gt_u32_e64 s[0:1], 60, v15
	s_waitcnt lgkmcnt(2)
	v_add_f64 v[4:5], v[4:5], v[6:7]
	v_cndmask_b32_e64 v6, 0, 1, s[0:1]
	v_lshlrev_b32_e32 v6, 2, v6
	s_waitcnt lgkmcnt(0)
	v_add_f64 v[2:3], v[2:3], v[8:9]
	v_add_lshl_u32 v11, v6, v14, 2
	ds_bpermute_b32 v6, v11, v4
	ds_bpermute_b32 v7, v11, v5
	;; [unrolled: 1-line block ×4, first 2 shown]
	v_cmp_gt_u32_e64 s[0:1], 62, v15
	s_waitcnt lgkmcnt(0)
	v_add_f64 v[4:5], v[4:5], v[6:7]
	v_add_f64 v[6:7], v[2:3], v[8:9]
	v_cndmask_b32_e64 v2, 0, 1, s[0:1]
	v_lshlrev_b32_e32 v2, 1, v2
	v_add_lshl_u32 v12, v2, v14, 2
	ds_bpermute_b32 v2, v12, v4
	ds_bpermute_b32 v3, v12, v5
	;; [unrolled: 1-line block ×4, first 2 shown]
	v_cmp_ne_u32_e64 s[0:1], 63, v15
	s_waitcnt lgkmcnt(2)
	v_add_f64 v[2:3], v[4:5], v[2:3]
	v_addc_co_u32_e64 v4, s[0:1], 0, v14, s[0:1]
	s_waitcnt lgkmcnt(0)
	v_add_f64 v[6:7], v[6:7], v[8:9]
	v_lshlrev_b32_e32 v14, 2, v4
	ds_bpermute_b32 v4, v14, v2
	ds_bpermute_b32 v5, v14, v3
	;; [unrolled: 1-line block ×4, first 2 shown]
	v_cmp_eq_u32_e64 s[0:1], 0, v13
	s_and_saveexec_b64 s[4:5], s[0:1]
	s_cbranch_execz .LBB94_8
; %bb.7:
	v_lshrrev_b32_e32 v13, 2, v0
	v_and_b32_e32 v13, 0xf0, v13
	s_waitcnt lgkmcnt(0)
	v_add_f64 v[6:7], v[6:7], v[8:9]
	v_add_f64 v[4:5], v[2:3], v[4:5]
	ds_write_b128 v13, v[4:7]
.LBB94_8:
	s_or_b64 exec, exec, s[4:5]
	s_waitcnt lgkmcnt(2)
	v_pk_mov_b32 v[4:5], 0, 0
	v_cmp_gt_u32_e64 s[0:1], 16, v0
	v_pk_mov_b32 v[2:3], v[4:5], v[4:5] op_sel:[0,1]
	s_waitcnt lgkmcnt(0)
	s_barrier
	s_and_saveexec_b64 s[4:5], s[0:1]
	s_cbranch_execnz .LBB94_12
; %bb.9:
	s_or_b64 exec, exec, s[4:5]
	s_and_saveexec_b64 s[0:1], vcc
	s_cbranch_execnz .LBB94_13
.LBB94_10:
	s_or_b64 exec, exec, s[0:1]
	v_cmp_eq_u32_e32 vcc, 0, v0
	s_and_saveexec_b64 s[0:1], vcc
	s_cbranch_execnz .LBB94_14
.LBB94_11:
	s_endpgm
.LBB94_12:
	ds_read_b128 v[2:5], v1
	s_or_b64 exec, exec, s[4:5]
	s_and_saveexec_b64 s[0:1], vcc
	s_cbranch_execz .LBB94_10
.LBB94_13:
	s_waitcnt lgkmcnt(0)
	ds_bpermute_b32 v6, v10, v2
	ds_bpermute_b32 v7, v10, v3
	;; [unrolled: 1-line block ×4, first 2 shown]
	s_waitcnt lgkmcnt(2)
	v_add_f64 v[2:3], v[2:3], v[6:7]
	ds_bpermute_b32 v6, v11, v2
	s_waitcnt lgkmcnt(1)
	v_add_f64 v[4:5], v[4:5], v[8:9]
	ds_bpermute_b32 v7, v11, v3
	ds_bpermute_b32 v8, v11, v4
	ds_bpermute_b32 v9, v11, v5
	s_waitcnt lgkmcnt(2)
	v_add_f64 v[2:3], v[2:3], v[6:7]
	ds_bpermute_b32 v6, v12, v2
	s_waitcnt lgkmcnt(1)
	v_add_f64 v[4:5], v[4:5], v[8:9]
	ds_bpermute_b32 v7, v12, v3
	ds_bpermute_b32 v8, v12, v4
	ds_bpermute_b32 v9, v12, v5
	;; [unrolled: 8-line block ×3, first 2 shown]
	s_waitcnt lgkmcnt(2)
	v_add_f64 v[2:3], v[2:3], v[6:7]
	s_waitcnt lgkmcnt(0)
	v_add_f64 v[4:5], v[4:5], v[8:9]
	s_or_b64 exec, exec, s[0:1]
	v_cmp_eq_u32_e32 vcc, 0, v0
	s_and_saveexec_b64 s[0:1], vcc
	s_cbranch_execz .LBB94_11
.LBB94_14:
	s_lshl_b64 s[0:1], s[2:3], 4
	s_add_u32 s0, s6, s0
	s_addc_u32 s1, s7, s1
	v_mov_b32_e32 v0, 0
	s_waitcnt lgkmcnt(0)
	global_store_dwordx4 v0, v[2:5], s[0:1]
	s_endpgm
	.section	.rodata,"a",@progbits
	.p2align	6, 0x0
	.amdhsa_kernel _ZL26rocblas_dot_kernel_inc1by2ILb1ELi1024ELi32ELb0E19rocblas_complex_numIdEPKS1_S1_EviT4_llS4_lliPT5_PT3_
		.amdhsa_group_segment_fixed_size 1024
		.amdhsa_private_segment_fixed_size 0
		.amdhsa_kernarg_size 80
		.amdhsa_user_sgpr_count 6
		.amdhsa_user_sgpr_private_segment_buffer 1
		.amdhsa_user_sgpr_dispatch_ptr 0
		.amdhsa_user_sgpr_queue_ptr 0
		.amdhsa_user_sgpr_kernarg_segment_ptr 1
		.amdhsa_user_sgpr_dispatch_id 0
		.amdhsa_user_sgpr_flat_scratch_init 0
		.amdhsa_user_sgpr_kernarg_preload_length 0
		.amdhsa_user_sgpr_kernarg_preload_offset 0
		.amdhsa_user_sgpr_private_segment_size 0
		.amdhsa_uses_dynamic_stack 0
		.amdhsa_system_sgpr_private_segment_wavefront_offset 0
		.amdhsa_system_sgpr_workgroup_id_x 1
		.amdhsa_system_sgpr_workgroup_id_y 0
		.amdhsa_system_sgpr_workgroup_id_z 1
		.amdhsa_system_sgpr_workgroup_info 0
		.amdhsa_system_vgpr_workitem_id 0
		.amdhsa_next_free_vgpr 20
		.amdhsa_next_free_sgpr 22
		.amdhsa_accum_offset 20
		.amdhsa_reserve_vcc 1
		.amdhsa_reserve_flat_scratch 0
		.amdhsa_float_round_mode_32 0
		.amdhsa_float_round_mode_16_64 0
		.amdhsa_float_denorm_mode_32 3
		.amdhsa_float_denorm_mode_16_64 3
		.amdhsa_dx10_clamp 1
		.amdhsa_ieee_mode 1
		.amdhsa_fp16_overflow 0
		.amdhsa_tg_split 0
		.amdhsa_exception_fp_ieee_invalid_op 0
		.amdhsa_exception_fp_denorm_src 0
		.amdhsa_exception_fp_ieee_div_zero 0
		.amdhsa_exception_fp_ieee_overflow 0
		.amdhsa_exception_fp_ieee_underflow 0
		.amdhsa_exception_fp_ieee_inexact 0
		.amdhsa_exception_int_div_zero 0
	.end_amdhsa_kernel
	.section	.text._ZL26rocblas_dot_kernel_inc1by2ILb1ELi1024ELi32ELb0E19rocblas_complex_numIdEPKS1_S1_EviT4_llS4_lliPT5_PT3_,"axG",@progbits,_ZL26rocblas_dot_kernel_inc1by2ILb1ELi1024ELi32ELb0E19rocblas_complex_numIdEPKS1_S1_EviT4_llS4_lliPT5_PT3_,comdat
.Lfunc_end94:
	.size	_ZL26rocblas_dot_kernel_inc1by2ILb1ELi1024ELi32ELb0E19rocblas_complex_numIdEPKS1_S1_EviT4_llS4_lliPT5_PT3_, .Lfunc_end94-_ZL26rocblas_dot_kernel_inc1by2ILb1ELi1024ELi32ELb0E19rocblas_complex_numIdEPKS1_S1_EviT4_llS4_lliPT5_PT3_
                                        ; -- End function
	.section	.AMDGPU.csdata,"",@progbits
; Kernel info:
; codeLenInByte = 1364
; NumSgprs: 26
; NumVgprs: 20
; NumAgprs: 0
; TotalNumVgprs: 20
; ScratchSize: 0
; MemoryBound: 0
; FloatMode: 240
; IeeeMode: 1
; LDSByteSize: 1024 bytes/workgroup (compile time only)
; SGPRBlocks: 3
; VGPRBlocks: 2
; NumSGPRsForWavesPerEU: 26
; NumVGPRsForWavesPerEU: 20
; AccumOffset: 20
; Occupancy: 8
; WaveLimiterHint : 0
; COMPUTE_PGM_RSRC2:SCRATCH_EN: 0
; COMPUTE_PGM_RSRC2:USER_SGPR: 6
; COMPUTE_PGM_RSRC2:TRAP_HANDLER: 0
; COMPUTE_PGM_RSRC2:TGID_X_EN: 1
; COMPUTE_PGM_RSRC2:TGID_Y_EN: 0
; COMPUTE_PGM_RSRC2:TGID_Z_EN: 1
; COMPUTE_PGM_RSRC2:TIDIG_COMP_CNT: 0
; COMPUTE_PGM_RSRC3_GFX90A:ACCUM_OFFSET: 4
; COMPUTE_PGM_RSRC3_GFX90A:TG_SPLIT: 0
	.section	.text._ZL18rocblas_dot_kernelIiLb1ELi1024ELi32ELb0E19rocblas_complex_numIdEPKS1_S1_EviT5_lT_lS4_lS5_liPT6_PT4_,"axG",@progbits,_ZL18rocblas_dot_kernelIiLb1ELi1024ELi32ELb0E19rocblas_complex_numIdEPKS1_S1_EviT5_lT_lS4_lS5_liPT6_PT4_,comdat
	.globl	_ZL18rocblas_dot_kernelIiLb1ELi1024ELi32ELb0E19rocblas_complex_numIdEPKS1_S1_EviT5_lT_lS4_lS5_liPT6_PT4_ ; -- Begin function _ZL18rocblas_dot_kernelIiLb1ELi1024ELi32ELb0E19rocblas_complex_numIdEPKS1_S1_EviT5_lT_lS4_lS5_liPT6_PT4_
	.p2align	8
	.type	_ZL18rocblas_dot_kernelIiLb1ELi1024ELi32ELb0E19rocblas_complex_numIdEPKS1_S1_EviT5_lT_lS4_lS5_liPT6_PT4_,@function
_ZL18rocblas_dot_kernelIiLb1ELi1024ELi32ELb0E19rocblas_complex_numIdEPKS1_S1_EviT5_lT_lS4_lS5_liPT6_PT4_: ; @_ZL18rocblas_dot_kernelIiLb1ELi1024ELi32ELb0E19rocblas_complex_numIdEPKS1_S1_EviT5_lT_lS4_lS5_liPT6_PT4_
; %bb.0:
	s_load_dword s14, s[4:5], 0x0
	s_load_dwordx2 s[8:9], s[4:5], 0x58
	v_pk_mov_b32 v[2:3], 0, 0
	s_mov_b32 s6, s7
	s_mov_b32 s7, 0
	s_waitcnt lgkmcnt(0)
	v_cmp_gt_i32_e32 vcc, s14, v0
	v_pk_mov_b32 v[4:5], v[2:3], v[2:3] op_sel:[0,1]
	s_and_saveexec_b64 s[10:11], vcc
	s_cbranch_execz .LBB95_4
; %bb.1:
	s_load_dword s22, s[4:5], 0x38
	s_load_dwordx2 s[12:13], s[4:5], 0x40
	s_load_dword s15, s[4:5], 0x60
	s_load_dwordx4 s[0:3], s[4:5], 0x20
	s_load_dwordx4 s[16:19], s[4:5], 0x8
	s_load_dword s23, s[4:5], 0x18
	s_load_dwordx2 s[20:21], s[4:5], 0x30
	s_waitcnt lgkmcnt(0)
	s_lshl_b32 s15, s15, 10
	s_mul_i32 s1, s1, s6
	s_mul_hi_u32 s4, s0, s6
	s_add_i32 s1, s4, s1
	s_mul_i32 s0, s0, s6
	v_mad_i64_i32 v[2:3], s[4:5], s23, v0, 0
	s_lshl_b64 s[0:1], s[0:1], 4
	s_lshl_b64 s[4:5], s[18:19], 4
	s_add_u32 s4, s16, s4
	s_addc_u32 s5, s17, s5
	s_add_u32 s0, s4, s0
	v_lshlrev_b64 v[2:3], 4, v[2:3]
	s_addc_u32 s1, s5, s1
	v_mov_b32_e32 v4, s1
	v_add_co_u32_e32 v2, vcc, s0, v2
	v_addc_co_u32_e32 v3, vcc, v4, v3, vcc
	s_mul_hi_i32 s1, s23, s15
	s_mul_i32 s0, s23, s15
	v_add_co_u32_e32 v6, vcc, 8, v2
	s_lshl_b64 s[4:5], s[0:1], 4
	s_mul_i32 s0, s13, s6
	s_mul_hi_u32 s1, s12, s6
	v_addc_co_u32_e32 v7, vcc, 0, v3, vcc
	s_add_i32 s1, s1, s0
	s_mul_i32 s0, s12, s6
	v_mad_i64_i32 v[2:3], s[12:13], s22, v0, 0
	s_lshl_b64 s[0:1], s[0:1], 4
	s_lshl_b64 s[12:13], s[20:21], 4
	s_add_u32 s2, s2, s12
	s_addc_u32 s3, s3, s13
	s_add_u32 s0, s2, s0
	v_lshlrev_b64 v[2:3], 4, v[2:3]
	s_addc_u32 s1, s3, s1
	v_mov_b32_e32 v4, s1
	v_add_co_u32_e32 v2, vcc, s0, v2
	v_addc_co_u32_e32 v3, vcc, v4, v3, vcc
	v_add_co_u32_e32 v8, vcc, 8, v2
	s_mul_hi_i32 s1, s22, s15
	s_mul_i32 s0, s22, s15
	v_addc_co_u32_e32 v9, vcc, 0, v3, vcc
	s_lshl_b64 s[12:13], s[0:1], 4
	v_pk_mov_b32 v[2:3], 0, 0
	v_or_b32_e32 v1, s15, v0
	s_mov_b64 s[2:3], 0
	v_mov_b32_e32 v10, s5
	v_mov_b32_e32 v11, s13
	s_mov_b32 s5, s7
	v_pk_mov_b32 v[4:5], v[2:3], v[2:3] op_sel:[0,1]
.LBB95_2:                               ; =>This Inner Loop Header: Depth=1
	global_load_dwordx4 v[12:15], v[8:9], off offset:-8
	global_load_dwordx4 v[16:19], v[6:7], off offset:-8
	v_add_co_u32_e64 v6, s[0:1], s4, v6
	v_addc_co_u32_e64 v7, s[0:1], v7, v10, s[0:1]
	s_add_i32 s13, s5, 1
	v_add_co_u32_e64 v8, s[0:1], s12, v8
	v_addc_co_u32_e64 v9, s[0:1], v9, v11, s[0:1]
	s_cmp_gt_u32 s5, 30
	v_cmp_le_i32_e32 vcc, s14, v1
	s_cselect_b64 s[0:1], -1, 0
	s_or_b64 s[0:1], s[0:1], vcc
	s_and_b64 s[0:1], exec, s[0:1]
	v_add_u32_e32 v1, s15, v1
	s_mov_b32 s5, s13
	s_or_b64 s[2:3], s[0:1], s[2:3]
	s_waitcnt vmcnt(0)
	v_mul_f64 v[20:21], v[14:15], v[18:19]
	v_mul_f64 v[18:19], v[12:13], v[18:19]
	v_fma_f64 v[12:13], v[12:13], v[16:17], -v[20:21]
	v_fmac_f64_e32 v[18:19], v[14:15], v[16:17]
	v_add_f64 v[4:5], v[4:5], v[12:13]
	v_add_f64 v[2:3], v[2:3], v[18:19]
	s_andn2_b64 exec, exec, s[2:3]
	s_cbranch_execnz .LBB95_2
; %bb.3:
	s_or_b64 exec, exec, s[2:3]
.LBB95_4:
	s_or_b64 exec, exec, s[10:11]
	v_and_b32_e32 v13, 63, v0
	v_cmp_gt_u32_e32 vcc, 64, v0
	v_lshlrev_b32_e32 v1, 4, v13
	s_and_saveexec_b64 s[0:1], vcc
	s_cbranch_execz .LBB95_6
; %bb.5:
	v_mov_b32_e32 v6, 0
	v_mov_b32_e32 v7, v6
	;; [unrolled: 1-line block ×4, first 2 shown]
	ds_write_b128 v1, v[6:9]
.LBB95_6:
	s_or_b64 exec, exec, s[0:1]
	v_mbcnt_lo_u32_b32 v6, -1, 0
	v_mbcnt_hi_u32_b32 v14, -1, v6
	v_and_b32_e32 v15, 63, v14
	v_cmp_gt_u32_e64 s[0:1], 32, v15
	v_cndmask_b32_e64 v6, 0, 1, s[0:1]
	v_lshlrev_b32_e32 v6, 5, v6
	v_add_lshl_u32 v9, v6, v14, 2
	ds_bpermute_b32 v6, v9, v4
	ds_bpermute_b32 v7, v9, v5
	;; [unrolled: 1-line block ×4, first 2 shown]
	v_cmp_gt_u32_e64 s[0:1], 48, v15
	s_waitcnt lgkmcnt(0)
	v_add_f64 v[4:5], v[4:5], v[6:7]
	v_cndmask_b32_e64 v6, 0, 1, s[0:1]
	v_lshlrev_b32_e32 v6, 4, v6
	v_add_f64 v[2:3], v[2:3], v[8:9]
	v_add_lshl_u32 v9, v6, v14, 2
	ds_bpermute_b32 v6, v9, v4
	ds_bpermute_b32 v7, v9, v5
	;; [unrolled: 1-line block ×4, first 2 shown]
	v_cmp_gt_u32_e64 s[0:1], 56, v15
	s_barrier
	s_waitcnt lgkmcnt(2)
	v_add_f64 v[4:5], v[4:5], v[6:7]
	v_cndmask_b32_e64 v6, 0, 1, s[0:1]
	v_lshlrev_b32_e32 v6, 3, v6
	v_add_lshl_u32 v10, v6, v14, 2
	ds_bpermute_b32 v6, v10, v4
	ds_bpermute_b32 v7, v10, v5
	s_waitcnt lgkmcnt(2)
	v_add_f64 v[2:3], v[2:3], v[8:9]
	ds_bpermute_b32 v8, v10, v2
	ds_bpermute_b32 v9, v10, v3
	v_cmp_gt_u32_e64 s[0:1], 60, v15
	s_waitcnt lgkmcnt(2)
	v_add_f64 v[4:5], v[4:5], v[6:7]
	v_cndmask_b32_e64 v6, 0, 1, s[0:1]
	v_lshlrev_b32_e32 v6, 2, v6
	s_waitcnt lgkmcnt(0)
	v_add_f64 v[2:3], v[2:3], v[8:9]
	v_add_lshl_u32 v11, v6, v14, 2
	ds_bpermute_b32 v6, v11, v4
	ds_bpermute_b32 v7, v11, v5
	ds_bpermute_b32 v8, v11, v2
	ds_bpermute_b32 v9, v11, v3
	v_cmp_gt_u32_e64 s[0:1], 62, v15
	s_waitcnt lgkmcnt(0)
	v_add_f64 v[4:5], v[4:5], v[6:7]
	v_add_f64 v[6:7], v[2:3], v[8:9]
	v_cndmask_b32_e64 v2, 0, 1, s[0:1]
	v_lshlrev_b32_e32 v2, 1, v2
	v_add_lshl_u32 v12, v2, v14, 2
	ds_bpermute_b32 v2, v12, v4
	ds_bpermute_b32 v3, v12, v5
	;; [unrolled: 1-line block ×4, first 2 shown]
	v_cmp_ne_u32_e64 s[0:1], 63, v15
	s_waitcnt lgkmcnt(2)
	v_add_f64 v[2:3], v[4:5], v[2:3]
	v_addc_co_u32_e64 v4, s[0:1], 0, v14, s[0:1]
	s_waitcnt lgkmcnt(0)
	v_add_f64 v[6:7], v[6:7], v[8:9]
	v_lshlrev_b32_e32 v14, 2, v4
	ds_bpermute_b32 v4, v14, v2
	ds_bpermute_b32 v5, v14, v3
	;; [unrolled: 1-line block ×4, first 2 shown]
	v_cmp_eq_u32_e64 s[0:1], 0, v13
	s_and_saveexec_b64 s[2:3], s[0:1]
	s_cbranch_execz .LBB95_8
; %bb.7:
	v_lshrrev_b32_e32 v13, 2, v0
	v_and_b32_e32 v13, 0xf0, v13
	s_waitcnt lgkmcnt(0)
	v_add_f64 v[6:7], v[6:7], v[8:9]
	v_add_f64 v[4:5], v[2:3], v[4:5]
	ds_write_b128 v13, v[4:7]
.LBB95_8:
	s_or_b64 exec, exec, s[2:3]
	s_waitcnt lgkmcnt(2)
	v_pk_mov_b32 v[4:5], 0, 0
	v_cmp_gt_u32_e64 s[0:1], 16, v0
	v_pk_mov_b32 v[2:3], v[4:5], v[4:5] op_sel:[0,1]
	s_waitcnt lgkmcnt(0)
	s_barrier
	s_and_saveexec_b64 s[2:3], s[0:1]
	s_cbranch_execnz .LBB95_12
; %bb.9:
	s_or_b64 exec, exec, s[2:3]
	s_and_saveexec_b64 s[0:1], vcc
	s_cbranch_execnz .LBB95_13
.LBB95_10:
	s_or_b64 exec, exec, s[0:1]
	v_cmp_eq_u32_e32 vcc, 0, v0
	s_and_saveexec_b64 s[0:1], vcc
	s_cbranch_execnz .LBB95_14
.LBB95_11:
	s_endpgm
.LBB95_12:
	ds_read_b128 v[2:5], v1
	s_or_b64 exec, exec, s[2:3]
	s_and_saveexec_b64 s[0:1], vcc
	s_cbranch_execz .LBB95_10
.LBB95_13:
	s_waitcnt lgkmcnt(0)
	ds_bpermute_b32 v6, v10, v2
	ds_bpermute_b32 v7, v10, v3
	;; [unrolled: 1-line block ×4, first 2 shown]
	s_waitcnt lgkmcnt(2)
	v_add_f64 v[2:3], v[2:3], v[6:7]
	ds_bpermute_b32 v6, v11, v2
	s_waitcnt lgkmcnt(1)
	v_add_f64 v[4:5], v[4:5], v[8:9]
	ds_bpermute_b32 v7, v11, v3
	ds_bpermute_b32 v8, v11, v4
	ds_bpermute_b32 v9, v11, v5
	s_waitcnt lgkmcnt(2)
	v_add_f64 v[2:3], v[2:3], v[6:7]
	ds_bpermute_b32 v6, v12, v2
	s_waitcnt lgkmcnt(1)
	v_add_f64 v[4:5], v[4:5], v[8:9]
	ds_bpermute_b32 v7, v12, v3
	ds_bpermute_b32 v8, v12, v4
	ds_bpermute_b32 v9, v12, v5
	;; [unrolled: 8-line block ×3, first 2 shown]
	s_waitcnt lgkmcnt(2)
	v_add_f64 v[2:3], v[2:3], v[6:7]
	s_waitcnt lgkmcnt(0)
	v_add_f64 v[4:5], v[4:5], v[8:9]
	s_or_b64 exec, exec, s[0:1]
	v_cmp_eq_u32_e32 vcc, 0, v0
	s_and_saveexec_b64 s[0:1], vcc
	s_cbranch_execz .LBB95_11
.LBB95_14:
	s_lshl_b64 s[0:1], s[6:7], 4
	s_add_u32 s0, s8, s0
	s_addc_u32 s1, s9, s1
	v_mov_b32_e32 v0, 0
	s_waitcnt lgkmcnt(0)
	global_store_dwordx4 v0, v[2:5], s[0:1]
	s_endpgm
	.section	.rodata,"a",@progbits
	.p2align	6, 0x0
	.amdhsa_kernel _ZL18rocblas_dot_kernelIiLb1ELi1024ELi32ELb0E19rocblas_complex_numIdEPKS1_S1_EviT5_lT_lS4_lS5_liPT6_PT4_
		.amdhsa_group_segment_fixed_size 1024
		.amdhsa_private_segment_fixed_size 0
		.amdhsa_kernarg_size 352
		.amdhsa_user_sgpr_count 6
		.amdhsa_user_sgpr_private_segment_buffer 1
		.amdhsa_user_sgpr_dispatch_ptr 0
		.amdhsa_user_sgpr_queue_ptr 0
		.amdhsa_user_sgpr_kernarg_segment_ptr 1
		.amdhsa_user_sgpr_dispatch_id 0
		.amdhsa_user_sgpr_flat_scratch_init 0
		.amdhsa_user_sgpr_kernarg_preload_length 0
		.amdhsa_user_sgpr_kernarg_preload_offset 0
		.amdhsa_user_sgpr_private_segment_size 0
		.amdhsa_uses_dynamic_stack 0
		.amdhsa_system_sgpr_private_segment_wavefront_offset 0
		.amdhsa_system_sgpr_workgroup_id_x 1
		.amdhsa_system_sgpr_workgroup_id_y 0
		.amdhsa_system_sgpr_workgroup_id_z 1
		.amdhsa_system_sgpr_workgroup_info 0
		.amdhsa_system_vgpr_workitem_id 0
		.amdhsa_next_free_vgpr 22
		.amdhsa_next_free_sgpr 24
		.amdhsa_accum_offset 24
		.amdhsa_reserve_vcc 1
		.amdhsa_reserve_flat_scratch 0
		.amdhsa_float_round_mode_32 0
		.amdhsa_float_round_mode_16_64 0
		.amdhsa_float_denorm_mode_32 3
		.amdhsa_float_denorm_mode_16_64 3
		.amdhsa_dx10_clamp 1
		.amdhsa_ieee_mode 1
		.amdhsa_fp16_overflow 0
		.amdhsa_tg_split 0
		.amdhsa_exception_fp_ieee_invalid_op 0
		.amdhsa_exception_fp_denorm_src 0
		.amdhsa_exception_fp_ieee_div_zero 0
		.amdhsa_exception_fp_ieee_overflow 0
		.amdhsa_exception_fp_ieee_underflow 0
		.amdhsa_exception_fp_ieee_inexact 0
		.amdhsa_exception_int_div_zero 0
	.end_amdhsa_kernel
	.section	.text._ZL18rocblas_dot_kernelIiLb1ELi1024ELi32ELb0E19rocblas_complex_numIdEPKS1_S1_EviT5_lT_lS4_lS5_liPT6_PT4_,"axG",@progbits,_ZL18rocblas_dot_kernelIiLb1ELi1024ELi32ELb0E19rocblas_complex_numIdEPKS1_S1_EviT5_lT_lS4_lS5_liPT6_PT4_,comdat
.Lfunc_end95:
	.size	_ZL18rocblas_dot_kernelIiLb1ELi1024ELi32ELb0E19rocblas_complex_numIdEPKS1_S1_EviT5_lT_lS4_lS5_liPT6_PT4_, .Lfunc_end95-_ZL18rocblas_dot_kernelIiLb1ELi1024ELi32ELb0E19rocblas_complex_numIdEPKS1_S1_EviT5_lT_lS4_lS5_liPT6_PT4_
                                        ; -- End function
	.section	.AMDGPU.csdata,"",@progbits
; Kernel info:
; codeLenInByte = 1448
; NumSgprs: 28
; NumVgprs: 22
; NumAgprs: 0
; TotalNumVgprs: 22
; ScratchSize: 0
; MemoryBound: 0
; FloatMode: 240
; IeeeMode: 1
; LDSByteSize: 1024 bytes/workgroup (compile time only)
; SGPRBlocks: 3
; VGPRBlocks: 2
; NumSGPRsForWavesPerEU: 28
; NumVGPRsForWavesPerEU: 22
; AccumOffset: 24
; Occupancy: 8
; WaveLimiterHint : 0
; COMPUTE_PGM_RSRC2:SCRATCH_EN: 0
; COMPUTE_PGM_RSRC2:USER_SGPR: 6
; COMPUTE_PGM_RSRC2:TRAP_HANDLER: 0
; COMPUTE_PGM_RSRC2:TGID_X_EN: 1
; COMPUTE_PGM_RSRC2:TGID_Y_EN: 0
; COMPUTE_PGM_RSRC2:TGID_Z_EN: 1
; COMPUTE_PGM_RSRC2:TIDIG_COMP_CNT: 0
; COMPUTE_PGM_RSRC3_GFX90A:ACCUM_OFFSET: 5
; COMPUTE_PGM_RSRC3_GFX90A:TG_SPLIT: 0
	.section	.text._ZL24rocblas_dot_kernel_magsqIiLb1ELi1024ELi32ELb0E19rocblas_complex_numIdEPKS1_S1_EviT5_lT_liPT6_PT4_,"axG",@progbits,_ZL24rocblas_dot_kernel_magsqIiLb1ELi1024ELi32ELb0E19rocblas_complex_numIdEPKS1_S1_EviT5_lT_liPT6_PT4_,comdat
	.globl	_ZL24rocblas_dot_kernel_magsqIiLb1ELi1024ELi32ELb0E19rocblas_complex_numIdEPKS1_S1_EviT5_lT_liPT6_PT4_ ; -- Begin function _ZL24rocblas_dot_kernel_magsqIiLb1ELi1024ELi32ELb0E19rocblas_complex_numIdEPKS1_S1_EviT5_lT_liPT6_PT4_
	.p2align	8
	.type	_ZL24rocblas_dot_kernel_magsqIiLb1ELi1024ELi32ELb0E19rocblas_complex_numIdEPKS1_S1_EviT5_lT_liPT6_PT4_,@function
_ZL24rocblas_dot_kernel_magsqIiLb1ELi1024ELi32ELb0E19rocblas_complex_numIdEPKS1_S1_EviT5_lT_liPT6_PT4_: ; @_ZL24rocblas_dot_kernel_magsqIiLb1ELi1024ELi32ELb0E19rocblas_complex_numIdEPKS1_S1_EviT5_lT_liPT6_PT4_
; %bb.0:
	s_mov_b32 s2, s7
	s_load_dword s12, s[4:5], 0x0
	s_load_dwordx2 s[6:7], s[4:5], 0x38
	v_pk_mov_b32 v[2:3], 0, 0
	s_mov_b32 s3, 0
	v_pk_mov_b32 v[4:5], v[2:3], v[2:3] op_sel:[0,1]
	s_waitcnt lgkmcnt(0)
	v_cmp_gt_i32_e32 vcc, s12, v0
	s_and_saveexec_b64 s[8:9], vcc
	s_cbranch_execz .LBB96_4
; %bb.1:
	s_load_dword s10, s[4:5], 0x40
	s_load_dwordx2 s[0:1], s[4:5], 0x20
	s_load_dwordx4 s[16:19], s[4:5], 0x8
	s_load_dword s11, s[4:5], 0x18
	s_waitcnt lgkmcnt(0)
	s_lshl_b32 s13, s10, 10
	s_mul_i32 s1, s1, s2
	s_mul_hi_u32 s4, s0, s2
	s_add_i32 s1, s4, s1
	s_mul_i32 s0, s0, s2
	v_mad_i64_i32 v[2:3], s[4:5], s11, v0, 0
	s_lshl_b64 s[0:1], s[0:1], 4
	s_lshl_b64 s[4:5], s[18:19], 4
	s_add_u32 s4, s16, s4
	s_addc_u32 s5, s17, s5
	s_add_u32 s0, s4, s0
	v_lshlrev_b64 v[2:3], 4, v[2:3]
	s_addc_u32 s1, s5, s1
	v_mov_b32_e32 v4, s1
	v_add_co_u32_e32 v6, vcc, s0, v2
	s_mul_hi_i32 s1, s11, s13
	s_mul_i32 s0, s11, s13
	v_addc_co_u32_e32 v7, vcc, v4, v3, vcc
	s_lshl_b64 s[10:11], s[0:1], 4
	v_pk_mov_b32 v[2:3], 0, 0
	v_or_b32_e32 v1, s13, v0
	s_mov_b64 s[4:5], 0
	v_mov_b32_e32 v8, s11
	s_mov_b32 s11, s3
	v_pk_mov_b32 v[4:5], v[2:3], v[2:3] op_sel:[0,1]
.LBB96_2:                               ; =>This Inner Loop Header: Depth=1
	global_load_dwordx4 v[10:13], v[6:7], off
	s_add_i32 s14, s11, 1
	v_add_co_u32_e64 v6, s[0:1], s10, v6
	v_addc_co_u32_e64 v7, s[0:1], v7, v8, s[0:1]
	s_cmp_gt_u32 s11, 30
	v_cmp_le_i32_e32 vcc, s12, v1
	s_cselect_b64 s[0:1], -1, 0
	s_or_b64 s[0:1], s[0:1], vcc
	s_and_b64 s[0:1], exec, s[0:1]
	v_add_u32_e32 v1, s13, v1
	s_mov_b32 s11, s14
	s_or_b64 s[4:5], s[0:1], s[4:5]
	s_waitcnt vmcnt(0)
	v_mul_f64 v[14:15], v[12:13], v[12:13]
	v_mul_f64 v[12:13], v[10:11], v[12:13]
	v_fma_f64 v[10:11], v[10:11], v[10:11], -v[14:15]
	v_fmac_f64_e32 v[2:3], 2.0, v[12:13]
	v_add_f64 v[4:5], v[4:5], v[10:11]
	s_andn2_b64 exec, exec, s[4:5]
	s_cbranch_execnz .LBB96_2
; %bb.3:
	s_or_b64 exec, exec, s[4:5]
.LBB96_4:
	s_or_b64 exec, exec, s[8:9]
	v_and_b32_e32 v13, 63, v0
	v_cmp_gt_u32_e32 vcc, 64, v0
	v_lshlrev_b32_e32 v1, 4, v13
	s_and_saveexec_b64 s[0:1], vcc
	s_cbranch_execz .LBB96_6
; %bb.5:
	v_mov_b32_e32 v6, 0
	v_mov_b32_e32 v7, v6
	;; [unrolled: 1-line block ×4, first 2 shown]
	ds_write_b128 v1, v[6:9]
.LBB96_6:
	s_or_b64 exec, exec, s[0:1]
	v_mbcnt_lo_u32_b32 v6, -1, 0
	v_mbcnt_hi_u32_b32 v14, -1, v6
	v_and_b32_e32 v15, 63, v14
	v_cmp_gt_u32_e64 s[0:1], 32, v15
	v_cndmask_b32_e64 v6, 0, 1, s[0:1]
	v_lshlrev_b32_e32 v6, 5, v6
	v_add_lshl_u32 v9, v6, v14, 2
	ds_bpermute_b32 v6, v9, v4
	ds_bpermute_b32 v7, v9, v5
	;; [unrolled: 1-line block ×4, first 2 shown]
	v_cmp_gt_u32_e64 s[0:1], 48, v15
	s_waitcnt lgkmcnt(0)
	v_add_f64 v[4:5], v[4:5], v[6:7]
	v_cndmask_b32_e64 v6, 0, 1, s[0:1]
	v_lshlrev_b32_e32 v6, 4, v6
	v_add_f64 v[2:3], v[2:3], v[8:9]
	v_add_lshl_u32 v9, v6, v14, 2
	ds_bpermute_b32 v6, v9, v4
	ds_bpermute_b32 v7, v9, v5
	ds_bpermute_b32 v8, v9, v2
	ds_bpermute_b32 v9, v9, v3
	v_cmp_gt_u32_e64 s[0:1], 56, v15
	s_barrier
	s_waitcnt lgkmcnt(2)
	v_add_f64 v[4:5], v[4:5], v[6:7]
	v_cndmask_b32_e64 v6, 0, 1, s[0:1]
	v_lshlrev_b32_e32 v6, 3, v6
	v_add_lshl_u32 v10, v6, v14, 2
	ds_bpermute_b32 v6, v10, v4
	ds_bpermute_b32 v7, v10, v5
	s_waitcnt lgkmcnt(2)
	v_add_f64 v[2:3], v[2:3], v[8:9]
	ds_bpermute_b32 v8, v10, v2
	ds_bpermute_b32 v9, v10, v3
	v_cmp_gt_u32_e64 s[0:1], 60, v15
	s_waitcnt lgkmcnt(2)
	v_add_f64 v[4:5], v[4:5], v[6:7]
	v_cndmask_b32_e64 v6, 0, 1, s[0:1]
	v_lshlrev_b32_e32 v6, 2, v6
	s_waitcnt lgkmcnt(0)
	v_add_f64 v[2:3], v[2:3], v[8:9]
	v_add_lshl_u32 v11, v6, v14, 2
	ds_bpermute_b32 v6, v11, v4
	ds_bpermute_b32 v7, v11, v5
	;; [unrolled: 1-line block ×4, first 2 shown]
	v_cmp_gt_u32_e64 s[0:1], 62, v15
	s_waitcnt lgkmcnt(0)
	v_add_f64 v[4:5], v[4:5], v[6:7]
	v_add_f64 v[6:7], v[2:3], v[8:9]
	v_cndmask_b32_e64 v2, 0, 1, s[0:1]
	v_lshlrev_b32_e32 v2, 1, v2
	v_add_lshl_u32 v12, v2, v14, 2
	ds_bpermute_b32 v2, v12, v4
	ds_bpermute_b32 v3, v12, v5
	;; [unrolled: 1-line block ×4, first 2 shown]
	v_cmp_ne_u32_e64 s[0:1], 63, v15
	s_waitcnt lgkmcnt(2)
	v_add_f64 v[2:3], v[4:5], v[2:3]
	v_addc_co_u32_e64 v4, s[0:1], 0, v14, s[0:1]
	s_waitcnt lgkmcnt(0)
	v_add_f64 v[6:7], v[6:7], v[8:9]
	v_lshlrev_b32_e32 v14, 2, v4
	ds_bpermute_b32 v4, v14, v2
	ds_bpermute_b32 v5, v14, v3
	ds_bpermute_b32 v8, v14, v6
	ds_bpermute_b32 v9, v14, v7
	v_cmp_eq_u32_e64 s[0:1], 0, v13
	s_and_saveexec_b64 s[4:5], s[0:1]
	s_cbranch_execz .LBB96_8
; %bb.7:
	v_lshrrev_b32_e32 v13, 2, v0
	v_and_b32_e32 v13, 0xf0, v13
	s_waitcnt lgkmcnt(0)
	v_add_f64 v[6:7], v[6:7], v[8:9]
	v_add_f64 v[4:5], v[2:3], v[4:5]
	ds_write_b128 v13, v[4:7]
.LBB96_8:
	s_or_b64 exec, exec, s[4:5]
	s_waitcnt lgkmcnt(2)
	v_pk_mov_b32 v[4:5], 0, 0
	v_cmp_gt_u32_e64 s[0:1], 16, v0
	v_pk_mov_b32 v[2:3], v[4:5], v[4:5] op_sel:[0,1]
	s_waitcnt lgkmcnt(0)
	s_barrier
	s_and_saveexec_b64 s[4:5], s[0:1]
	s_cbranch_execnz .LBB96_12
; %bb.9:
	s_or_b64 exec, exec, s[4:5]
	s_and_saveexec_b64 s[0:1], vcc
	s_cbranch_execnz .LBB96_13
.LBB96_10:
	s_or_b64 exec, exec, s[0:1]
	v_cmp_eq_u32_e32 vcc, 0, v0
	s_and_saveexec_b64 s[0:1], vcc
	s_cbranch_execnz .LBB96_14
.LBB96_11:
	s_endpgm
.LBB96_12:
	ds_read_b128 v[2:5], v1
	s_or_b64 exec, exec, s[4:5]
	s_and_saveexec_b64 s[0:1], vcc
	s_cbranch_execz .LBB96_10
.LBB96_13:
	s_waitcnt lgkmcnt(0)
	ds_bpermute_b32 v6, v10, v2
	ds_bpermute_b32 v7, v10, v3
	;; [unrolled: 1-line block ×4, first 2 shown]
	s_waitcnt lgkmcnt(2)
	v_add_f64 v[2:3], v[2:3], v[6:7]
	ds_bpermute_b32 v6, v11, v2
	s_waitcnt lgkmcnt(1)
	v_add_f64 v[4:5], v[4:5], v[8:9]
	ds_bpermute_b32 v7, v11, v3
	ds_bpermute_b32 v8, v11, v4
	ds_bpermute_b32 v9, v11, v5
	s_waitcnt lgkmcnt(2)
	v_add_f64 v[2:3], v[2:3], v[6:7]
	ds_bpermute_b32 v6, v12, v2
	s_waitcnt lgkmcnt(1)
	v_add_f64 v[4:5], v[4:5], v[8:9]
	ds_bpermute_b32 v7, v12, v3
	ds_bpermute_b32 v8, v12, v4
	ds_bpermute_b32 v9, v12, v5
	;; [unrolled: 8-line block ×3, first 2 shown]
	s_waitcnt lgkmcnt(2)
	v_add_f64 v[2:3], v[2:3], v[6:7]
	s_waitcnt lgkmcnt(0)
	v_add_f64 v[4:5], v[4:5], v[8:9]
	s_or_b64 exec, exec, s[0:1]
	v_cmp_eq_u32_e32 vcc, 0, v0
	s_and_saveexec_b64 s[0:1], vcc
	s_cbranch_execz .LBB96_11
.LBB96_14:
	s_lshl_b64 s[0:1], s[2:3], 4
	s_add_u32 s0, s6, s0
	s_addc_u32 s1, s7, s1
	v_mov_b32_e32 v0, 0
	s_waitcnt lgkmcnt(0)
	global_store_dwordx4 v0, v[2:5], s[0:1]
	s_endpgm
	.section	.rodata,"a",@progbits
	.p2align	6, 0x0
	.amdhsa_kernel _ZL24rocblas_dot_kernel_magsqIiLb1ELi1024ELi32ELb0E19rocblas_complex_numIdEPKS1_S1_EviT5_lT_liPT6_PT4_
		.amdhsa_group_segment_fixed_size 1024
		.amdhsa_private_segment_fixed_size 0
		.amdhsa_kernarg_size 320
		.amdhsa_user_sgpr_count 6
		.amdhsa_user_sgpr_private_segment_buffer 1
		.amdhsa_user_sgpr_dispatch_ptr 0
		.amdhsa_user_sgpr_queue_ptr 0
		.amdhsa_user_sgpr_kernarg_segment_ptr 1
		.amdhsa_user_sgpr_dispatch_id 0
		.amdhsa_user_sgpr_flat_scratch_init 0
		.amdhsa_user_sgpr_kernarg_preload_length 0
		.amdhsa_user_sgpr_kernarg_preload_offset 0
		.amdhsa_user_sgpr_private_segment_size 0
		.amdhsa_uses_dynamic_stack 0
		.amdhsa_system_sgpr_private_segment_wavefront_offset 0
		.amdhsa_system_sgpr_workgroup_id_x 1
		.amdhsa_system_sgpr_workgroup_id_y 0
		.amdhsa_system_sgpr_workgroup_id_z 1
		.amdhsa_system_sgpr_workgroup_info 0
		.amdhsa_system_vgpr_workitem_id 0
		.amdhsa_next_free_vgpr 16
		.amdhsa_next_free_sgpr 20
		.amdhsa_accum_offset 16
		.amdhsa_reserve_vcc 1
		.amdhsa_reserve_flat_scratch 0
		.amdhsa_float_round_mode_32 0
		.amdhsa_float_round_mode_16_64 0
		.amdhsa_float_denorm_mode_32 3
		.amdhsa_float_denorm_mode_16_64 3
		.amdhsa_dx10_clamp 1
		.amdhsa_ieee_mode 1
		.amdhsa_fp16_overflow 0
		.amdhsa_tg_split 0
		.amdhsa_exception_fp_ieee_invalid_op 0
		.amdhsa_exception_fp_denorm_src 0
		.amdhsa_exception_fp_ieee_div_zero 0
		.amdhsa_exception_fp_ieee_overflow 0
		.amdhsa_exception_fp_ieee_underflow 0
		.amdhsa_exception_fp_ieee_inexact 0
		.amdhsa_exception_int_div_zero 0
	.end_amdhsa_kernel
	.section	.text._ZL24rocblas_dot_kernel_magsqIiLb1ELi1024ELi32ELb0E19rocblas_complex_numIdEPKS1_S1_EviT5_lT_liPT6_PT4_,"axG",@progbits,_ZL24rocblas_dot_kernel_magsqIiLb1ELi1024ELi32ELb0E19rocblas_complex_numIdEPKS1_S1_EviT5_lT_liPT6_PT4_,comdat
.Lfunc_end96:
	.size	_ZL24rocblas_dot_kernel_magsqIiLb1ELi1024ELi32ELb0E19rocblas_complex_numIdEPKS1_S1_EviT5_lT_liPT6_PT4_, .Lfunc_end96-_ZL24rocblas_dot_kernel_magsqIiLb1ELi1024ELi32ELb0E19rocblas_complex_numIdEPKS1_S1_EviT5_lT_liPT6_PT4_
                                        ; -- End function
	.section	.AMDGPU.csdata,"",@progbits
; Kernel info:
; codeLenInByte = 1292
; NumSgprs: 24
; NumVgprs: 16
; NumAgprs: 0
; TotalNumVgprs: 16
; ScratchSize: 0
; MemoryBound: 0
; FloatMode: 240
; IeeeMode: 1
; LDSByteSize: 1024 bytes/workgroup (compile time only)
; SGPRBlocks: 2
; VGPRBlocks: 1
; NumSGPRsForWavesPerEU: 24
; NumVGPRsForWavesPerEU: 16
; AccumOffset: 16
; Occupancy: 8
; WaveLimiterHint : 0
; COMPUTE_PGM_RSRC2:SCRATCH_EN: 0
; COMPUTE_PGM_RSRC2:USER_SGPR: 6
; COMPUTE_PGM_RSRC2:TRAP_HANDLER: 0
; COMPUTE_PGM_RSRC2:TGID_X_EN: 1
; COMPUTE_PGM_RSRC2:TGID_Y_EN: 0
; COMPUTE_PGM_RSRC2:TGID_Z_EN: 1
; COMPUTE_PGM_RSRC2:TIDIG_COMP_CNT: 0
; COMPUTE_PGM_RSRC3_GFX90A:ACCUM_OFFSET: 3
; COMPUTE_PGM_RSRC3_GFX90A:TG_SPLIT: 0
	.section	.text._ZL38rocblas_dot_kernel_gfx942_float_doubleIiLi1024E19rocblas_complex_numIdEPKS1_S1_EviT2_lT_lS4_lS5_lPT3_PT1_,"axG",@progbits,_ZL38rocblas_dot_kernel_gfx942_float_doubleIiLi1024E19rocblas_complex_numIdEPKS1_S1_EviT2_lT_lS4_lS5_lPT3_PT1_,comdat
	.globl	_ZL38rocblas_dot_kernel_gfx942_float_doubleIiLi1024E19rocblas_complex_numIdEPKS1_S1_EviT2_lT_lS4_lS5_lPT3_PT1_ ; -- Begin function _ZL38rocblas_dot_kernel_gfx942_float_doubleIiLi1024E19rocblas_complex_numIdEPKS1_S1_EviT2_lT_lS4_lS5_lPT3_PT1_
	.p2align	8
	.type	_ZL38rocblas_dot_kernel_gfx942_float_doubleIiLi1024E19rocblas_complex_numIdEPKS1_S1_EviT2_lT_lS4_lS5_lPT3_PT1_,@function
_ZL38rocblas_dot_kernel_gfx942_float_doubleIiLi1024E19rocblas_complex_numIdEPKS1_S1_EviT2_lT_lS4_lS5_lPT3_PT1_: ; @_ZL38rocblas_dot_kernel_gfx942_float_doubleIiLi1024E19rocblas_complex_numIdEPKS1_S1_EviT2_lT_lS4_lS5_lPT3_PT1_
; %bb.0:
	s_endpgm
	.section	.rodata,"a",@progbits
	.p2align	6, 0x0
	.amdhsa_kernel _ZL38rocblas_dot_kernel_gfx942_float_doubleIiLi1024E19rocblas_complex_numIdEPKS1_S1_EviT2_lT_lS4_lS5_lPT3_PT1_
		.amdhsa_group_segment_fixed_size 0
		.amdhsa_private_segment_fixed_size 0
		.amdhsa_kernarg_size 88
		.amdhsa_user_sgpr_count 6
		.amdhsa_user_sgpr_private_segment_buffer 1
		.amdhsa_user_sgpr_dispatch_ptr 0
		.amdhsa_user_sgpr_queue_ptr 0
		.amdhsa_user_sgpr_kernarg_segment_ptr 1
		.amdhsa_user_sgpr_dispatch_id 0
		.amdhsa_user_sgpr_flat_scratch_init 0
		.amdhsa_user_sgpr_kernarg_preload_length 0
		.amdhsa_user_sgpr_kernarg_preload_offset 0
		.amdhsa_user_sgpr_private_segment_size 0
		.amdhsa_uses_dynamic_stack 0
		.amdhsa_system_sgpr_private_segment_wavefront_offset 0
		.amdhsa_system_sgpr_workgroup_id_x 1
		.amdhsa_system_sgpr_workgroup_id_y 0
		.amdhsa_system_sgpr_workgroup_id_z 0
		.amdhsa_system_sgpr_workgroup_info 0
		.amdhsa_system_vgpr_workitem_id 0
		.amdhsa_next_free_vgpr 1
		.amdhsa_next_free_sgpr 0
		.amdhsa_accum_offset 4
		.amdhsa_reserve_vcc 0
		.amdhsa_reserve_flat_scratch 0
		.amdhsa_float_round_mode_32 0
		.amdhsa_float_round_mode_16_64 0
		.amdhsa_float_denorm_mode_32 3
		.amdhsa_float_denorm_mode_16_64 3
		.amdhsa_dx10_clamp 1
		.amdhsa_ieee_mode 1
		.amdhsa_fp16_overflow 0
		.amdhsa_tg_split 0
		.amdhsa_exception_fp_ieee_invalid_op 0
		.amdhsa_exception_fp_denorm_src 0
		.amdhsa_exception_fp_ieee_div_zero 0
		.amdhsa_exception_fp_ieee_overflow 0
		.amdhsa_exception_fp_ieee_underflow 0
		.amdhsa_exception_fp_ieee_inexact 0
		.amdhsa_exception_int_div_zero 0
	.end_amdhsa_kernel
	.section	.text._ZL38rocblas_dot_kernel_gfx942_float_doubleIiLi1024E19rocblas_complex_numIdEPKS1_S1_EviT2_lT_lS4_lS5_lPT3_PT1_,"axG",@progbits,_ZL38rocblas_dot_kernel_gfx942_float_doubleIiLi1024E19rocblas_complex_numIdEPKS1_S1_EviT2_lT_lS4_lS5_lPT3_PT1_,comdat
.Lfunc_end97:
	.size	_ZL38rocblas_dot_kernel_gfx942_float_doubleIiLi1024E19rocblas_complex_numIdEPKS1_S1_EviT2_lT_lS4_lS5_lPT3_PT1_, .Lfunc_end97-_ZL38rocblas_dot_kernel_gfx942_float_doubleIiLi1024E19rocblas_complex_numIdEPKS1_S1_EviT2_lT_lS4_lS5_lPT3_PT1_
                                        ; -- End function
	.section	.AMDGPU.csdata,"",@progbits
; Kernel info:
; codeLenInByte = 4
; NumSgprs: 4
; NumVgprs: 0
; NumAgprs: 0
; TotalNumVgprs: 0
; ScratchSize: 0
; MemoryBound: 0
; FloatMode: 240
; IeeeMode: 1
; LDSByteSize: 0 bytes/workgroup (compile time only)
; SGPRBlocks: 0
; VGPRBlocks: 0
; NumSGPRsForWavesPerEU: 4
; NumVGPRsForWavesPerEU: 1
; AccumOffset: 4
; Occupancy: 8
; WaveLimiterHint : 0
; COMPUTE_PGM_RSRC2:SCRATCH_EN: 0
; COMPUTE_PGM_RSRC2:USER_SGPR: 6
; COMPUTE_PGM_RSRC2:TRAP_HANDLER: 0
; COMPUTE_PGM_RSRC2:TGID_X_EN: 1
; COMPUTE_PGM_RSRC2:TGID_Y_EN: 0
; COMPUTE_PGM_RSRC2:TGID_Z_EN: 0
; COMPUTE_PGM_RSRC2:TIDIG_COMP_CNT: 0
; COMPUTE_PGM_RSRC3_GFX90A:ACCUM_OFFSET: 0
; COMPUTE_PGM_RSRC3_GFX90A:TG_SPLIT: 0
	.section	.text._ZL30rocblas_reduction_kernel_part2ILi1024ELi4E25rocblas_finalize_identity19rocblas_complex_numIdES2_EviPT2_PT3_,"axG",@progbits,_ZL30rocblas_reduction_kernel_part2ILi1024ELi4E25rocblas_finalize_identity19rocblas_complex_numIdES2_EviPT2_PT3_,comdat
	.globl	_ZL30rocblas_reduction_kernel_part2ILi1024ELi4E25rocblas_finalize_identity19rocblas_complex_numIdES2_EviPT2_PT3_ ; -- Begin function _ZL30rocblas_reduction_kernel_part2ILi1024ELi4E25rocblas_finalize_identity19rocblas_complex_numIdES2_EviPT2_PT3_
	.p2align	8
	.type	_ZL30rocblas_reduction_kernel_part2ILi1024ELi4E25rocblas_finalize_identity19rocblas_complex_numIdES2_EviPT2_PT3_,@function
_ZL30rocblas_reduction_kernel_part2ILi1024ELi4E25rocblas_finalize_identity19rocblas_complex_numIdES2_EviPT2_PT3_: ; @_ZL30rocblas_reduction_kernel_part2ILi1024ELi4E25rocblas_finalize_identity19rocblas_complex_numIdES2_EviPT2_PT3_
; %bb.0:
	s_load_dword s12, s[4:5], 0x0
	s_load_dwordx4 s[0:3], s[4:5], 0x8
	v_lshlrev_b32_e32 v1, 2, v0
	v_pk_mov_b32 v[2:3], 0, 0
	s_mov_b32 s7, 0
	s_waitcnt lgkmcnt(0)
	s_ashr_i32 s8, s12, 31
	s_mul_i32 s5, s8, s6
	s_lshr_b32 s8, s8, 30
	s_add_i32 s8, s12, s8
	s_mul_hi_u32 s4, s12, s6
	s_and_b32 s13, s8, -4
	s_add_i32 s5, s4, s5
	s_mul_i32 s4, s12, s6
	v_cmp_gt_i32_e32 vcc, s13, v1
	v_pk_mov_b32 v[4:5], v[2:3], v[2:3] op_sel:[0,1]
	s_and_saveexec_b64 s[8:9], vcc
	s_cbranch_execz .LBB98_4
; %bb.1:
	s_lshl_b64 s[10:11], s[4:5], 4
	s_add_u32 s10, s0, s10
	v_lshlrev_b32_e32 v2, 6, v0
	s_addc_u32 s11, s1, s11
	v_mov_b32_e32 v3, s11
	v_add_co_u32_e32 v2, vcc, s10, v2
	v_addc_co_u32_e32 v3, vcc, 0, v3, vcc
	v_add_co_u32_e32 v6, vcc, 56, v2
	v_addc_co_u32_e32 v7, vcc, 0, v3, vcc
	v_pk_mov_b32 v[2:3], 0, 0
	s_mov_b64 s[10:11], 0
	v_pk_mov_b32 v[4:5], v[2:3], v[2:3] op_sel:[0,1]
.LBB98_2:                               ; =>This Inner Loop Header: Depth=1
	global_load_dwordx4 v[8:11], v[6:7], off offset:-56
	global_load_dwordx4 v[12:15], v[6:7], off offset:-40
	;; [unrolled: 1-line block ×4, first 2 shown]
	v_add_co_u32_e32 v6, vcc, 0x10000, v6
	v_add_u32_e32 v1, 0x1000, v1
	v_addc_co_u32_e32 v7, vcc, 0, v7, vcc
	v_cmp_le_i32_e32 vcc, s13, v1
	s_or_b64 s[10:11], vcc, s[10:11]
	s_waitcnt vmcnt(3)
	v_add_f64 v[4:5], v[4:5], v[8:9]
	v_add_f64 v[2:3], v[2:3], v[10:11]
	s_waitcnt vmcnt(2)
	v_add_f64 v[4:5], v[4:5], v[12:13]
	v_add_f64 v[2:3], v[2:3], v[14:15]
	;; [unrolled: 3-line block ×4, first 2 shown]
	s_andn2_b64 exec, exec, s[10:11]
	s_cbranch_execnz .LBB98_2
; %bb.3:
	s_or_b64 exec, exec, s[10:11]
.LBB98_4:
	s_or_b64 exec, exec, s[8:9]
	s_sub_i32 s8, s12, s13
	v_cmp_gt_u32_e32 vcc, s8, v0
	s_and_saveexec_b64 s[8:9], vcc
	s_cbranch_execz .LBB98_6
; %bb.5:
	s_lshl_b64 s[4:5], s[4:5], 4
	s_add_u32 s0, s0, s4
	v_xad_u32 v6, v0, -1, s12
	v_mov_b32_e32 v7, 0
	s_addc_u32 s1, s1, s5
	v_lshlrev_b64 v[6:7], 4, v[6:7]
	v_mov_b32_e32 v1, s1
	v_add_co_u32_e32 v6, vcc, s0, v6
	v_addc_co_u32_e32 v7, vcc, v1, v7, vcc
	global_load_dwordx4 v[6:9], v[6:7], off
	s_waitcnt vmcnt(0)
	v_add_f64 v[4:5], v[4:5], v[6:7]
	v_add_f64 v[2:3], v[2:3], v[8:9]
.LBB98_6:
	s_or_b64 exec, exec, s[8:9]
	v_and_b32_e32 v13, 63, v0
	v_cmp_gt_u32_e32 vcc, 64, v0
	v_lshlrev_b32_e32 v1, 4, v13
	s_and_saveexec_b64 s[0:1], vcc
	s_cbranch_execz .LBB98_8
; %bb.7:
	v_mov_b32_e32 v6, 0
	v_mov_b32_e32 v7, v6
	;; [unrolled: 1-line block ×4, first 2 shown]
	ds_write_b128 v1, v[6:9]
.LBB98_8:
	s_or_b64 exec, exec, s[0:1]
	v_mbcnt_lo_u32_b32 v6, -1, 0
	v_mbcnt_hi_u32_b32 v14, -1, v6
	v_and_b32_e32 v15, 63, v14
	v_cmp_gt_u32_e64 s[0:1], 32, v15
	v_cndmask_b32_e64 v6, 0, 1, s[0:1]
	v_lshlrev_b32_e32 v6, 5, v6
	v_add_lshl_u32 v9, v6, v14, 2
	ds_bpermute_b32 v6, v9, v4
	ds_bpermute_b32 v7, v9, v5
	;; [unrolled: 1-line block ×4, first 2 shown]
	v_cmp_gt_u32_e64 s[0:1], 48, v15
	s_waitcnt lgkmcnt(0)
	v_add_f64 v[4:5], v[4:5], v[6:7]
	v_cndmask_b32_e64 v6, 0, 1, s[0:1]
	v_lshlrev_b32_e32 v6, 4, v6
	v_add_f64 v[2:3], v[2:3], v[8:9]
	v_add_lshl_u32 v9, v6, v14, 2
	ds_bpermute_b32 v6, v9, v4
	ds_bpermute_b32 v7, v9, v5
	;; [unrolled: 1-line block ×4, first 2 shown]
	v_cmp_gt_u32_e64 s[0:1], 56, v15
	s_barrier
	s_waitcnt lgkmcnt(2)
	v_add_f64 v[4:5], v[4:5], v[6:7]
	v_cndmask_b32_e64 v6, 0, 1, s[0:1]
	v_lshlrev_b32_e32 v6, 3, v6
	v_add_lshl_u32 v10, v6, v14, 2
	ds_bpermute_b32 v6, v10, v4
	ds_bpermute_b32 v7, v10, v5
	s_waitcnt lgkmcnt(2)
	v_add_f64 v[2:3], v[2:3], v[8:9]
	ds_bpermute_b32 v8, v10, v2
	ds_bpermute_b32 v9, v10, v3
	v_cmp_gt_u32_e64 s[0:1], 60, v15
	s_waitcnt lgkmcnt(2)
	v_add_f64 v[4:5], v[4:5], v[6:7]
	v_cndmask_b32_e64 v6, 0, 1, s[0:1]
	v_lshlrev_b32_e32 v6, 2, v6
	s_waitcnt lgkmcnt(0)
	v_add_f64 v[2:3], v[2:3], v[8:9]
	v_add_lshl_u32 v11, v6, v14, 2
	ds_bpermute_b32 v6, v11, v4
	ds_bpermute_b32 v7, v11, v5
	;; [unrolled: 1-line block ×4, first 2 shown]
	v_cmp_gt_u32_e64 s[0:1], 62, v15
	s_waitcnt lgkmcnt(0)
	v_add_f64 v[4:5], v[4:5], v[6:7]
	v_add_f64 v[6:7], v[2:3], v[8:9]
	v_cndmask_b32_e64 v2, 0, 1, s[0:1]
	v_lshlrev_b32_e32 v2, 1, v2
	v_add_lshl_u32 v12, v2, v14, 2
	ds_bpermute_b32 v2, v12, v4
	ds_bpermute_b32 v3, v12, v5
	;; [unrolled: 1-line block ×4, first 2 shown]
	v_cmp_ne_u32_e64 s[0:1], 63, v15
	s_waitcnt lgkmcnt(2)
	v_add_f64 v[2:3], v[4:5], v[2:3]
	v_addc_co_u32_e64 v4, s[0:1], 0, v14, s[0:1]
	s_waitcnt lgkmcnt(0)
	v_add_f64 v[6:7], v[6:7], v[8:9]
	v_lshlrev_b32_e32 v14, 2, v4
	ds_bpermute_b32 v4, v14, v2
	ds_bpermute_b32 v5, v14, v3
	;; [unrolled: 1-line block ×4, first 2 shown]
	v_cmp_eq_u32_e64 s[0:1], 0, v13
	s_and_saveexec_b64 s[4:5], s[0:1]
	s_cbranch_execz .LBB98_10
; %bb.9:
	v_lshrrev_b32_e32 v13, 2, v0
	v_and_b32_e32 v13, 0xf0, v13
	s_waitcnt lgkmcnt(0)
	v_add_f64 v[6:7], v[6:7], v[8:9]
	v_add_f64 v[4:5], v[2:3], v[4:5]
	ds_write_b128 v13, v[4:7]
.LBB98_10:
	s_or_b64 exec, exec, s[4:5]
	s_waitcnt lgkmcnt(2)
	v_pk_mov_b32 v[4:5], 0, 0
	v_cmp_gt_u32_e64 s[0:1], 16, v0
	v_pk_mov_b32 v[2:3], v[4:5], v[4:5] op_sel:[0,1]
	s_waitcnt lgkmcnt(0)
	s_barrier
	s_and_saveexec_b64 s[4:5], s[0:1]
	s_cbranch_execnz .LBB98_14
; %bb.11:
	s_or_b64 exec, exec, s[4:5]
	s_and_saveexec_b64 s[0:1], vcc
	s_cbranch_execnz .LBB98_15
.LBB98_12:
	s_or_b64 exec, exec, s[0:1]
	v_cmp_eq_u32_e32 vcc, 0, v0
	s_and_saveexec_b64 s[0:1], vcc
	s_cbranch_execnz .LBB98_16
.LBB98_13:
	s_endpgm
.LBB98_14:
	ds_read_b128 v[2:5], v1
	s_or_b64 exec, exec, s[4:5]
	s_and_saveexec_b64 s[0:1], vcc
	s_cbranch_execz .LBB98_12
.LBB98_15:
	s_waitcnt lgkmcnt(0)
	ds_bpermute_b32 v6, v10, v2
	ds_bpermute_b32 v7, v10, v3
	;; [unrolled: 1-line block ×4, first 2 shown]
	s_waitcnt lgkmcnt(2)
	v_add_f64 v[2:3], v[2:3], v[6:7]
	ds_bpermute_b32 v6, v11, v2
	s_waitcnt lgkmcnt(1)
	v_add_f64 v[4:5], v[4:5], v[8:9]
	ds_bpermute_b32 v7, v11, v3
	ds_bpermute_b32 v8, v11, v4
	ds_bpermute_b32 v9, v11, v5
	s_waitcnt lgkmcnt(2)
	v_add_f64 v[2:3], v[2:3], v[6:7]
	ds_bpermute_b32 v6, v12, v2
	s_waitcnt lgkmcnt(1)
	v_add_f64 v[4:5], v[4:5], v[8:9]
	ds_bpermute_b32 v7, v12, v3
	ds_bpermute_b32 v8, v12, v4
	ds_bpermute_b32 v9, v12, v5
	;; [unrolled: 8-line block ×3, first 2 shown]
	s_waitcnt lgkmcnt(2)
	v_add_f64 v[2:3], v[2:3], v[6:7]
	s_waitcnt lgkmcnt(0)
	v_add_f64 v[4:5], v[4:5], v[8:9]
	s_or_b64 exec, exec, s[0:1]
	v_cmp_eq_u32_e32 vcc, 0, v0
	s_and_saveexec_b64 s[0:1], vcc
	s_cbranch_execz .LBB98_13
.LBB98_16:
	s_lshl_b64 s[0:1], s[6:7], 4
	s_add_u32 s0, s2, s0
	s_addc_u32 s1, s3, s1
	v_mov_b32_e32 v0, 0
	s_waitcnt lgkmcnt(0)
	global_store_dwordx4 v0, v[2:5], s[0:1]
	s_endpgm
	.section	.rodata,"a",@progbits
	.p2align	6, 0x0
	.amdhsa_kernel _ZL30rocblas_reduction_kernel_part2ILi1024ELi4E25rocblas_finalize_identity19rocblas_complex_numIdES2_EviPT2_PT3_
		.amdhsa_group_segment_fixed_size 1024
		.amdhsa_private_segment_fixed_size 0
		.amdhsa_kernarg_size 24
		.amdhsa_user_sgpr_count 6
		.amdhsa_user_sgpr_private_segment_buffer 1
		.amdhsa_user_sgpr_dispatch_ptr 0
		.amdhsa_user_sgpr_queue_ptr 0
		.amdhsa_user_sgpr_kernarg_segment_ptr 1
		.amdhsa_user_sgpr_dispatch_id 0
		.amdhsa_user_sgpr_flat_scratch_init 0
		.amdhsa_user_sgpr_kernarg_preload_length 0
		.amdhsa_user_sgpr_kernarg_preload_offset 0
		.amdhsa_user_sgpr_private_segment_size 0
		.amdhsa_uses_dynamic_stack 0
		.amdhsa_system_sgpr_private_segment_wavefront_offset 0
		.amdhsa_system_sgpr_workgroup_id_x 1
		.amdhsa_system_sgpr_workgroup_id_y 0
		.amdhsa_system_sgpr_workgroup_id_z 0
		.amdhsa_system_sgpr_workgroup_info 0
		.amdhsa_system_vgpr_workitem_id 0
		.amdhsa_next_free_vgpr 24
		.amdhsa_next_free_sgpr 14
		.amdhsa_accum_offset 24
		.amdhsa_reserve_vcc 1
		.amdhsa_reserve_flat_scratch 0
		.amdhsa_float_round_mode_32 0
		.amdhsa_float_round_mode_16_64 0
		.amdhsa_float_denorm_mode_32 3
		.amdhsa_float_denorm_mode_16_64 3
		.amdhsa_dx10_clamp 1
		.amdhsa_ieee_mode 1
		.amdhsa_fp16_overflow 0
		.amdhsa_tg_split 0
		.amdhsa_exception_fp_ieee_invalid_op 0
		.amdhsa_exception_fp_denorm_src 0
		.amdhsa_exception_fp_ieee_div_zero 0
		.amdhsa_exception_fp_ieee_overflow 0
		.amdhsa_exception_fp_ieee_underflow 0
		.amdhsa_exception_fp_ieee_inexact 0
		.amdhsa_exception_int_div_zero 0
	.end_amdhsa_kernel
	.section	.text._ZL30rocblas_reduction_kernel_part2ILi1024ELi4E25rocblas_finalize_identity19rocblas_complex_numIdES2_EviPT2_PT3_,"axG",@progbits,_ZL30rocblas_reduction_kernel_part2ILi1024ELi4E25rocblas_finalize_identity19rocblas_complex_numIdES2_EviPT2_PT3_,comdat
.Lfunc_end98:
	.size	_ZL30rocblas_reduction_kernel_part2ILi1024ELi4E25rocblas_finalize_identity19rocblas_complex_numIdES2_EviPT2_PT3_, .Lfunc_end98-_ZL30rocblas_reduction_kernel_part2ILi1024ELi4E25rocblas_finalize_identity19rocblas_complex_numIdES2_EviPT2_PT3_
                                        ; -- End function
	.section	.AMDGPU.csdata,"",@progbits
; Kernel info:
; codeLenInByte = 1360
; NumSgprs: 18
; NumVgprs: 24
; NumAgprs: 0
; TotalNumVgprs: 24
; ScratchSize: 0
; MemoryBound: 1
; FloatMode: 240
; IeeeMode: 1
; LDSByteSize: 1024 bytes/workgroup (compile time only)
; SGPRBlocks: 2
; VGPRBlocks: 2
; NumSGPRsForWavesPerEU: 18
; NumVGPRsForWavesPerEU: 24
; AccumOffset: 24
; Occupancy: 8
; WaveLimiterHint : 0
; COMPUTE_PGM_RSRC2:SCRATCH_EN: 0
; COMPUTE_PGM_RSRC2:USER_SGPR: 6
; COMPUTE_PGM_RSRC2:TRAP_HANDLER: 0
; COMPUTE_PGM_RSRC2:TGID_X_EN: 1
; COMPUTE_PGM_RSRC2:TGID_Y_EN: 0
; COMPUTE_PGM_RSRC2:TGID_Z_EN: 0
; COMPUTE_PGM_RSRC2:TIDIG_COMP_CNT: 0
; COMPUTE_PGM_RSRC3_GFX90A:ACCUM_OFFSET: 5
; COMPUTE_PGM_RSRC3_GFX90A:TG_SPLIT: 0
	.section	.text._ZL23rocblas_dot_kernel_inc1ILb0ELi512ELi2ELb0E19rocblas_complex_numIdEPKS1_S1_EviT4_llS4_lliPT5_PT3_,"axG",@progbits,_ZL23rocblas_dot_kernel_inc1ILb0ELi512ELi2ELb0E19rocblas_complex_numIdEPKS1_S1_EviT4_llS4_lliPT5_PT3_,comdat
	.globl	_ZL23rocblas_dot_kernel_inc1ILb0ELi512ELi2ELb0E19rocblas_complex_numIdEPKS1_S1_EviT4_llS4_lliPT5_PT3_ ; -- Begin function _ZL23rocblas_dot_kernel_inc1ILb0ELi512ELi2ELb0E19rocblas_complex_numIdEPKS1_S1_EviT4_llS4_lliPT5_PT3_
	.p2align	8
	.type	_ZL23rocblas_dot_kernel_inc1ILb0ELi512ELi2ELb0E19rocblas_complex_numIdEPKS1_S1_EviT4_llS4_lliPT5_PT3_,@function
_ZL23rocblas_dot_kernel_inc1ILb0ELi512ELi2ELb0E19rocblas_complex_numIdEPKS1_S1_EviT4_llS4_lliPT5_PT3_: ; @_ZL23rocblas_dot_kernel_inc1ILb0ELi512ELi2ELb0E19rocblas_complex_numIdEPKS1_S1_EviT4_llS4_lliPT5_PT3_
; %bb.0:
	s_mov_b32 s2, s7
	s_load_dword s7, s[4:5], 0x0
	s_load_dword s10, s[4:5], 0x50
	v_lshl_or_b32 v6, s6, 9, v0
	v_pk_mov_b32 v[4:5], 0, 0
	s_mov_b32 s3, 0
	s_waitcnt lgkmcnt(0)
	v_cmp_gt_i32_e32 vcc, s7, v6
	v_pk_mov_b32 v[2:3], v[4:5], v[4:5] op_sel:[0,1]
	s_and_saveexec_b64 s[0:1], vcc
	s_cbranch_execz .LBB99_4
; %bb.1:
	s_load_dwordx4 s[12:15], s[4:5], 0x10
	s_load_dwordx2 s[8:9], s[4:5], 0x8
	s_load_dwordx2 s[20:21], s[4:5], 0x20
	s_load_dwordx4 s[16:19], s[4:5], 0x28
	v_ashrrev_i32_e32 v7, 31, v6
	s_waitcnt lgkmcnt(0)
	s_mul_i32 s11, s2, s15
	s_mul_hi_u32 s15, s2, s14
	s_add_i32 s15, s15, s11
	s_mul_i32 s14, s2, s14
	s_lshl_b64 s[14:15], s[14:15], 4
	s_add_u32 s11, s8, s14
	s_addc_u32 s14, s9, s15
	s_lshl_b64 s[8:9], s[12:13], 4
	s_add_u32 s11, s11, s8
	s_addc_u32 s12, s14, s9
	s_mul_i32 s8, s2, s19
	s_mul_hi_u32 s9, s2, s18
	s_add_i32 s9, s9, s8
	s_mul_i32 s8, s2, s18
	s_lshl_b64 s[8:9], s[8:9], 4
	s_add_u32 s13, s20, s8
	s_addc_u32 s14, s21, s9
	s_lshl_b64 s[8:9], s[16:17], 4
	s_add_u32 s13, s13, s8
	s_addc_u32 s14, s14, s9
	v_lshlrev_b64 v[2:3], 4, v[6:7]
	v_mov_b32_e32 v1, s14
	v_add_co_u32_e32 v6, vcc, s13, v2
	v_addc_co_u32_e32 v7, vcc, v1, v3, vcc
	v_mov_b32_e32 v1, s12
	v_add_co_u32_e32 v12, vcc, s11, v2
	v_addc_co_u32_e32 v13, vcc, v1, v3, vcc
	global_load_dwordx4 v[2:5], v[12:13], off
	global_load_dwordx4 v[8:11], v[6:7], off
	s_add_i32 s8, s6, s10
	v_lshl_or_b32 v6, s8, 9, v0
	v_cmp_gt_i32_e32 vcc, s7, v6
	s_waitcnt vmcnt(0)
	v_mul_f64 v[12:13], v[10:11], v[4:5]
	v_mul_f64 v[14:15], v[8:9], v[4:5]
	v_fma_f64 v[4:5], v[8:9], v[2:3], -v[12:13]
	v_fmac_f64_e32 v[14:15], v[10:11], v[2:3]
	v_add_f64 v[4:5], v[4:5], 0
	v_add_f64 v[2:3], v[14:15], 0
	s_and_saveexec_b64 s[8:9], vcc
	s_cbranch_execz .LBB99_3
; %bb.2:
	v_ashrrev_i32_e32 v7, 31, v6
	v_lshlrev_b64 v[10:11], 4, v[6:7]
	v_mov_b32_e32 v1, s14
	v_add_co_u32_e32 v6, vcc, s13, v10
	v_addc_co_u32_e32 v7, vcc, v1, v11, vcc
	v_mov_b32_e32 v1, s12
	v_add_co_u32_e32 v10, vcc, s11, v10
	v_addc_co_u32_e32 v11, vcc, v1, v11, vcc
	global_load_dwordx4 v[6:9], v[6:7], off
	s_nop 0
	global_load_dwordx4 v[10:13], v[10:11], off
	s_waitcnt vmcnt(0)
	v_mul_f64 v[14:15], v[6:7], v[12:13]
	v_mul_f64 v[12:13], v[8:9], v[12:13]
	v_fmac_f64_e32 v[14:15], v[8:9], v[10:11]
	v_fma_f64 v[6:7], v[6:7], v[10:11], -v[12:13]
	v_add_f64 v[2:3], v[2:3], v[14:15]
	v_add_f64 v[4:5], v[4:5], v[6:7]
.LBB99_3:
	s_or_b64 exec, exec, s[8:9]
.LBB99_4:
	s_or_b64 exec, exec, s[0:1]
	v_and_b32_e32 v10, 63, v0
	v_cmp_gt_u32_e32 vcc, 64, v0
	v_lshlrev_b32_e32 v1, 4, v10
	s_and_saveexec_b64 s[0:1], vcc
	s_cbranch_execz .LBB99_6
; %bb.5:
	v_mov_b32_e32 v6, 0
	v_mov_b32_e32 v7, v6
	v_mov_b32_e32 v8, v6
	v_mov_b32_e32 v9, v6
	ds_write_b128 v1, v[6:9]
.LBB99_6:
	s_or_b64 exec, exec, s[0:1]
	v_mbcnt_lo_u32_b32 v6, -1, 0
	v_mbcnt_hi_u32_b32 v13, -1, v6
	v_and_b32_e32 v14, 63, v13
	v_cmp_gt_u32_e64 s[0:1], 32, v14
	v_cndmask_b32_e64 v6, 0, 1, s[0:1]
	v_lshlrev_b32_e32 v6, 5, v6
	v_add_lshl_u32 v9, v6, v13, 2
	ds_bpermute_b32 v6, v9, v4
	ds_bpermute_b32 v7, v9, v5
	;; [unrolled: 1-line block ×4, first 2 shown]
	v_cmp_gt_u32_e64 s[0:1], 48, v14
	s_waitcnt lgkmcnt(0)
	v_add_f64 v[4:5], v[4:5], v[6:7]
	v_cndmask_b32_e64 v6, 0, 1, s[0:1]
	v_lshlrev_b32_e32 v6, 4, v6
	v_add_f64 v[2:3], v[2:3], v[8:9]
	v_add_lshl_u32 v9, v6, v13, 2
	ds_bpermute_b32 v6, v9, v4
	ds_bpermute_b32 v7, v9, v5
	;; [unrolled: 1-line block ×4, first 2 shown]
	v_cmp_gt_u32_e64 s[0:1], 56, v14
	s_barrier
	s_waitcnt lgkmcnt(2)
	v_add_f64 v[4:5], v[4:5], v[6:7]
	v_cndmask_b32_e64 v6, 0, 1, s[0:1]
	v_lshlrev_b32_e32 v6, 3, v6
	s_waitcnt lgkmcnt(0)
	v_add_f64 v[2:3], v[2:3], v[8:9]
	v_add_lshl_u32 v9, v6, v13, 2
	ds_bpermute_b32 v6, v9, v4
	ds_bpermute_b32 v7, v9, v5
	;; [unrolled: 1-line block ×4, first 2 shown]
	v_cmp_gt_u32_e64 s[0:1], 60, v14
	s_waitcnt lgkmcnt(0)
	v_add_f64 v[4:5], v[4:5], v[6:7]
	v_cndmask_b32_e64 v6, 0, 1, s[0:1]
	v_lshlrev_b32_e32 v6, 2, v6
	v_add_f64 v[2:3], v[2:3], v[8:9]
	v_add_lshl_u32 v11, v6, v13, 2
	ds_bpermute_b32 v6, v11, v4
	ds_bpermute_b32 v7, v11, v5
	;; [unrolled: 1-line block ×4, first 2 shown]
	v_cmp_gt_u32_e64 s[0:1], 62, v14
	s_waitcnt lgkmcnt(2)
	v_add_f64 v[4:5], v[4:5], v[6:7]
	s_waitcnt lgkmcnt(0)
	v_add_f64 v[6:7], v[2:3], v[8:9]
	v_cndmask_b32_e64 v2, 0, 1, s[0:1]
	v_lshlrev_b32_e32 v2, 1, v2
	v_add_lshl_u32 v12, v2, v13, 2
	ds_bpermute_b32 v2, v12, v4
	ds_bpermute_b32 v3, v12, v5
	;; [unrolled: 1-line block ×4, first 2 shown]
	v_cmp_ne_u32_e64 s[0:1], 63, v14
	s_waitcnt lgkmcnt(2)
	v_add_f64 v[2:3], v[4:5], v[2:3]
	v_addc_co_u32_e64 v4, s[0:1], 0, v13, s[0:1]
	s_waitcnt lgkmcnt(0)
	v_add_f64 v[6:7], v[6:7], v[8:9]
	v_lshlrev_b32_e32 v13, 2, v4
	ds_bpermute_b32 v4, v13, v2
	ds_bpermute_b32 v5, v13, v3
	;; [unrolled: 1-line block ×4, first 2 shown]
	v_cmp_eq_u32_e64 s[0:1], 0, v10
	s_and_saveexec_b64 s[8:9], s[0:1]
	s_cbranch_execz .LBB99_8
; %bb.7:
	v_lshrrev_b32_e32 v10, 2, v0
	v_and_b32_e32 v10, 0x70, v10
	s_waitcnt lgkmcnt(0)
	v_add_f64 v[6:7], v[6:7], v[8:9]
	v_add_f64 v[4:5], v[2:3], v[4:5]
	ds_write_b128 v10, v[4:7]
.LBB99_8:
	s_or_b64 exec, exec, s[8:9]
	s_waitcnt lgkmcnt(2)
	v_pk_mov_b32 v[4:5], 0, 0
	v_cmp_gt_u32_e64 s[0:1], 8, v0
	v_pk_mov_b32 v[2:3], v[4:5], v[4:5] op_sel:[0,1]
	s_waitcnt lgkmcnt(0)
	s_barrier
	s_and_saveexec_b64 s[8:9], s[0:1]
	s_cbranch_execnz .LBB99_12
; %bb.9:
	s_or_b64 exec, exec, s[8:9]
	s_and_saveexec_b64 s[0:1], vcc
	s_cbranch_execnz .LBB99_13
.LBB99_10:
	s_or_b64 exec, exec, s[0:1]
	v_cmp_eq_u32_e32 vcc, 0, v0
	s_and_saveexec_b64 s[0:1], vcc
	s_cbranch_execnz .LBB99_14
.LBB99_11:
	s_endpgm
.LBB99_12:
	ds_read_b128 v[2:5], v1
	s_or_b64 exec, exec, s[8:9]
	s_and_saveexec_b64 s[0:1], vcc
	s_cbranch_execz .LBB99_10
.LBB99_13:
	s_waitcnt lgkmcnt(0)
	ds_bpermute_b32 v6, v11, v2
	ds_bpermute_b32 v7, v11, v3
	;; [unrolled: 1-line block ×4, first 2 shown]
	s_waitcnt lgkmcnt(2)
	v_add_f64 v[2:3], v[2:3], v[6:7]
	ds_bpermute_b32 v6, v12, v2
	s_waitcnt lgkmcnt(1)
	v_add_f64 v[4:5], v[4:5], v[8:9]
	ds_bpermute_b32 v7, v12, v3
	ds_bpermute_b32 v8, v12, v4
	;; [unrolled: 1-line block ×3, first 2 shown]
	s_waitcnt lgkmcnt(2)
	v_add_f64 v[2:3], v[2:3], v[6:7]
	ds_bpermute_b32 v6, v13, v2
	s_waitcnt lgkmcnt(1)
	v_add_f64 v[4:5], v[4:5], v[8:9]
	ds_bpermute_b32 v7, v13, v3
	ds_bpermute_b32 v8, v13, v4
	;; [unrolled: 1-line block ×3, first 2 shown]
	s_waitcnt lgkmcnt(2)
	v_add_f64 v[2:3], v[2:3], v[6:7]
	s_waitcnt lgkmcnt(0)
	v_add_f64 v[4:5], v[4:5], v[8:9]
	s_or_b64 exec, exec, s[0:1]
	v_cmp_eq_u32_e32 vcc, 0, v0
	s_and_saveexec_b64 s[0:1], vcc
	s_cbranch_execz .LBB99_11
.LBB99_14:
	s_cmp_lg_u32 s10, 1
	s_cbranch_scc0 .LBB99_16
; %bb.15:
	s_load_dwordx2 s[0:1], s[4:5], 0x40
	s_mul_hi_u32 s9, s10, s2
	s_mul_i32 s8, s10, s2
	s_lshl_b64 s[8:9], s[8:9], 4
	s_mov_b32 s7, 0
	s_waitcnt lgkmcnt(0)
	s_add_u32 s8, s0, s8
	s_addc_u32 s9, s1, s9
	s_lshl_b64 s[0:1], s[6:7], 4
	s_add_u32 s0, s8, s0
	s_addc_u32 s1, s9, s1
	s_cbranch_execz .LBB99_17
	s_branch .LBB99_18
.LBB99_16:
                                        ; implicit-def: $sgpr0_sgpr1
.LBB99_17:
	s_load_dwordx2 s[0:1], s[4:5], 0x48
	s_lshl_b64 s[2:3], s[2:3], 4
	s_waitcnt lgkmcnt(0)
	s_add_u32 s0, s0, s2
	s_addc_u32 s1, s1, s3
.LBB99_18:
	v_mov_b32_e32 v0, 0
	s_waitcnt lgkmcnt(0)
	global_store_dwordx4 v0, v[2:5], s[0:1]
	s_endpgm
	.section	.rodata,"a",@progbits
	.p2align	6, 0x0
	.amdhsa_kernel _ZL23rocblas_dot_kernel_inc1ILb0ELi512ELi2ELb0E19rocblas_complex_numIdEPKS1_S1_EviT4_llS4_lliPT5_PT3_
		.amdhsa_group_segment_fixed_size 1024
		.amdhsa_private_segment_fixed_size 0
		.amdhsa_kernarg_size 336
		.amdhsa_user_sgpr_count 6
		.amdhsa_user_sgpr_private_segment_buffer 1
		.amdhsa_user_sgpr_dispatch_ptr 0
		.amdhsa_user_sgpr_queue_ptr 0
		.amdhsa_user_sgpr_kernarg_segment_ptr 1
		.amdhsa_user_sgpr_dispatch_id 0
		.amdhsa_user_sgpr_flat_scratch_init 0
		.amdhsa_user_sgpr_kernarg_preload_length 0
		.amdhsa_user_sgpr_kernarg_preload_offset 0
		.amdhsa_user_sgpr_private_segment_size 0
		.amdhsa_uses_dynamic_stack 0
		.amdhsa_system_sgpr_private_segment_wavefront_offset 0
		.amdhsa_system_sgpr_workgroup_id_x 1
		.amdhsa_system_sgpr_workgroup_id_y 0
		.amdhsa_system_sgpr_workgroup_id_z 1
		.amdhsa_system_sgpr_workgroup_info 0
		.amdhsa_system_vgpr_workitem_id 0
		.amdhsa_next_free_vgpr 16
		.amdhsa_next_free_sgpr 22
		.amdhsa_accum_offset 16
		.amdhsa_reserve_vcc 1
		.amdhsa_reserve_flat_scratch 0
		.amdhsa_float_round_mode_32 0
		.amdhsa_float_round_mode_16_64 0
		.amdhsa_float_denorm_mode_32 3
		.amdhsa_float_denorm_mode_16_64 3
		.amdhsa_dx10_clamp 1
		.amdhsa_ieee_mode 1
		.amdhsa_fp16_overflow 0
		.amdhsa_tg_split 0
		.amdhsa_exception_fp_ieee_invalid_op 0
		.amdhsa_exception_fp_denorm_src 0
		.amdhsa_exception_fp_ieee_div_zero 0
		.amdhsa_exception_fp_ieee_overflow 0
		.amdhsa_exception_fp_ieee_underflow 0
		.amdhsa_exception_fp_ieee_inexact 0
		.amdhsa_exception_int_div_zero 0
	.end_amdhsa_kernel
	.section	.text._ZL23rocblas_dot_kernel_inc1ILb0ELi512ELi2ELb0E19rocblas_complex_numIdEPKS1_S1_EviT4_llS4_lliPT5_PT3_,"axG",@progbits,_ZL23rocblas_dot_kernel_inc1ILb0ELi512ELi2ELb0E19rocblas_complex_numIdEPKS1_S1_EviT4_llS4_lliPT5_PT3_,comdat
.Lfunc_end99:
	.size	_ZL23rocblas_dot_kernel_inc1ILb0ELi512ELi2ELb0E19rocblas_complex_numIdEPKS1_S1_EviT4_llS4_lliPT5_PT3_, .Lfunc_end99-_ZL23rocblas_dot_kernel_inc1ILb0ELi512ELi2ELb0E19rocblas_complex_numIdEPKS1_S1_EviT4_llS4_lliPT5_PT3_
                                        ; -- End function
	.section	.AMDGPU.csdata,"",@progbits
; Kernel info:
; codeLenInByte = 1404
; NumSgprs: 26
; NumVgprs: 16
; NumAgprs: 0
; TotalNumVgprs: 16
; ScratchSize: 0
; MemoryBound: 0
; FloatMode: 240
; IeeeMode: 1
; LDSByteSize: 1024 bytes/workgroup (compile time only)
; SGPRBlocks: 3
; VGPRBlocks: 1
; NumSGPRsForWavesPerEU: 26
; NumVGPRsForWavesPerEU: 16
; AccumOffset: 16
; Occupancy: 8
; WaveLimiterHint : 0
; COMPUTE_PGM_RSRC2:SCRATCH_EN: 0
; COMPUTE_PGM_RSRC2:USER_SGPR: 6
; COMPUTE_PGM_RSRC2:TRAP_HANDLER: 0
; COMPUTE_PGM_RSRC2:TGID_X_EN: 1
; COMPUTE_PGM_RSRC2:TGID_Y_EN: 0
; COMPUTE_PGM_RSRC2:TGID_Z_EN: 1
; COMPUTE_PGM_RSRC2:TIDIG_COMP_CNT: 0
; COMPUTE_PGM_RSRC3_GFX90A:ACCUM_OFFSET: 3
; COMPUTE_PGM_RSRC3_GFX90A:TG_SPLIT: 0
	.section	.text._ZL18rocblas_dot_kernelIiLb0ELi512ELi2ELb0E19rocblas_complex_numIdEPKS1_S1_EviT5_lT_lS4_lS5_liPT6_PT4_,"axG",@progbits,_ZL18rocblas_dot_kernelIiLb0ELi512ELi2ELb0E19rocblas_complex_numIdEPKS1_S1_EviT5_lT_lS4_lS5_liPT6_PT4_,comdat
	.globl	_ZL18rocblas_dot_kernelIiLb0ELi512ELi2ELb0E19rocblas_complex_numIdEPKS1_S1_EviT5_lT_lS4_lS5_liPT6_PT4_ ; -- Begin function _ZL18rocblas_dot_kernelIiLb0ELi512ELi2ELb0E19rocblas_complex_numIdEPKS1_S1_EviT5_lT_lS4_lS5_liPT6_PT4_
	.p2align	8
	.type	_ZL18rocblas_dot_kernelIiLb0ELi512ELi2ELb0E19rocblas_complex_numIdEPKS1_S1_EviT5_lT_lS4_lS5_liPT6_PT4_,@function
_ZL18rocblas_dot_kernelIiLb0ELi512ELi2ELb0E19rocblas_complex_numIdEPKS1_S1_EviT5_lT_lS4_lS5_liPT6_PT4_: ; @_ZL18rocblas_dot_kernelIiLb0ELi512ELi2ELb0E19rocblas_complex_numIdEPKS1_S1_EviT5_lT_lS4_lS5_liPT6_PT4_
; %bb.0:
	s_load_dword s8, s[4:5], 0x0
	s_load_dword s10, s[4:5], 0x60
	v_lshl_or_b32 v1, s6, 9, v0
	v_pk_mov_b32 v[4:5], 0, 0
	s_mov_b32 s2, s7
	s_mov_b32 s3, 0
	s_waitcnt lgkmcnt(0)
	v_cmp_gt_i32_e32 vcc, s8, v1
	v_pk_mov_b32 v[2:3], v[4:5], v[4:5] op_sel:[0,1]
	s_and_saveexec_b64 s[0:1], vcc
	s_cbranch_execz .LBB100_4
; %bb.1:
	s_load_dwordx4 s[16:19], s[4:5], 0x20
	s_load_dwordx4 s[20:23], s[4:5], 0x8
	s_load_dword s7, s[4:5], 0x18
	s_load_dwordx2 s[14:15], s[4:5], 0x30
	s_load_dword s13, s[4:5], 0x38
	s_load_dwordx2 s[24:25], s[4:5], 0x40
	s_waitcnt lgkmcnt(0)
	s_mul_i32 s9, s2, s17
	s_mul_hi_u32 s11, s2, s16
	s_add_i32 s17, s11, s9
	s_mul_i32 s16, s2, s16
	s_lshl_b64 s[16:17], s[16:17], 4
	s_add_u32 s9, s20, s16
	s_addc_u32 s12, s21, s17
	s_lshl_b64 s[16:17], s[22:23], 4
	s_add_u32 s11, s9, s16
	s_mul_i32 s9, s2, s25
	s_mul_hi_u32 s16, s2, s24
	s_addc_u32 s12, s12, s17
	s_add_i32 s17, s16, s9
	s_mul_i32 s16, s2, s24
	s_lshl_b64 s[16:17], s[16:17], 4
	s_add_u32 s9, s18, s16
	s_addc_u32 s16, s19, s17
	s_lshl_b64 s[14:15], s[14:15], 4
	s_add_u32 s14, s9, s14
	s_addc_u32 s15, s16, s15
	v_mad_i64_i32 v[2:3], s[16:17], v1, s13, 0
	v_lshlrev_b64 v[2:3], 4, v[2:3]
	v_mov_b32_e32 v4, s15
	v_add_co_u32_e32 v10, vcc, s14, v2
	v_addc_co_u32_e32 v11, vcc, v4, v3, vcc
	v_mad_i64_i32 v[2:3], s[16:17], v1, s7, 0
	v_lshlrev_b64 v[2:3], 4, v[2:3]
	v_mov_b32_e32 v1, s12
	v_add_co_u32_e32 v12, vcc, s11, v2
	v_addc_co_u32_e32 v13, vcc, v1, v3, vcc
	global_load_dwordx4 v[2:5], v[12:13], off
	global_load_dwordx4 v[6:9], v[10:11], off
	s_add_i32 s9, s6, s10
	v_lshl_or_b32 v1, s9, 9, v0
	v_cmp_gt_i32_e32 vcc, s8, v1
	s_waitcnt vmcnt(0)
	v_mul_f64 v[10:11], v[8:9], v[4:5]
	v_mul_f64 v[12:13], v[6:7], v[4:5]
	v_fma_f64 v[4:5], v[6:7], v[2:3], -v[10:11]
	v_fmac_f64_e32 v[12:13], v[8:9], v[2:3]
	v_add_f64 v[4:5], v[4:5], 0
	v_add_f64 v[2:3], v[12:13], 0
	s_and_saveexec_b64 s[8:9], vcc
	s_cbranch_execz .LBB100_3
; %bb.2:
	v_mad_i64_i32 v[6:7], s[16:17], v1, s13, 0
	v_lshlrev_b64 v[6:7], 4, v[6:7]
	v_mov_b32_e32 v8, s15
	v_add_co_u32_e32 v6, vcc, s14, v6
	v_mad_i64_i32 v[10:11], s[14:15], v1, s7, 0
	v_addc_co_u32_e32 v7, vcc, v8, v7, vcc
	v_lshlrev_b64 v[10:11], 4, v[10:11]
	v_mov_b32_e32 v1, s12
	v_add_co_u32_e32 v10, vcc, s11, v10
	v_addc_co_u32_e32 v11, vcc, v1, v11, vcc
	global_load_dwordx4 v[6:9], v[6:7], off
	s_nop 0
	global_load_dwordx4 v[10:13], v[10:11], off
	s_waitcnt vmcnt(0)
	v_mul_f64 v[14:15], v[6:7], v[12:13]
	v_mul_f64 v[12:13], v[8:9], v[12:13]
	v_fmac_f64_e32 v[14:15], v[8:9], v[10:11]
	v_fma_f64 v[6:7], v[6:7], v[10:11], -v[12:13]
	v_add_f64 v[2:3], v[2:3], v[14:15]
	v_add_f64 v[4:5], v[4:5], v[6:7]
.LBB100_3:
	s_or_b64 exec, exec, s[8:9]
.LBB100_4:
	s_or_b64 exec, exec, s[0:1]
	v_and_b32_e32 v10, 63, v0
	v_cmp_gt_u32_e32 vcc, 64, v0
	v_lshlrev_b32_e32 v1, 4, v10
	s_and_saveexec_b64 s[0:1], vcc
	s_cbranch_execz .LBB100_6
; %bb.5:
	v_mov_b32_e32 v6, 0
	v_mov_b32_e32 v7, v6
	;; [unrolled: 1-line block ×4, first 2 shown]
	ds_write_b128 v1, v[6:9]
.LBB100_6:
	s_or_b64 exec, exec, s[0:1]
	v_mbcnt_lo_u32_b32 v6, -1, 0
	v_mbcnt_hi_u32_b32 v13, -1, v6
	v_and_b32_e32 v14, 63, v13
	v_cmp_gt_u32_e64 s[0:1], 32, v14
	v_cndmask_b32_e64 v6, 0, 1, s[0:1]
	v_lshlrev_b32_e32 v6, 5, v6
	v_add_lshl_u32 v9, v6, v13, 2
	ds_bpermute_b32 v6, v9, v4
	ds_bpermute_b32 v7, v9, v5
	;; [unrolled: 1-line block ×4, first 2 shown]
	v_cmp_gt_u32_e64 s[0:1], 48, v14
	s_waitcnt lgkmcnt(0)
	v_add_f64 v[4:5], v[4:5], v[6:7]
	v_cndmask_b32_e64 v6, 0, 1, s[0:1]
	v_lshlrev_b32_e32 v6, 4, v6
	v_add_f64 v[2:3], v[2:3], v[8:9]
	v_add_lshl_u32 v9, v6, v13, 2
	ds_bpermute_b32 v6, v9, v4
	ds_bpermute_b32 v7, v9, v5
	;; [unrolled: 1-line block ×4, first 2 shown]
	v_cmp_gt_u32_e64 s[0:1], 56, v14
	s_barrier
	s_waitcnt lgkmcnt(2)
	v_add_f64 v[4:5], v[4:5], v[6:7]
	v_cndmask_b32_e64 v6, 0, 1, s[0:1]
	v_lshlrev_b32_e32 v6, 3, v6
	s_waitcnt lgkmcnt(0)
	v_add_f64 v[2:3], v[2:3], v[8:9]
	v_add_lshl_u32 v9, v6, v13, 2
	ds_bpermute_b32 v6, v9, v4
	ds_bpermute_b32 v7, v9, v5
	;; [unrolled: 1-line block ×4, first 2 shown]
	v_cmp_gt_u32_e64 s[0:1], 60, v14
	s_waitcnt lgkmcnt(0)
	v_add_f64 v[4:5], v[4:5], v[6:7]
	v_cndmask_b32_e64 v6, 0, 1, s[0:1]
	v_lshlrev_b32_e32 v6, 2, v6
	v_add_f64 v[2:3], v[2:3], v[8:9]
	v_add_lshl_u32 v11, v6, v13, 2
	ds_bpermute_b32 v6, v11, v4
	ds_bpermute_b32 v7, v11, v5
	;; [unrolled: 1-line block ×4, first 2 shown]
	v_cmp_gt_u32_e64 s[0:1], 62, v14
	s_waitcnt lgkmcnt(2)
	v_add_f64 v[4:5], v[4:5], v[6:7]
	s_waitcnt lgkmcnt(0)
	v_add_f64 v[6:7], v[2:3], v[8:9]
	v_cndmask_b32_e64 v2, 0, 1, s[0:1]
	v_lshlrev_b32_e32 v2, 1, v2
	v_add_lshl_u32 v12, v2, v13, 2
	ds_bpermute_b32 v2, v12, v4
	ds_bpermute_b32 v3, v12, v5
	;; [unrolled: 1-line block ×4, first 2 shown]
	v_cmp_ne_u32_e64 s[0:1], 63, v14
	s_waitcnt lgkmcnt(2)
	v_add_f64 v[2:3], v[4:5], v[2:3]
	v_addc_co_u32_e64 v4, s[0:1], 0, v13, s[0:1]
	s_waitcnt lgkmcnt(0)
	v_add_f64 v[6:7], v[6:7], v[8:9]
	v_lshlrev_b32_e32 v13, 2, v4
	ds_bpermute_b32 v4, v13, v2
	ds_bpermute_b32 v5, v13, v3
	;; [unrolled: 1-line block ×4, first 2 shown]
	v_cmp_eq_u32_e64 s[0:1], 0, v10
	s_and_saveexec_b64 s[8:9], s[0:1]
	s_cbranch_execz .LBB100_8
; %bb.7:
	v_lshrrev_b32_e32 v10, 2, v0
	v_and_b32_e32 v10, 0x70, v10
	s_waitcnt lgkmcnt(0)
	v_add_f64 v[6:7], v[6:7], v[8:9]
	v_add_f64 v[4:5], v[2:3], v[4:5]
	ds_write_b128 v10, v[4:7]
.LBB100_8:
	s_or_b64 exec, exec, s[8:9]
	s_waitcnt lgkmcnt(2)
	v_pk_mov_b32 v[4:5], 0, 0
	v_cmp_gt_u32_e64 s[0:1], 8, v0
	v_pk_mov_b32 v[2:3], v[4:5], v[4:5] op_sel:[0,1]
	s_waitcnt lgkmcnt(0)
	s_barrier
	s_and_saveexec_b64 s[8:9], s[0:1]
	s_cbranch_execnz .LBB100_12
; %bb.9:
	s_or_b64 exec, exec, s[8:9]
	s_and_saveexec_b64 s[0:1], vcc
	s_cbranch_execnz .LBB100_13
.LBB100_10:
	s_or_b64 exec, exec, s[0:1]
	v_cmp_eq_u32_e32 vcc, 0, v0
	s_and_saveexec_b64 s[0:1], vcc
	s_cbranch_execnz .LBB100_14
.LBB100_11:
	s_endpgm
.LBB100_12:
	ds_read_b128 v[2:5], v1
	s_or_b64 exec, exec, s[8:9]
	s_and_saveexec_b64 s[0:1], vcc
	s_cbranch_execz .LBB100_10
.LBB100_13:
	s_waitcnt lgkmcnt(0)
	ds_bpermute_b32 v6, v11, v2
	ds_bpermute_b32 v7, v11, v3
	;; [unrolled: 1-line block ×4, first 2 shown]
	s_waitcnt lgkmcnt(2)
	v_add_f64 v[2:3], v[2:3], v[6:7]
	ds_bpermute_b32 v6, v12, v2
	s_waitcnt lgkmcnt(1)
	v_add_f64 v[4:5], v[4:5], v[8:9]
	ds_bpermute_b32 v7, v12, v3
	ds_bpermute_b32 v8, v12, v4
	;; [unrolled: 1-line block ×3, first 2 shown]
	s_waitcnt lgkmcnt(2)
	v_add_f64 v[2:3], v[2:3], v[6:7]
	ds_bpermute_b32 v6, v13, v2
	s_waitcnt lgkmcnt(1)
	v_add_f64 v[4:5], v[4:5], v[8:9]
	ds_bpermute_b32 v7, v13, v3
	ds_bpermute_b32 v8, v13, v4
	;; [unrolled: 1-line block ×3, first 2 shown]
	s_waitcnt lgkmcnt(2)
	v_add_f64 v[2:3], v[2:3], v[6:7]
	s_waitcnt lgkmcnt(0)
	v_add_f64 v[4:5], v[4:5], v[8:9]
	s_or_b64 exec, exec, s[0:1]
	v_cmp_eq_u32_e32 vcc, 0, v0
	s_and_saveexec_b64 s[0:1], vcc
	s_cbranch_execz .LBB100_11
.LBB100_14:
	s_cmp_lg_u32 s10, 1
	s_cbranch_scc0 .LBB100_16
; %bb.15:
	s_load_dwordx2 s[0:1], s[4:5], 0x50
	s_mul_hi_u32 s9, s10, s2
	s_mul_i32 s8, s10, s2
	s_lshl_b64 s[8:9], s[8:9], 4
	s_mov_b32 s7, 0
	s_waitcnt lgkmcnt(0)
	s_add_u32 s8, s0, s8
	s_addc_u32 s9, s1, s9
	s_lshl_b64 s[0:1], s[6:7], 4
	s_add_u32 s0, s8, s0
	s_addc_u32 s1, s9, s1
	s_cbranch_execz .LBB100_17
	s_branch .LBB100_18
.LBB100_16:
                                        ; implicit-def: $sgpr0_sgpr1
.LBB100_17:
	s_load_dwordx2 s[0:1], s[4:5], 0x58
	s_lshl_b64 s[2:3], s[2:3], 4
	s_waitcnt lgkmcnt(0)
	s_add_u32 s0, s0, s2
	s_addc_u32 s1, s1, s3
.LBB100_18:
	v_mov_b32_e32 v0, 0
	s_waitcnt lgkmcnt(0)
	global_store_dwordx4 v0, v[2:5], s[0:1]
	s_endpgm
	.section	.rodata,"a",@progbits
	.p2align	6, 0x0
	.amdhsa_kernel _ZL18rocblas_dot_kernelIiLb0ELi512ELi2ELb0E19rocblas_complex_numIdEPKS1_S1_EviT5_lT_lS4_lS5_liPT6_PT4_
		.amdhsa_group_segment_fixed_size 1024
		.amdhsa_private_segment_fixed_size 0
		.amdhsa_kernarg_size 352
		.amdhsa_user_sgpr_count 6
		.amdhsa_user_sgpr_private_segment_buffer 1
		.amdhsa_user_sgpr_dispatch_ptr 0
		.amdhsa_user_sgpr_queue_ptr 0
		.amdhsa_user_sgpr_kernarg_segment_ptr 1
		.amdhsa_user_sgpr_dispatch_id 0
		.amdhsa_user_sgpr_flat_scratch_init 0
		.amdhsa_user_sgpr_kernarg_preload_length 0
		.amdhsa_user_sgpr_kernarg_preload_offset 0
		.amdhsa_user_sgpr_private_segment_size 0
		.amdhsa_uses_dynamic_stack 0
		.amdhsa_system_sgpr_private_segment_wavefront_offset 0
		.amdhsa_system_sgpr_workgroup_id_x 1
		.amdhsa_system_sgpr_workgroup_id_y 0
		.amdhsa_system_sgpr_workgroup_id_z 1
		.amdhsa_system_sgpr_workgroup_info 0
		.amdhsa_system_vgpr_workitem_id 0
		.amdhsa_next_free_vgpr 16
		.amdhsa_next_free_sgpr 26
		.amdhsa_accum_offset 16
		.amdhsa_reserve_vcc 1
		.amdhsa_reserve_flat_scratch 0
		.amdhsa_float_round_mode_32 0
		.amdhsa_float_round_mode_16_64 0
		.amdhsa_float_denorm_mode_32 3
		.amdhsa_float_denorm_mode_16_64 3
		.amdhsa_dx10_clamp 1
		.amdhsa_ieee_mode 1
		.amdhsa_fp16_overflow 0
		.amdhsa_tg_split 0
		.amdhsa_exception_fp_ieee_invalid_op 0
		.amdhsa_exception_fp_denorm_src 0
		.amdhsa_exception_fp_ieee_div_zero 0
		.amdhsa_exception_fp_ieee_overflow 0
		.amdhsa_exception_fp_ieee_underflow 0
		.amdhsa_exception_fp_ieee_inexact 0
		.amdhsa_exception_int_div_zero 0
	.end_amdhsa_kernel
	.section	.text._ZL18rocblas_dot_kernelIiLb0ELi512ELi2ELb0E19rocblas_complex_numIdEPKS1_S1_EviT5_lT_lS4_lS5_liPT6_PT4_,"axG",@progbits,_ZL18rocblas_dot_kernelIiLb0ELi512ELi2ELb0E19rocblas_complex_numIdEPKS1_S1_EviT5_lT_lS4_lS5_liPT6_PT4_,comdat
.Lfunc_end100:
	.size	_ZL18rocblas_dot_kernelIiLb0ELi512ELi2ELb0E19rocblas_complex_numIdEPKS1_S1_EviT5_lT_lS4_lS5_liPT6_PT4_, .Lfunc_end100-_ZL18rocblas_dot_kernelIiLb0ELi512ELi2ELb0E19rocblas_complex_numIdEPKS1_S1_EviT5_lT_lS4_lS5_liPT6_PT4_
                                        ; -- End function
	.section	.AMDGPU.csdata,"",@progbits
; Kernel info:
; codeLenInByte = 1460
; NumSgprs: 30
; NumVgprs: 16
; NumAgprs: 0
; TotalNumVgprs: 16
; ScratchSize: 0
; MemoryBound: 0
; FloatMode: 240
; IeeeMode: 1
; LDSByteSize: 1024 bytes/workgroup (compile time only)
; SGPRBlocks: 3
; VGPRBlocks: 1
; NumSGPRsForWavesPerEU: 30
; NumVGPRsForWavesPerEU: 16
; AccumOffset: 16
; Occupancy: 8
; WaveLimiterHint : 0
; COMPUTE_PGM_RSRC2:SCRATCH_EN: 0
; COMPUTE_PGM_RSRC2:USER_SGPR: 6
; COMPUTE_PGM_RSRC2:TRAP_HANDLER: 0
; COMPUTE_PGM_RSRC2:TGID_X_EN: 1
; COMPUTE_PGM_RSRC2:TGID_Y_EN: 0
; COMPUTE_PGM_RSRC2:TGID_Z_EN: 1
; COMPUTE_PGM_RSRC2:TIDIG_COMP_CNT: 0
; COMPUTE_PGM_RSRC3_GFX90A:ACCUM_OFFSET: 3
; COMPUTE_PGM_RSRC3_GFX90A:TG_SPLIT: 0
	.section	.text._ZL24rocblas_dot_kernel_magsqIiLb0ELi512ELi2ELb0E19rocblas_complex_numIdEPKS1_S1_EviT5_lT_liPT6_PT4_,"axG",@progbits,_ZL24rocblas_dot_kernel_magsqIiLb0ELi512ELi2ELb0E19rocblas_complex_numIdEPKS1_S1_EviT5_lT_liPT6_PT4_,comdat
	.globl	_ZL24rocblas_dot_kernel_magsqIiLb0ELi512ELi2ELb0E19rocblas_complex_numIdEPKS1_S1_EviT5_lT_liPT6_PT4_ ; -- Begin function _ZL24rocblas_dot_kernel_magsqIiLb0ELi512ELi2ELb0E19rocblas_complex_numIdEPKS1_S1_EviT5_lT_liPT6_PT4_
	.p2align	8
	.type	_ZL24rocblas_dot_kernel_magsqIiLb0ELi512ELi2ELb0E19rocblas_complex_numIdEPKS1_S1_EviT5_lT_liPT6_PT4_,@function
_ZL24rocblas_dot_kernel_magsqIiLb0ELi512ELi2ELb0E19rocblas_complex_numIdEPKS1_S1_EviT5_lT_liPT6_PT4_: ; @_ZL24rocblas_dot_kernel_magsqIiLb0ELi512ELi2ELb0E19rocblas_complex_numIdEPKS1_S1_EviT5_lT_liPT6_PT4_
; %bb.0:
	s_mov_b32 s2, s7
	s_load_dword s7, s[4:5], 0x0
	s_load_dword s10, s[4:5], 0x40
	v_lshl_or_b32 v1, s6, 9, v0
	v_pk_mov_b32 v[4:5], 0, 0
	s_mov_b32 s3, 0
	s_waitcnt lgkmcnt(0)
	v_cmp_gt_i32_e32 vcc, s7, v1
	v_pk_mov_b32 v[2:3], v[4:5], v[4:5] op_sel:[0,1]
	s_and_saveexec_b64 s[0:1], vcc
	s_cbranch_execz .LBB101_4
; %bb.1:
	s_load_dwordx2 s[8:9], s[4:5], 0x20
	s_load_dwordx4 s[12:15], s[4:5], 0x8
	s_load_dword s11, s[4:5], 0x18
	s_waitcnt lgkmcnt(0)
	s_mul_i32 s9, s2, s9
	s_mul_hi_u32 s16, s2, s8
	s_mul_i32 s8, s2, s8
	s_add_i32 s9, s16, s9
	s_lshl_b64 s[8:9], s[8:9], 4
	s_add_u32 s12, s12, s8
	s_addc_u32 s13, s13, s9
	s_lshl_b64 s[8:9], s[14:15], 4
	s_add_u32 s12, s12, s8
	s_addc_u32 s13, s13, s9
	v_mad_i64_i32 v[2:3], s[8:9], v1, s11, 0
	v_lshlrev_b64 v[2:3], 4, v[2:3]
	v_mov_b32_e32 v1, s13
	v_add_co_u32_e32 v2, vcc, s12, v2
	v_addc_co_u32_e32 v3, vcc, v1, v3, vcc
	global_load_dwordx4 v[2:5], v[2:3], off
	s_add_i32 s8, s6, s10
	v_lshl_or_b32 v1, s8, 9, v0
	v_cmp_gt_i32_e32 vcc, s7, v1
	s_waitcnt vmcnt(0)
	v_mul_f64 v[6:7], v[4:5], v[4:5]
	v_mul_f64 v[8:9], v[2:3], v[4:5]
	v_fma_f64 v[4:5], v[2:3], v[2:3], -v[6:7]
	v_fma_f64 v[2:3], v[8:9], 2.0, 0
	s_and_saveexec_b64 s[8:9], vcc
	s_cbranch_execz .LBB101_3
; %bb.2:
	v_mad_i64_i32 v[6:7], s[14:15], v1, s11, 0
	v_lshlrev_b64 v[6:7], 4, v[6:7]
	v_mov_b32_e32 v1, s13
	v_add_co_u32_e32 v6, vcc, s12, v6
	v_addc_co_u32_e32 v7, vcc, v1, v7, vcc
	global_load_dwordx4 v[6:9], v[6:7], off
	s_waitcnt vmcnt(0)
	v_mul_f64 v[10:11], v[6:7], v[8:9]
	v_mul_f64 v[8:9], v[8:9], v[8:9]
	v_fma_f64 v[6:7], v[6:7], v[6:7], -v[8:9]
	v_fmac_f64_e32 v[2:3], 2.0, v[10:11]
	v_add_f64 v[4:5], v[4:5], v[6:7]
.LBB101_3:
	s_or_b64 exec, exec, s[8:9]
.LBB101_4:
	s_or_b64 exec, exec, s[0:1]
	v_and_b32_e32 v10, 63, v0
	v_cmp_gt_u32_e32 vcc, 64, v0
	v_lshlrev_b32_e32 v1, 4, v10
	s_and_saveexec_b64 s[0:1], vcc
	s_cbranch_execz .LBB101_6
; %bb.5:
	v_mov_b32_e32 v6, 0
	v_mov_b32_e32 v7, v6
	;; [unrolled: 1-line block ×4, first 2 shown]
	ds_write_b128 v1, v[6:9]
.LBB101_6:
	s_or_b64 exec, exec, s[0:1]
	v_mbcnt_lo_u32_b32 v6, -1, 0
	v_mbcnt_hi_u32_b32 v13, -1, v6
	v_and_b32_e32 v14, 63, v13
	v_cmp_gt_u32_e64 s[0:1], 32, v14
	v_cndmask_b32_e64 v6, 0, 1, s[0:1]
	v_lshlrev_b32_e32 v6, 5, v6
	v_add_lshl_u32 v9, v6, v13, 2
	ds_bpermute_b32 v6, v9, v4
	ds_bpermute_b32 v7, v9, v5
	ds_bpermute_b32 v8, v9, v2
	ds_bpermute_b32 v9, v9, v3
	v_cmp_gt_u32_e64 s[0:1], 48, v14
	s_waitcnt lgkmcnt(0)
	v_add_f64 v[4:5], v[4:5], v[6:7]
	v_cndmask_b32_e64 v6, 0, 1, s[0:1]
	v_lshlrev_b32_e32 v6, 4, v6
	v_add_f64 v[2:3], v[2:3], v[8:9]
	v_add_lshl_u32 v9, v6, v13, 2
	ds_bpermute_b32 v6, v9, v4
	ds_bpermute_b32 v7, v9, v5
	;; [unrolled: 1-line block ×4, first 2 shown]
	v_cmp_gt_u32_e64 s[0:1], 56, v14
	s_barrier
	s_waitcnt lgkmcnt(2)
	v_add_f64 v[4:5], v[4:5], v[6:7]
	v_cndmask_b32_e64 v6, 0, 1, s[0:1]
	v_lshlrev_b32_e32 v6, 3, v6
	s_waitcnt lgkmcnt(0)
	v_add_f64 v[2:3], v[2:3], v[8:9]
	v_add_lshl_u32 v9, v6, v13, 2
	ds_bpermute_b32 v6, v9, v4
	ds_bpermute_b32 v7, v9, v5
	;; [unrolled: 1-line block ×4, first 2 shown]
	v_cmp_gt_u32_e64 s[0:1], 60, v14
	s_waitcnt lgkmcnt(0)
	v_add_f64 v[4:5], v[4:5], v[6:7]
	v_cndmask_b32_e64 v6, 0, 1, s[0:1]
	v_lshlrev_b32_e32 v6, 2, v6
	v_add_f64 v[2:3], v[2:3], v[8:9]
	v_add_lshl_u32 v11, v6, v13, 2
	ds_bpermute_b32 v6, v11, v4
	ds_bpermute_b32 v7, v11, v5
	;; [unrolled: 1-line block ×4, first 2 shown]
	v_cmp_gt_u32_e64 s[0:1], 62, v14
	s_waitcnt lgkmcnt(2)
	v_add_f64 v[4:5], v[4:5], v[6:7]
	s_waitcnt lgkmcnt(0)
	v_add_f64 v[6:7], v[2:3], v[8:9]
	v_cndmask_b32_e64 v2, 0, 1, s[0:1]
	v_lshlrev_b32_e32 v2, 1, v2
	v_add_lshl_u32 v12, v2, v13, 2
	ds_bpermute_b32 v2, v12, v4
	ds_bpermute_b32 v3, v12, v5
	;; [unrolled: 1-line block ×4, first 2 shown]
	v_cmp_ne_u32_e64 s[0:1], 63, v14
	s_waitcnt lgkmcnt(2)
	v_add_f64 v[2:3], v[4:5], v[2:3]
	v_addc_co_u32_e64 v4, s[0:1], 0, v13, s[0:1]
	s_waitcnt lgkmcnt(0)
	v_add_f64 v[6:7], v[6:7], v[8:9]
	v_lshlrev_b32_e32 v13, 2, v4
	ds_bpermute_b32 v4, v13, v2
	ds_bpermute_b32 v5, v13, v3
	;; [unrolled: 1-line block ×4, first 2 shown]
	v_cmp_eq_u32_e64 s[0:1], 0, v10
	s_and_saveexec_b64 s[8:9], s[0:1]
	s_cbranch_execz .LBB101_8
; %bb.7:
	v_lshrrev_b32_e32 v10, 2, v0
	v_and_b32_e32 v10, 0x70, v10
	s_waitcnt lgkmcnt(0)
	v_add_f64 v[6:7], v[6:7], v[8:9]
	v_add_f64 v[4:5], v[2:3], v[4:5]
	ds_write_b128 v10, v[4:7]
.LBB101_8:
	s_or_b64 exec, exec, s[8:9]
	s_waitcnt lgkmcnt(2)
	v_pk_mov_b32 v[4:5], 0, 0
	v_cmp_gt_u32_e64 s[0:1], 8, v0
	v_pk_mov_b32 v[2:3], v[4:5], v[4:5] op_sel:[0,1]
	s_waitcnt lgkmcnt(0)
	s_barrier
	s_and_saveexec_b64 s[8:9], s[0:1]
	s_cbranch_execnz .LBB101_12
; %bb.9:
	s_or_b64 exec, exec, s[8:9]
	s_and_saveexec_b64 s[0:1], vcc
	s_cbranch_execnz .LBB101_13
.LBB101_10:
	s_or_b64 exec, exec, s[0:1]
	v_cmp_eq_u32_e32 vcc, 0, v0
	s_and_saveexec_b64 s[0:1], vcc
	s_cbranch_execnz .LBB101_14
.LBB101_11:
	s_endpgm
.LBB101_12:
	ds_read_b128 v[2:5], v1
	s_or_b64 exec, exec, s[8:9]
	s_and_saveexec_b64 s[0:1], vcc
	s_cbranch_execz .LBB101_10
.LBB101_13:
	s_waitcnt lgkmcnt(0)
	ds_bpermute_b32 v6, v11, v2
	ds_bpermute_b32 v7, v11, v3
	;; [unrolled: 1-line block ×4, first 2 shown]
	s_waitcnt lgkmcnt(2)
	v_add_f64 v[2:3], v[2:3], v[6:7]
	ds_bpermute_b32 v6, v12, v2
	s_waitcnt lgkmcnt(1)
	v_add_f64 v[4:5], v[4:5], v[8:9]
	ds_bpermute_b32 v7, v12, v3
	ds_bpermute_b32 v8, v12, v4
	;; [unrolled: 1-line block ×3, first 2 shown]
	s_waitcnt lgkmcnt(2)
	v_add_f64 v[2:3], v[2:3], v[6:7]
	ds_bpermute_b32 v6, v13, v2
	s_waitcnt lgkmcnt(1)
	v_add_f64 v[4:5], v[4:5], v[8:9]
	ds_bpermute_b32 v7, v13, v3
	ds_bpermute_b32 v8, v13, v4
	;; [unrolled: 1-line block ×3, first 2 shown]
	s_waitcnt lgkmcnt(2)
	v_add_f64 v[2:3], v[2:3], v[6:7]
	s_waitcnt lgkmcnt(0)
	v_add_f64 v[4:5], v[4:5], v[8:9]
	s_or_b64 exec, exec, s[0:1]
	v_cmp_eq_u32_e32 vcc, 0, v0
	s_and_saveexec_b64 s[0:1], vcc
	s_cbranch_execz .LBB101_11
.LBB101_14:
	s_cmp_lg_u32 s10, 1
	s_cbranch_scc0 .LBB101_16
; %bb.15:
	s_load_dwordx2 s[0:1], s[4:5], 0x30
	s_mul_hi_u32 s9, s10, s2
	s_mul_i32 s8, s10, s2
	s_lshl_b64 s[8:9], s[8:9], 4
	s_mov_b32 s7, 0
	s_waitcnt lgkmcnt(0)
	s_add_u32 s8, s0, s8
	s_addc_u32 s9, s1, s9
	s_lshl_b64 s[0:1], s[6:7], 4
	s_add_u32 s0, s8, s0
	s_addc_u32 s1, s9, s1
	s_cbranch_execz .LBB101_17
	s_branch .LBB101_18
.LBB101_16:
                                        ; implicit-def: $sgpr0_sgpr1
.LBB101_17:
	s_load_dwordx2 s[0:1], s[4:5], 0x38
	s_lshl_b64 s[2:3], s[2:3], 4
	s_waitcnt lgkmcnt(0)
	s_add_u32 s0, s0, s2
	s_addc_u32 s1, s1, s3
.LBB101_18:
	v_mov_b32_e32 v0, 0
	s_waitcnt lgkmcnt(0)
	global_store_dwordx4 v0, v[2:5], s[0:1]
	s_endpgm
	.section	.rodata,"a",@progbits
	.p2align	6, 0x0
	.amdhsa_kernel _ZL24rocblas_dot_kernel_magsqIiLb0ELi512ELi2ELb0E19rocblas_complex_numIdEPKS1_S1_EviT5_lT_liPT6_PT4_
		.amdhsa_group_segment_fixed_size 1024
		.amdhsa_private_segment_fixed_size 0
		.amdhsa_kernarg_size 320
		.amdhsa_user_sgpr_count 6
		.amdhsa_user_sgpr_private_segment_buffer 1
		.amdhsa_user_sgpr_dispatch_ptr 0
		.amdhsa_user_sgpr_queue_ptr 0
		.amdhsa_user_sgpr_kernarg_segment_ptr 1
		.amdhsa_user_sgpr_dispatch_id 0
		.amdhsa_user_sgpr_flat_scratch_init 0
		.amdhsa_user_sgpr_kernarg_preload_length 0
		.amdhsa_user_sgpr_kernarg_preload_offset 0
		.amdhsa_user_sgpr_private_segment_size 0
		.amdhsa_uses_dynamic_stack 0
		.amdhsa_system_sgpr_private_segment_wavefront_offset 0
		.amdhsa_system_sgpr_workgroup_id_x 1
		.amdhsa_system_sgpr_workgroup_id_y 0
		.amdhsa_system_sgpr_workgroup_id_z 1
		.amdhsa_system_sgpr_workgroup_info 0
		.amdhsa_system_vgpr_workitem_id 0
		.amdhsa_next_free_vgpr 15
		.amdhsa_next_free_sgpr 17
		.amdhsa_accum_offset 16
		.amdhsa_reserve_vcc 1
		.amdhsa_reserve_flat_scratch 0
		.amdhsa_float_round_mode_32 0
		.amdhsa_float_round_mode_16_64 0
		.amdhsa_float_denorm_mode_32 3
		.amdhsa_float_denorm_mode_16_64 3
		.amdhsa_dx10_clamp 1
		.amdhsa_ieee_mode 1
		.amdhsa_fp16_overflow 0
		.amdhsa_tg_split 0
		.amdhsa_exception_fp_ieee_invalid_op 0
		.amdhsa_exception_fp_denorm_src 0
		.amdhsa_exception_fp_ieee_div_zero 0
		.amdhsa_exception_fp_ieee_overflow 0
		.amdhsa_exception_fp_ieee_underflow 0
		.amdhsa_exception_fp_ieee_inexact 0
		.amdhsa_exception_int_div_zero 0
	.end_amdhsa_kernel
	.section	.text._ZL24rocblas_dot_kernel_magsqIiLb0ELi512ELi2ELb0E19rocblas_complex_numIdEPKS1_S1_EviT5_lT_liPT6_PT4_,"axG",@progbits,_ZL24rocblas_dot_kernel_magsqIiLb0ELi512ELi2ELb0E19rocblas_complex_numIdEPKS1_S1_EviT5_lT_liPT6_PT4_,comdat
.Lfunc_end101:
	.size	_ZL24rocblas_dot_kernel_magsqIiLb0ELi512ELi2ELb0E19rocblas_complex_numIdEPKS1_S1_EviT5_lT_liPT6_PT4_, .Lfunc_end101-_ZL24rocblas_dot_kernel_magsqIiLb0ELi512ELi2ELb0E19rocblas_complex_numIdEPKS1_S1_EviT5_lT_liPT6_PT4_
                                        ; -- End function
	.section	.AMDGPU.csdata,"",@progbits
; Kernel info:
; codeLenInByte = 1300
; NumSgprs: 21
; NumVgprs: 15
; NumAgprs: 0
; TotalNumVgprs: 15
; ScratchSize: 0
; MemoryBound: 0
; FloatMode: 240
; IeeeMode: 1
; LDSByteSize: 1024 bytes/workgroup (compile time only)
; SGPRBlocks: 2
; VGPRBlocks: 1
; NumSGPRsForWavesPerEU: 21
; NumVGPRsForWavesPerEU: 15
; AccumOffset: 16
; Occupancy: 8
; WaveLimiterHint : 0
; COMPUTE_PGM_RSRC2:SCRATCH_EN: 0
; COMPUTE_PGM_RSRC2:USER_SGPR: 6
; COMPUTE_PGM_RSRC2:TRAP_HANDLER: 0
; COMPUTE_PGM_RSRC2:TGID_X_EN: 1
; COMPUTE_PGM_RSRC2:TGID_Y_EN: 0
; COMPUTE_PGM_RSRC2:TGID_Z_EN: 1
; COMPUTE_PGM_RSRC2:TIDIG_COMP_CNT: 0
; COMPUTE_PGM_RSRC3_GFX90A:ACCUM_OFFSET: 3
; COMPUTE_PGM_RSRC3_GFX90A:TG_SPLIT: 0
	.section	.text._ZL30rocblas_reduction_kernel_part2ILi512ELi2E25rocblas_finalize_identity19rocblas_complex_numIdES2_EviPT2_PT3_,"axG",@progbits,_ZL30rocblas_reduction_kernel_part2ILi512ELi2E25rocblas_finalize_identity19rocblas_complex_numIdES2_EviPT2_PT3_,comdat
	.globl	_ZL30rocblas_reduction_kernel_part2ILi512ELi2E25rocblas_finalize_identity19rocblas_complex_numIdES2_EviPT2_PT3_ ; -- Begin function _ZL30rocblas_reduction_kernel_part2ILi512ELi2E25rocblas_finalize_identity19rocblas_complex_numIdES2_EviPT2_PT3_
	.p2align	8
	.type	_ZL30rocblas_reduction_kernel_part2ILi512ELi2E25rocblas_finalize_identity19rocblas_complex_numIdES2_EviPT2_PT3_,@function
_ZL30rocblas_reduction_kernel_part2ILi512ELi2E25rocblas_finalize_identity19rocblas_complex_numIdES2_EviPT2_PT3_: ; @_ZL30rocblas_reduction_kernel_part2ILi512ELi2E25rocblas_finalize_identity19rocblas_complex_numIdES2_EviPT2_PT3_
; %bb.0:
	s_load_dword s12, s[4:5], 0x0
	s_load_dwordx4 s[0:3], s[4:5], 0x8
	v_lshlrev_b32_e32 v1, 1, v0
	v_pk_mov_b32 v[2:3], 0, 0
	s_mov_b32 s7, 0
	s_waitcnt lgkmcnt(0)
	s_lshr_b32 s8, s12, 31
	s_ashr_i32 s4, s12, 31
	s_add_i32 s8, s12, s8
	s_mul_hi_u32 s5, s12, s6
	s_mul_i32 s4, s4, s6
	s_and_b32 s13, s8, -2
	s_add_i32 s5, s5, s4
	s_mul_i32 s4, s12, s6
	v_cmp_gt_i32_e32 vcc, s13, v1
	v_pk_mov_b32 v[4:5], v[2:3], v[2:3] op_sel:[0,1]
	s_and_saveexec_b64 s[8:9], vcc
	s_cbranch_execz .LBB102_4
; %bb.1:
	s_lshl_b64 s[10:11], s[4:5], 4
	s_add_u32 s10, s0, s10
	v_lshlrev_b32_e32 v2, 5, v0
	s_addc_u32 s11, s1, s11
	v_mov_b32_e32 v3, s11
	v_add_co_u32_e32 v2, vcc, s10, v2
	v_addc_co_u32_e32 v3, vcc, 0, v3, vcc
	v_add_co_u32_e32 v6, vcc, 16, v2
	v_addc_co_u32_e32 v7, vcc, 0, v3, vcc
	v_pk_mov_b32 v[2:3], 0, 0
	s_mov_b64 s[10:11], 0
	v_pk_mov_b32 v[4:5], v[2:3], v[2:3] op_sel:[0,1]
.LBB102_2:                              ; =>This Inner Loop Header: Depth=1
	global_load_dwordx4 v[8:11], v[6:7], off offset:-16
	global_load_dwordx4 v[12:15], v[6:7], off
	v_add_co_u32_e32 v6, vcc, 0x4000, v6
	v_add_u32_e32 v1, 0x400, v1
	v_addc_co_u32_e32 v7, vcc, 0, v7, vcc
	v_cmp_le_i32_e32 vcc, s13, v1
	s_or_b64 s[10:11], vcc, s[10:11]
	s_waitcnt vmcnt(1)
	v_add_f64 v[4:5], v[4:5], v[8:9]
	v_add_f64 v[2:3], v[2:3], v[10:11]
	s_waitcnt vmcnt(0)
	v_add_f64 v[4:5], v[4:5], v[12:13]
	v_add_f64 v[2:3], v[2:3], v[14:15]
	s_andn2_b64 exec, exec, s[10:11]
	s_cbranch_execnz .LBB102_2
; %bb.3:
	s_or_b64 exec, exec, s[10:11]
.LBB102_4:
	s_or_b64 exec, exec, s[8:9]
	s_sub_i32 s8, s12, s13
	v_cmp_gt_u32_e32 vcc, s8, v0
	s_and_saveexec_b64 s[8:9], vcc
	s_cbranch_execz .LBB102_6
; %bb.5:
	s_lshl_b64 s[4:5], s[4:5], 4
	s_add_u32 s0, s0, s4
	v_xad_u32 v6, v0, -1, s12
	v_mov_b32_e32 v7, 0
	s_addc_u32 s1, s1, s5
	v_lshlrev_b64 v[6:7], 4, v[6:7]
	v_mov_b32_e32 v1, s1
	v_add_co_u32_e32 v6, vcc, s0, v6
	v_addc_co_u32_e32 v7, vcc, v1, v7, vcc
	global_load_dwordx4 v[6:9], v[6:7], off
	s_waitcnt vmcnt(0)
	v_add_f64 v[4:5], v[4:5], v[6:7]
	v_add_f64 v[2:3], v[2:3], v[8:9]
.LBB102_6:
	s_or_b64 exec, exec, s[8:9]
	v_and_b32_e32 v10, 63, v0
	v_cmp_gt_u32_e32 vcc, 64, v0
	v_lshlrev_b32_e32 v1, 4, v10
	s_and_saveexec_b64 s[0:1], vcc
	s_cbranch_execz .LBB102_8
; %bb.7:
	v_mov_b32_e32 v6, 0
	v_mov_b32_e32 v7, v6
	;; [unrolled: 1-line block ×4, first 2 shown]
	ds_write_b128 v1, v[6:9]
.LBB102_8:
	s_or_b64 exec, exec, s[0:1]
	v_mbcnt_lo_u32_b32 v6, -1, 0
	v_mbcnt_hi_u32_b32 v13, -1, v6
	v_and_b32_e32 v14, 63, v13
	v_cmp_gt_u32_e64 s[0:1], 32, v14
	v_cndmask_b32_e64 v6, 0, 1, s[0:1]
	v_lshlrev_b32_e32 v6, 5, v6
	v_add_lshl_u32 v9, v6, v13, 2
	ds_bpermute_b32 v6, v9, v4
	ds_bpermute_b32 v7, v9, v5
	;; [unrolled: 1-line block ×4, first 2 shown]
	v_cmp_gt_u32_e64 s[0:1], 48, v14
	s_waitcnt lgkmcnt(0)
	v_add_f64 v[4:5], v[4:5], v[6:7]
	v_cndmask_b32_e64 v6, 0, 1, s[0:1]
	v_lshlrev_b32_e32 v6, 4, v6
	v_add_f64 v[2:3], v[2:3], v[8:9]
	v_add_lshl_u32 v9, v6, v13, 2
	ds_bpermute_b32 v6, v9, v4
	ds_bpermute_b32 v7, v9, v5
	ds_bpermute_b32 v8, v9, v2
	ds_bpermute_b32 v9, v9, v3
	v_cmp_gt_u32_e64 s[0:1], 56, v14
	s_barrier
	s_waitcnt lgkmcnt(2)
	v_add_f64 v[4:5], v[4:5], v[6:7]
	v_cndmask_b32_e64 v6, 0, 1, s[0:1]
	v_lshlrev_b32_e32 v6, 3, v6
	s_waitcnt lgkmcnt(0)
	v_add_f64 v[2:3], v[2:3], v[8:9]
	v_add_lshl_u32 v9, v6, v13, 2
	ds_bpermute_b32 v6, v9, v4
	ds_bpermute_b32 v7, v9, v5
	;; [unrolled: 1-line block ×4, first 2 shown]
	v_cmp_gt_u32_e64 s[0:1], 60, v14
	s_waitcnt lgkmcnt(0)
	v_add_f64 v[4:5], v[4:5], v[6:7]
	v_cndmask_b32_e64 v6, 0, 1, s[0:1]
	v_lshlrev_b32_e32 v6, 2, v6
	v_add_f64 v[2:3], v[2:3], v[8:9]
	v_add_lshl_u32 v11, v6, v13, 2
	ds_bpermute_b32 v6, v11, v4
	ds_bpermute_b32 v7, v11, v5
	;; [unrolled: 1-line block ×4, first 2 shown]
	v_cmp_gt_u32_e64 s[0:1], 62, v14
	s_waitcnt lgkmcnt(2)
	v_add_f64 v[4:5], v[4:5], v[6:7]
	s_waitcnt lgkmcnt(0)
	v_add_f64 v[6:7], v[2:3], v[8:9]
	v_cndmask_b32_e64 v2, 0, 1, s[0:1]
	v_lshlrev_b32_e32 v2, 1, v2
	v_add_lshl_u32 v12, v2, v13, 2
	ds_bpermute_b32 v2, v12, v4
	ds_bpermute_b32 v3, v12, v5
	;; [unrolled: 1-line block ×4, first 2 shown]
	v_cmp_ne_u32_e64 s[0:1], 63, v14
	s_waitcnt lgkmcnt(2)
	v_add_f64 v[2:3], v[4:5], v[2:3]
	v_addc_co_u32_e64 v4, s[0:1], 0, v13, s[0:1]
	s_waitcnt lgkmcnt(0)
	v_add_f64 v[6:7], v[6:7], v[8:9]
	v_lshlrev_b32_e32 v13, 2, v4
	ds_bpermute_b32 v4, v13, v2
	ds_bpermute_b32 v5, v13, v3
	;; [unrolled: 1-line block ×4, first 2 shown]
	v_cmp_eq_u32_e64 s[0:1], 0, v10
	s_and_saveexec_b64 s[4:5], s[0:1]
	s_cbranch_execz .LBB102_10
; %bb.9:
	v_lshrrev_b32_e32 v10, 2, v0
	v_and_b32_e32 v10, 0x70, v10
	s_waitcnt lgkmcnt(0)
	v_add_f64 v[6:7], v[6:7], v[8:9]
	v_add_f64 v[4:5], v[2:3], v[4:5]
	ds_write_b128 v10, v[4:7]
.LBB102_10:
	s_or_b64 exec, exec, s[4:5]
	s_waitcnt lgkmcnt(2)
	v_pk_mov_b32 v[4:5], 0, 0
	v_cmp_gt_u32_e64 s[0:1], 8, v0
	v_pk_mov_b32 v[2:3], v[4:5], v[4:5] op_sel:[0,1]
	s_waitcnt lgkmcnt(0)
	s_barrier
	s_and_saveexec_b64 s[4:5], s[0:1]
	s_cbranch_execnz .LBB102_14
; %bb.11:
	s_or_b64 exec, exec, s[4:5]
	s_and_saveexec_b64 s[0:1], vcc
	s_cbranch_execnz .LBB102_15
.LBB102_12:
	s_or_b64 exec, exec, s[0:1]
	v_cmp_eq_u32_e32 vcc, 0, v0
	s_and_saveexec_b64 s[0:1], vcc
	s_cbranch_execnz .LBB102_16
.LBB102_13:
	s_endpgm
.LBB102_14:
	ds_read_b128 v[2:5], v1
	s_or_b64 exec, exec, s[4:5]
	s_and_saveexec_b64 s[0:1], vcc
	s_cbranch_execz .LBB102_12
.LBB102_15:
	s_waitcnt lgkmcnt(0)
	ds_bpermute_b32 v6, v11, v2
	ds_bpermute_b32 v7, v11, v3
	;; [unrolled: 1-line block ×4, first 2 shown]
	s_waitcnt lgkmcnt(2)
	v_add_f64 v[2:3], v[2:3], v[6:7]
	ds_bpermute_b32 v6, v12, v2
	s_waitcnt lgkmcnt(1)
	v_add_f64 v[4:5], v[4:5], v[8:9]
	ds_bpermute_b32 v7, v12, v3
	ds_bpermute_b32 v8, v12, v4
	ds_bpermute_b32 v9, v12, v5
	s_waitcnt lgkmcnt(2)
	v_add_f64 v[2:3], v[2:3], v[6:7]
	ds_bpermute_b32 v6, v13, v2
	s_waitcnt lgkmcnt(1)
	v_add_f64 v[4:5], v[4:5], v[8:9]
	ds_bpermute_b32 v7, v13, v3
	ds_bpermute_b32 v8, v13, v4
	;; [unrolled: 1-line block ×3, first 2 shown]
	s_waitcnt lgkmcnt(2)
	v_add_f64 v[2:3], v[2:3], v[6:7]
	s_waitcnt lgkmcnt(0)
	v_add_f64 v[4:5], v[4:5], v[8:9]
	s_or_b64 exec, exec, s[0:1]
	v_cmp_eq_u32_e32 vcc, 0, v0
	s_and_saveexec_b64 s[0:1], vcc
	s_cbranch_execz .LBB102_13
.LBB102_16:
	s_lshl_b64 s[0:1], s[6:7], 4
	s_add_u32 s0, s2, s0
	s_addc_u32 s1, s3, s1
	v_mov_b32_e32 v0, 0
	s_waitcnt lgkmcnt(0)
	global_store_dwordx4 v0, v[2:5], s[0:1]
	s_endpgm
	.section	.rodata,"a",@progbits
	.p2align	6, 0x0
	.amdhsa_kernel _ZL30rocblas_reduction_kernel_part2ILi512ELi2E25rocblas_finalize_identity19rocblas_complex_numIdES2_EviPT2_PT3_
		.amdhsa_group_segment_fixed_size 1024
		.amdhsa_private_segment_fixed_size 0
		.amdhsa_kernarg_size 24
		.amdhsa_user_sgpr_count 6
		.amdhsa_user_sgpr_private_segment_buffer 1
		.amdhsa_user_sgpr_dispatch_ptr 0
		.amdhsa_user_sgpr_queue_ptr 0
		.amdhsa_user_sgpr_kernarg_segment_ptr 1
		.amdhsa_user_sgpr_dispatch_id 0
		.amdhsa_user_sgpr_flat_scratch_init 0
		.amdhsa_user_sgpr_kernarg_preload_length 0
		.amdhsa_user_sgpr_kernarg_preload_offset 0
		.amdhsa_user_sgpr_private_segment_size 0
		.amdhsa_uses_dynamic_stack 0
		.amdhsa_system_sgpr_private_segment_wavefront_offset 0
		.amdhsa_system_sgpr_workgroup_id_x 1
		.amdhsa_system_sgpr_workgroup_id_y 0
		.amdhsa_system_sgpr_workgroup_id_z 0
		.amdhsa_system_sgpr_workgroup_info 0
		.amdhsa_system_vgpr_workitem_id 0
		.amdhsa_next_free_vgpr 16
		.amdhsa_next_free_sgpr 14
		.amdhsa_accum_offset 16
		.amdhsa_reserve_vcc 1
		.amdhsa_reserve_flat_scratch 0
		.amdhsa_float_round_mode_32 0
		.amdhsa_float_round_mode_16_64 0
		.amdhsa_float_denorm_mode_32 3
		.amdhsa_float_denorm_mode_16_64 3
		.amdhsa_dx10_clamp 1
		.amdhsa_ieee_mode 1
		.amdhsa_fp16_overflow 0
		.amdhsa_tg_split 0
		.amdhsa_exception_fp_ieee_invalid_op 0
		.amdhsa_exception_fp_denorm_src 0
		.amdhsa_exception_fp_ieee_div_zero 0
		.amdhsa_exception_fp_ieee_overflow 0
		.amdhsa_exception_fp_ieee_underflow 0
		.amdhsa_exception_fp_ieee_inexact 0
		.amdhsa_exception_int_div_zero 0
	.end_amdhsa_kernel
	.section	.text._ZL30rocblas_reduction_kernel_part2ILi512ELi2E25rocblas_finalize_identity19rocblas_complex_numIdES2_EviPT2_PT3_,"axG",@progbits,_ZL30rocblas_reduction_kernel_part2ILi512ELi2E25rocblas_finalize_identity19rocblas_complex_numIdES2_EviPT2_PT3_,comdat
.Lfunc_end102:
	.size	_ZL30rocblas_reduction_kernel_part2ILi512ELi2E25rocblas_finalize_identity19rocblas_complex_numIdES2_EviPT2_PT3_, .Lfunc_end102-_ZL30rocblas_reduction_kernel_part2ILi512ELi2E25rocblas_finalize_identity19rocblas_complex_numIdES2_EviPT2_PT3_
                                        ; -- End function
	.section	.AMDGPU.csdata,"",@progbits
; Kernel info:
; codeLenInByte = 1248
; NumSgprs: 18
; NumVgprs: 16
; NumAgprs: 0
; TotalNumVgprs: 16
; ScratchSize: 0
; MemoryBound: 0
; FloatMode: 240
; IeeeMode: 1
; LDSByteSize: 1024 bytes/workgroup (compile time only)
; SGPRBlocks: 2
; VGPRBlocks: 1
; NumSGPRsForWavesPerEU: 18
; NumVGPRsForWavesPerEU: 16
; AccumOffset: 16
; Occupancy: 8
; WaveLimiterHint : 0
; COMPUTE_PGM_RSRC2:SCRATCH_EN: 0
; COMPUTE_PGM_RSRC2:USER_SGPR: 6
; COMPUTE_PGM_RSRC2:TRAP_HANDLER: 0
; COMPUTE_PGM_RSRC2:TGID_X_EN: 1
; COMPUTE_PGM_RSRC2:TGID_Y_EN: 0
; COMPUTE_PGM_RSRC2:TGID_Z_EN: 0
; COMPUTE_PGM_RSRC2:TIDIG_COMP_CNT: 0
; COMPUTE_PGM_RSRC3_GFX90A:ACCUM_OFFSET: 3
; COMPUTE_PGM_RSRC3_GFX90A:TG_SPLIT: 0
	.section	.text._ZL28rocblas_dot_batched_4_kernelIlLi32ELi4ELb0E19rocblas_complex_numIdES1_PKS1_EviT5_lT_lS4_lS5_liPT4_,"axG",@progbits,_ZL28rocblas_dot_batched_4_kernelIlLi32ELi4ELb0E19rocblas_complex_numIdES1_PKS1_EviT5_lT_lS4_lS5_liPT4_,comdat
	.globl	_ZL28rocblas_dot_batched_4_kernelIlLi32ELi4ELb0E19rocblas_complex_numIdES1_PKS1_EviT5_lT_lS4_lS5_liPT4_ ; -- Begin function _ZL28rocblas_dot_batched_4_kernelIlLi32ELi4ELb0E19rocblas_complex_numIdES1_PKS1_EviT5_lT_lS4_lS5_liPT4_
	.p2align	8
	.type	_ZL28rocblas_dot_batched_4_kernelIlLi32ELi4ELb0E19rocblas_complex_numIdES1_PKS1_EviT5_lT_lS4_lS5_liPT4_,@function
_ZL28rocblas_dot_batched_4_kernelIlLi32ELi4ELb0E19rocblas_complex_numIdES1_PKS1_EviT5_lT_lS4_lS5_liPT4_: ; @_ZL28rocblas_dot_batched_4_kernelIlLi32ELi4ELb0E19rocblas_complex_numIdES1_PKS1_EviT5_lT_lS4_lS5_liPT4_
; %bb.0:
	s_load_dword s0, s[4:5], 0x48
	v_bfe_u32 v1, v0, 10, 10
	v_lshl_add_u32 v2, s6, 2, v1
	s_waitcnt lgkmcnt(0)
	v_cmp_gt_u32_e32 vcc, s0, v2
	s_and_saveexec_b64 s[0:1], vcc
	s_cbranch_execz .LBB103_7
; %bb.1:
	s_load_dword s18, s[4:5], 0x0
	s_load_dwordx2 s[6:7], s[4:5], 0x50
	v_and_b32_e32 v10, 0x3ff, v0
	v_pk_mov_b32 v[0:1], 0, 0
	v_mov_b32_e32 v3, 0
	s_waitcnt lgkmcnt(0)
	v_cmp_gt_i32_e32 vcc, s18, v10
	v_pk_mov_b32 v[4:5], v[0:1], v[0:1] op_sel:[0,1]
	s_and_saveexec_b64 s[16:17], vcc
	s_cbranch_execz .LBB103_5
; %bb.2:
	s_load_dwordx8 s[8:15], s[4:5], 0x20
	s_load_dwordx2 s[20:21], s[4:5], 0x8
	s_load_dwordx4 s[0:3], s[4:5], 0x10
	s_load_dwordx2 s[22:23], s[4:5], 0x40
	v_mov_b32_e32 v13, v10
	s_waitcnt lgkmcnt(0)
	v_mad_u64_u32 v[0:1], s[4:5], s14, v10, 0
	v_mov_b32_e32 v4, v1
	v_mad_u64_u32 v[4:5], s[4:5], s15, v10, v[4:5]
	v_mov_b32_e32 v1, v4
	;; [unrolled: 2-line block ×4, first 2 shown]
	v_lshlrev_b64 v[0:1], 4, v[0:1]
	v_lshlrev_b64 v[4:5], 4, v[4:5]
	s_lshl_b64 s[4:5], s[12:13], 4
	v_add_co_u32_e32 v0, vcc, v0, v4
	s_add_u32 s4, s10, s4
	v_addc_co_u32_e32 v1, vcc, v1, v5, vcc
	s_addc_u32 s5, s11, s5
	v_mov_b32_e32 v4, s5
	v_add_co_u32_e32 v0, vcc, s4, v0
	v_addc_co_u32_e32 v1, vcc, v4, v1, vcc
	v_add_co_u32_e32 v6, vcc, 8, v0
	v_addc_co_u32_e32 v7, vcc, 0, v1, vcc
	v_mad_u64_u32 v[0:1], s[10:11], s2, v10, 0
	v_mov_b32_e32 v4, v1
	v_mad_u64_u32 v[4:5], s[10:11], s3, v10, v[4:5]
	v_mov_b32_e32 v1, v4
	;; [unrolled: 2-line block ×4, first 2 shown]
	s_lshl_b64 s[4:5], s[14:15], 9
	v_lshlrev_b64 v[0:1], 4, v[0:1]
	v_lshlrev_b64 v[4:5], 4, v[4:5]
	s_lshl_b64 s[0:1], s[0:1], 4
	v_add_co_u32_e32 v0, vcc, v0, v4
	s_add_u32 s0, s20, s0
	v_addc_co_u32_e32 v1, vcc, v1, v5, vcc
	s_addc_u32 s1, s21, s1
	v_mov_b32_e32 v4, s1
	v_add_co_u32_e32 v0, vcc, s0, v0
	v_addc_co_u32_e32 v1, vcc, v4, v1, vcc
	v_add_co_u32_e32 v8, vcc, 8, v0
	v_addc_co_u32_e32 v9, vcc, 0, v1, vcc
	s_lshl_b64 s[2:3], s[2:3], 9
	v_pk_mov_b32 v[0:1], 0, 0
	s_mov_b64 s[0:1], 0
	v_mov_b32_e32 v11, s5
	v_mov_b32_e32 v12, s3
	v_pk_mov_b32 v[4:5], v[0:1], v[0:1] op_sel:[0,1]
.LBB103_3:                              ; =>This Inner Loop Header: Depth=1
	global_load_dwordx4 v[14:17], v[8:9], off offset:-8
	global_load_dwordx4 v[18:21], v[6:7], off offset:-8
	v_add_co_u32_e32 v6, vcc, s4, v6
	v_addc_co_u32_e32 v7, vcc, v7, v11, vcc
	v_add_co_u32_e32 v8, vcc, s2, v8
	v_add_u32_e32 v13, 32, v13
	v_addc_co_u32_e32 v9, vcc, v9, v12, vcc
	v_cmp_le_i32_e32 vcc, s18, v13
	s_or_b64 s[0:1], vcc, s[0:1]
	s_waitcnt vmcnt(0)
	v_mul_f64 v[22:23], v[16:17], v[20:21]
	v_mul_f64 v[20:21], v[14:15], v[20:21]
	v_fma_f64 v[14:15], v[14:15], v[18:19], -v[22:23]
	v_fmac_f64_e32 v[20:21], v[16:17], v[18:19]
	v_add_f64 v[0:1], v[0:1], v[14:15]
	v_add_f64 v[4:5], v[4:5], v[20:21]
	s_andn2_b64 exec, exec, s[0:1]
	s_cbranch_execnz .LBB103_3
; %bb.4:
	s_or_b64 exec, exec, s[0:1]
.LBB103_5:
	s_or_b64 exec, exec, s[16:17]
	v_mbcnt_lo_u32_b32 v6, -1, 0
	v_mbcnt_hi_u32_b32 v11, -1, v6
	v_and_b32_e32 v12, 63, v11
	v_cmp_gt_u32_e32 vcc, 48, v12
	v_cndmask_b32_e64 v6, 0, 1, vcc
	v_lshlrev_b32_e32 v6, 4, v6
	v_add_lshl_u32 v9, v6, v11, 2
	ds_bpermute_b32 v6, v9, v0
	ds_bpermute_b32 v7, v9, v1
	;; [unrolled: 1-line block ×4, first 2 shown]
	v_cmp_gt_u32_e32 vcc, 56, v12
	s_waitcnt lgkmcnt(0)
	v_add_f64 v[0:1], v[0:1], v[6:7]
	v_cndmask_b32_e64 v6, 0, 1, vcc
	v_lshlrev_b32_e32 v6, 3, v6
	v_add_f64 v[4:5], v[4:5], v[8:9]
	v_add_lshl_u32 v9, v6, v11, 2
	ds_bpermute_b32 v6, v9, v0
	ds_bpermute_b32 v7, v9, v1
	;; [unrolled: 1-line block ×4, first 2 shown]
	v_cmp_gt_u32_e32 vcc, 60, v12
	s_barrier
	s_waitcnt lgkmcnt(2)
	v_add_f64 v[0:1], v[0:1], v[6:7]
	v_cndmask_b32_e64 v6, 0, 1, vcc
	v_lshlrev_b32_e32 v6, 2, v6
	s_waitcnt lgkmcnt(0)
	v_add_f64 v[4:5], v[4:5], v[8:9]
	v_add_lshl_u32 v9, v6, v11, 2
	ds_bpermute_b32 v6, v9, v0
	ds_bpermute_b32 v7, v9, v1
	;; [unrolled: 1-line block ×4, first 2 shown]
	v_cmp_gt_u32_e32 vcc, 62, v12
	s_waitcnt lgkmcnt(0)
	v_add_f64 v[0:1], v[0:1], v[6:7]
	v_cndmask_b32_e64 v6, 0, 1, vcc
	v_lshlrev_b32_e32 v6, 1, v6
	v_add_f64 v[4:5], v[4:5], v[8:9]
	v_add_lshl_u32 v9, v6, v11, 2
	ds_bpermute_b32 v6, v9, v0
	ds_bpermute_b32 v7, v9, v1
	;; [unrolled: 1-line block ×4, first 2 shown]
	v_cmp_ne_u32_e32 vcc, 63, v12
	s_waitcnt lgkmcnt(2)
	v_add_f64 v[0:1], v[0:1], v[6:7]
	s_waitcnt lgkmcnt(0)
	v_add_f64 v[6:7], v[4:5], v[8:9]
	v_addc_co_u32_e32 v4, vcc, 0, v11, vcc
	v_lshlrev_b32_e32 v9, 2, v4
	ds_bpermute_b32 v4, v9, v0
	ds_bpermute_b32 v5, v9, v1
	;; [unrolled: 1-line block ×4, first 2 shown]
	v_cmp_eq_u32_e32 vcc, 0, v10
	s_and_b64 exec, exec, vcc
	s_cbranch_execz .LBB103_7
; %bb.6:
	v_lshlrev_b64 v[2:3], 4, v[2:3]
	v_mov_b32_e32 v11, s7
	v_add_co_u32_e32 v10, vcc, s6, v2
	v_addc_co_u32_e32 v11, vcc, v11, v3, vcc
	s_waitcnt lgkmcnt(0)
	v_add_f64 v[2:3], v[6:7], v[8:9]
	v_add_f64 v[0:1], v[0:1], v[4:5]
	global_store_dwordx4 v[10:11], v[0:3], off
.LBB103_7:
	s_endpgm
	.section	.rodata,"a",@progbits
	.p2align	6, 0x0
	.amdhsa_kernel _ZL28rocblas_dot_batched_4_kernelIlLi32ELi4ELb0E19rocblas_complex_numIdES1_PKS1_EviT5_lT_lS4_lS5_liPT4_
		.amdhsa_group_segment_fixed_size 0
		.amdhsa_private_segment_fixed_size 0
		.amdhsa_kernarg_size 88
		.amdhsa_user_sgpr_count 6
		.amdhsa_user_sgpr_private_segment_buffer 1
		.amdhsa_user_sgpr_dispatch_ptr 0
		.amdhsa_user_sgpr_queue_ptr 0
		.amdhsa_user_sgpr_kernarg_segment_ptr 1
		.amdhsa_user_sgpr_dispatch_id 0
		.amdhsa_user_sgpr_flat_scratch_init 0
		.amdhsa_user_sgpr_kernarg_preload_length 0
		.amdhsa_user_sgpr_kernarg_preload_offset 0
		.amdhsa_user_sgpr_private_segment_size 0
		.amdhsa_uses_dynamic_stack 0
		.amdhsa_system_sgpr_private_segment_wavefront_offset 0
		.amdhsa_system_sgpr_workgroup_id_x 1
		.amdhsa_system_sgpr_workgroup_id_y 0
		.amdhsa_system_sgpr_workgroup_id_z 0
		.amdhsa_system_sgpr_workgroup_info 0
		.amdhsa_system_vgpr_workitem_id 1
		.amdhsa_next_free_vgpr 24
		.amdhsa_next_free_sgpr 24
		.amdhsa_accum_offset 24
		.amdhsa_reserve_vcc 1
		.amdhsa_reserve_flat_scratch 0
		.amdhsa_float_round_mode_32 0
		.amdhsa_float_round_mode_16_64 0
		.amdhsa_float_denorm_mode_32 3
		.amdhsa_float_denorm_mode_16_64 3
		.amdhsa_dx10_clamp 1
		.amdhsa_ieee_mode 1
		.amdhsa_fp16_overflow 0
		.amdhsa_tg_split 0
		.amdhsa_exception_fp_ieee_invalid_op 0
		.amdhsa_exception_fp_denorm_src 0
		.amdhsa_exception_fp_ieee_div_zero 0
		.amdhsa_exception_fp_ieee_overflow 0
		.amdhsa_exception_fp_ieee_underflow 0
		.amdhsa_exception_fp_ieee_inexact 0
		.amdhsa_exception_int_div_zero 0
	.end_amdhsa_kernel
	.section	.text._ZL28rocblas_dot_batched_4_kernelIlLi32ELi4ELb0E19rocblas_complex_numIdES1_PKS1_EviT5_lT_lS4_lS5_liPT4_,"axG",@progbits,_ZL28rocblas_dot_batched_4_kernelIlLi32ELi4ELb0E19rocblas_complex_numIdES1_PKS1_EviT5_lT_lS4_lS5_liPT4_,comdat
.Lfunc_end103:
	.size	_ZL28rocblas_dot_batched_4_kernelIlLi32ELi4ELb0E19rocblas_complex_numIdES1_PKS1_EviT5_lT_lS4_lS5_liPT4_, .Lfunc_end103-_ZL28rocblas_dot_batched_4_kernelIlLi32ELi4ELb0E19rocblas_complex_numIdES1_PKS1_EviT5_lT_lS4_lS5_liPT4_
                                        ; -- End function
	.section	.AMDGPU.csdata,"",@progbits
; Kernel info:
; codeLenInByte = 936
; NumSgprs: 28
; NumVgprs: 24
; NumAgprs: 0
; TotalNumVgprs: 24
; ScratchSize: 0
; MemoryBound: 0
; FloatMode: 240
; IeeeMode: 1
; LDSByteSize: 0 bytes/workgroup (compile time only)
; SGPRBlocks: 3
; VGPRBlocks: 2
; NumSGPRsForWavesPerEU: 28
; NumVGPRsForWavesPerEU: 24
; AccumOffset: 24
; Occupancy: 8
; WaveLimiterHint : 0
; COMPUTE_PGM_RSRC2:SCRATCH_EN: 0
; COMPUTE_PGM_RSRC2:USER_SGPR: 6
; COMPUTE_PGM_RSRC2:TRAP_HANDLER: 0
; COMPUTE_PGM_RSRC2:TGID_X_EN: 1
; COMPUTE_PGM_RSRC2:TGID_Y_EN: 0
; COMPUTE_PGM_RSRC2:TGID_Z_EN: 0
; COMPUTE_PGM_RSRC2:TIDIG_COMP_CNT: 1
; COMPUTE_PGM_RSRC3_GFX90A:ACCUM_OFFSET: 5
; COMPUTE_PGM_RSRC3_GFX90A:TG_SPLIT: 0
	.section	.text._ZL28rocblas_dot_batched_4_kernelIlLi64ELi4ELb0E19rocblas_complex_numIdES1_PKS1_EviT5_lT_lS4_lS5_liPT4_,"axG",@progbits,_ZL28rocblas_dot_batched_4_kernelIlLi64ELi4ELb0E19rocblas_complex_numIdES1_PKS1_EviT5_lT_lS4_lS5_liPT4_,comdat
	.globl	_ZL28rocblas_dot_batched_4_kernelIlLi64ELi4ELb0E19rocblas_complex_numIdES1_PKS1_EviT5_lT_lS4_lS5_liPT4_ ; -- Begin function _ZL28rocblas_dot_batched_4_kernelIlLi64ELi4ELb0E19rocblas_complex_numIdES1_PKS1_EviT5_lT_lS4_lS5_liPT4_
	.p2align	8
	.type	_ZL28rocblas_dot_batched_4_kernelIlLi64ELi4ELb0E19rocblas_complex_numIdES1_PKS1_EviT5_lT_lS4_lS5_liPT4_,@function
_ZL28rocblas_dot_batched_4_kernelIlLi64ELi4ELb0E19rocblas_complex_numIdES1_PKS1_EviT5_lT_lS4_lS5_liPT4_: ; @_ZL28rocblas_dot_batched_4_kernelIlLi64ELi4ELb0E19rocblas_complex_numIdES1_PKS1_EviT5_lT_lS4_lS5_liPT4_
; %bb.0:
	s_load_dword s0, s[4:5], 0x48
	v_bfe_u32 v1, v0, 10, 10
	v_lshl_add_u32 v2, s6, 2, v1
	s_waitcnt lgkmcnt(0)
	v_cmp_gt_u32_e32 vcc, s0, v2
	s_and_saveexec_b64 s[0:1], vcc
	s_cbranch_execz .LBB104_7
; %bb.1:
	s_load_dword s18, s[4:5], 0x0
	s_load_dwordx2 s[6:7], s[4:5], 0x50
	v_and_b32_e32 v10, 0x3ff, v0
	v_pk_mov_b32 v[0:1], 0, 0
	v_mov_b32_e32 v3, 0
	s_waitcnt lgkmcnt(0)
	v_cmp_gt_i32_e32 vcc, s18, v10
	v_pk_mov_b32 v[4:5], v[0:1], v[0:1] op_sel:[0,1]
	s_and_saveexec_b64 s[16:17], vcc
	s_cbranch_execz .LBB104_5
; %bb.2:
	s_load_dwordx8 s[8:15], s[4:5], 0x20
	s_load_dwordx2 s[20:21], s[4:5], 0x8
	s_load_dwordx4 s[0:3], s[4:5], 0x10
	s_load_dwordx2 s[22:23], s[4:5], 0x40
	v_mov_b32_e32 v13, v10
	s_waitcnt lgkmcnt(0)
	v_mad_u64_u32 v[0:1], s[4:5], s14, v10, 0
	v_mov_b32_e32 v4, v1
	v_mad_u64_u32 v[4:5], s[4:5], s15, v10, v[4:5]
	v_mov_b32_e32 v1, v4
	;; [unrolled: 2-line block ×4, first 2 shown]
	v_lshlrev_b64 v[0:1], 4, v[0:1]
	v_lshlrev_b64 v[4:5], 4, v[4:5]
	s_lshl_b64 s[4:5], s[12:13], 4
	v_add_co_u32_e32 v0, vcc, v0, v4
	s_add_u32 s4, s10, s4
	v_addc_co_u32_e32 v1, vcc, v1, v5, vcc
	s_addc_u32 s5, s11, s5
	v_mov_b32_e32 v4, s5
	v_add_co_u32_e32 v0, vcc, s4, v0
	v_addc_co_u32_e32 v1, vcc, v4, v1, vcc
	v_add_co_u32_e32 v6, vcc, 8, v0
	v_addc_co_u32_e32 v7, vcc, 0, v1, vcc
	v_mad_u64_u32 v[0:1], s[10:11], s2, v10, 0
	v_mov_b32_e32 v4, v1
	v_mad_u64_u32 v[4:5], s[10:11], s3, v10, v[4:5]
	v_mov_b32_e32 v1, v4
	;; [unrolled: 2-line block ×4, first 2 shown]
	s_lshl_b64 s[4:5], s[14:15], 10
	v_lshlrev_b64 v[0:1], 4, v[0:1]
	v_lshlrev_b64 v[4:5], 4, v[4:5]
	s_lshl_b64 s[0:1], s[0:1], 4
	v_add_co_u32_e32 v0, vcc, v0, v4
	s_add_u32 s0, s20, s0
	v_addc_co_u32_e32 v1, vcc, v1, v5, vcc
	s_addc_u32 s1, s21, s1
	v_mov_b32_e32 v4, s1
	v_add_co_u32_e32 v0, vcc, s0, v0
	v_addc_co_u32_e32 v1, vcc, v4, v1, vcc
	v_add_co_u32_e32 v8, vcc, 8, v0
	v_addc_co_u32_e32 v9, vcc, 0, v1, vcc
	s_lshl_b64 s[2:3], s[2:3], 10
	v_pk_mov_b32 v[0:1], 0, 0
	s_mov_b64 s[0:1], 0
	v_mov_b32_e32 v11, s5
	v_mov_b32_e32 v12, s3
	v_pk_mov_b32 v[4:5], v[0:1], v[0:1] op_sel:[0,1]
.LBB104_3:                              ; =>This Inner Loop Header: Depth=1
	global_load_dwordx4 v[14:17], v[8:9], off offset:-8
	global_load_dwordx4 v[18:21], v[6:7], off offset:-8
	v_add_co_u32_e32 v6, vcc, s4, v6
	v_addc_co_u32_e32 v7, vcc, v7, v11, vcc
	v_add_co_u32_e32 v8, vcc, s2, v8
	v_add_u32_e32 v13, 64, v13
	v_addc_co_u32_e32 v9, vcc, v9, v12, vcc
	v_cmp_le_i32_e32 vcc, s18, v13
	s_or_b64 s[0:1], vcc, s[0:1]
	s_waitcnt vmcnt(0)
	v_mul_f64 v[22:23], v[16:17], v[20:21]
	v_mul_f64 v[20:21], v[14:15], v[20:21]
	v_fma_f64 v[14:15], v[14:15], v[18:19], -v[22:23]
	v_fmac_f64_e32 v[20:21], v[16:17], v[18:19]
	v_add_f64 v[0:1], v[0:1], v[14:15]
	v_add_f64 v[4:5], v[4:5], v[20:21]
	s_andn2_b64 exec, exec, s[0:1]
	s_cbranch_execnz .LBB104_3
; %bb.4:
	s_or_b64 exec, exec, s[0:1]
.LBB104_5:
	s_or_b64 exec, exec, s[16:17]
	v_mbcnt_lo_u32_b32 v6, -1, 0
	v_mbcnt_hi_u32_b32 v11, -1, v6
	v_and_b32_e32 v12, 63, v11
	v_cmp_gt_u32_e32 vcc, 32, v12
	v_cndmask_b32_e64 v6, 0, 1, vcc
	v_lshlrev_b32_e32 v6, 5, v6
	v_add_lshl_u32 v9, v6, v11, 2
	ds_bpermute_b32 v6, v9, v0
	ds_bpermute_b32 v7, v9, v1
	;; [unrolled: 1-line block ×4, first 2 shown]
	v_cmp_gt_u32_e32 vcc, 48, v12
	s_waitcnt lgkmcnt(0)
	v_add_f64 v[0:1], v[0:1], v[6:7]
	v_cndmask_b32_e64 v6, 0, 1, vcc
	v_lshlrev_b32_e32 v6, 4, v6
	v_add_f64 v[4:5], v[4:5], v[8:9]
	v_add_lshl_u32 v9, v6, v11, 2
	ds_bpermute_b32 v6, v9, v0
	ds_bpermute_b32 v7, v9, v1
	;; [unrolled: 1-line block ×4, first 2 shown]
	v_cmp_gt_u32_e32 vcc, 56, v12
	s_barrier
	s_waitcnt lgkmcnt(2)
	v_add_f64 v[0:1], v[0:1], v[6:7]
	v_cndmask_b32_e64 v6, 0, 1, vcc
	v_lshlrev_b32_e32 v6, 3, v6
	s_waitcnt lgkmcnt(0)
	v_add_f64 v[4:5], v[4:5], v[8:9]
	v_add_lshl_u32 v9, v6, v11, 2
	ds_bpermute_b32 v6, v9, v0
	ds_bpermute_b32 v7, v9, v1
	;; [unrolled: 1-line block ×4, first 2 shown]
	v_cmp_gt_u32_e32 vcc, 60, v12
	s_waitcnt lgkmcnt(0)
	v_add_f64 v[0:1], v[0:1], v[6:7]
	v_cndmask_b32_e64 v6, 0, 1, vcc
	v_lshlrev_b32_e32 v6, 2, v6
	v_add_f64 v[4:5], v[4:5], v[8:9]
	v_add_lshl_u32 v9, v6, v11, 2
	ds_bpermute_b32 v6, v9, v0
	ds_bpermute_b32 v7, v9, v1
	;; [unrolled: 1-line block ×4, first 2 shown]
	v_cmp_gt_u32_e32 vcc, 62, v12
	s_waitcnt lgkmcnt(2)
	v_add_f64 v[0:1], v[0:1], v[6:7]
	v_cndmask_b32_e64 v6, 0, 1, vcc
	v_lshlrev_b32_e32 v6, 1, v6
	s_waitcnt lgkmcnt(0)
	v_add_f64 v[4:5], v[4:5], v[8:9]
	v_add_lshl_u32 v9, v6, v11, 2
	ds_bpermute_b32 v6, v9, v0
	ds_bpermute_b32 v7, v9, v1
	;; [unrolled: 1-line block ×4, first 2 shown]
	v_cmp_ne_u32_e32 vcc, 63, v12
	s_waitcnt lgkmcnt(2)
	v_add_f64 v[0:1], v[0:1], v[6:7]
	s_waitcnt lgkmcnt(0)
	v_add_f64 v[6:7], v[4:5], v[8:9]
	v_addc_co_u32_e32 v4, vcc, 0, v11, vcc
	v_lshlrev_b32_e32 v9, 2, v4
	ds_bpermute_b32 v4, v9, v0
	ds_bpermute_b32 v5, v9, v1
	ds_bpermute_b32 v8, v9, v6
	ds_bpermute_b32 v9, v9, v7
	v_cmp_eq_u32_e32 vcc, 0, v10
	s_and_b64 exec, exec, vcc
	s_cbranch_execz .LBB104_7
; %bb.6:
	v_lshlrev_b64 v[2:3], 4, v[2:3]
	v_mov_b32_e32 v11, s7
	v_add_co_u32_e32 v10, vcc, s6, v2
	v_addc_co_u32_e32 v11, vcc, v11, v3, vcc
	s_waitcnt lgkmcnt(0)
	v_add_f64 v[2:3], v[6:7], v[8:9]
	v_add_f64 v[0:1], v[0:1], v[4:5]
	global_store_dwordx4 v[10:11], v[0:3], off
.LBB104_7:
	s_endpgm
	.section	.rodata,"a",@progbits
	.p2align	6, 0x0
	.amdhsa_kernel _ZL28rocblas_dot_batched_4_kernelIlLi64ELi4ELb0E19rocblas_complex_numIdES1_PKS1_EviT5_lT_lS4_lS5_liPT4_
		.amdhsa_group_segment_fixed_size 0
		.amdhsa_private_segment_fixed_size 0
		.amdhsa_kernarg_size 88
		.amdhsa_user_sgpr_count 6
		.amdhsa_user_sgpr_private_segment_buffer 1
		.amdhsa_user_sgpr_dispatch_ptr 0
		.amdhsa_user_sgpr_queue_ptr 0
		.amdhsa_user_sgpr_kernarg_segment_ptr 1
		.amdhsa_user_sgpr_dispatch_id 0
		.amdhsa_user_sgpr_flat_scratch_init 0
		.amdhsa_user_sgpr_kernarg_preload_length 0
		.amdhsa_user_sgpr_kernarg_preload_offset 0
		.amdhsa_user_sgpr_private_segment_size 0
		.amdhsa_uses_dynamic_stack 0
		.amdhsa_system_sgpr_private_segment_wavefront_offset 0
		.amdhsa_system_sgpr_workgroup_id_x 1
		.amdhsa_system_sgpr_workgroup_id_y 0
		.amdhsa_system_sgpr_workgroup_id_z 0
		.amdhsa_system_sgpr_workgroup_info 0
		.amdhsa_system_vgpr_workitem_id 1
		.amdhsa_next_free_vgpr 24
		.amdhsa_next_free_sgpr 24
		.amdhsa_accum_offset 24
		.amdhsa_reserve_vcc 1
		.amdhsa_reserve_flat_scratch 0
		.amdhsa_float_round_mode_32 0
		.amdhsa_float_round_mode_16_64 0
		.amdhsa_float_denorm_mode_32 3
		.amdhsa_float_denorm_mode_16_64 3
		.amdhsa_dx10_clamp 1
		.amdhsa_ieee_mode 1
		.amdhsa_fp16_overflow 0
		.amdhsa_tg_split 0
		.amdhsa_exception_fp_ieee_invalid_op 0
		.amdhsa_exception_fp_denorm_src 0
		.amdhsa_exception_fp_ieee_div_zero 0
		.amdhsa_exception_fp_ieee_overflow 0
		.amdhsa_exception_fp_ieee_underflow 0
		.amdhsa_exception_fp_ieee_inexact 0
		.amdhsa_exception_int_div_zero 0
	.end_amdhsa_kernel
	.section	.text._ZL28rocblas_dot_batched_4_kernelIlLi64ELi4ELb0E19rocblas_complex_numIdES1_PKS1_EviT5_lT_lS4_lS5_liPT4_,"axG",@progbits,_ZL28rocblas_dot_batched_4_kernelIlLi64ELi4ELb0E19rocblas_complex_numIdES1_PKS1_EviT5_lT_lS4_lS5_liPT4_,comdat
.Lfunc_end104:
	.size	_ZL28rocblas_dot_batched_4_kernelIlLi64ELi4ELb0E19rocblas_complex_numIdES1_PKS1_EviT5_lT_lS4_lS5_liPT4_, .Lfunc_end104-_ZL28rocblas_dot_batched_4_kernelIlLi64ELi4ELb0E19rocblas_complex_numIdES1_PKS1_EviT5_lT_lS4_lS5_liPT4_
                                        ; -- End function
	.section	.AMDGPU.csdata,"",@progbits
; Kernel info:
; codeLenInByte = 1016
; NumSgprs: 28
; NumVgprs: 24
; NumAgprs: 0
; TotalNumVgprs: 24
; ScratchSize: 0
; MemoryBound: 0
; FloatMode: 240
; IeeeMode: 1
; LDSByteSize: 0 bytes/workgroup (compile time only)
; SGPRBlocks: 3
; VGPRBlocks: 2
; NumSGPRsForWavesPerEU: 28
; NumVGPRsForWavesPerEU: 24
; AccumOffset: 24
; Occupancy: 8
; WaveLimiterHint : 0
; COMPUTE_PGM_RSRC2:SCRATCH_EN: 0
; COMPUTE_PGM_RSRC2:USER_SGPR: 6
; COMPUTE_PGM_RSRC2:TRAP_HANDLER: 0
; COMPUTE_PGM_RSRC2:TGID_X_EN: 1
; COMPUTE_PGM_RSRC2:TGID_Y_EN: 0
; COMPUTE_PGM_RSRC2:TGID_Z_EN: 0
; COMPUTE_PGM_RSRC2:TIDIG_COMP_CNT: 1
; COMPUTE_PGM_RSRC3_GFX90A:ACCUM_OFFSET: 5
; COMPUTE_PGM_RSRC3_GFX90A:TG_SPLIT: 0
	.section	.text._ZL18rocblas_dot_kernelIlLb1ELi1024ELi32ELb0E19rocblas_complex_numIdEPKS1_S1_EviT5_lT_lS4_lS5_liPT6_PT4_,"axG",@progbits,_ZL18rocblas_dot_kernelIlLb1ELi1024ELi32ELb0E19rocblas_complex_numIdEPKS1_S1_EviT5_lT_lS4_lS5_liPT6_PT4_,comdat
	.globl	_ZL18rocblas_dot_kernelIlLb1ELi1024ELi32ELb0E19rocblas_complex_numIdEPKS1_S1_EviT5_lT_lS4_lS5_liPT6_PT4_ ; -- Begin function _ZL18rocblas_dot_kernelIlLb1ELi1024ELi32ELb0E19rocblas_complex_numIdEPKS1_S1_EviT5_lT_lS4_lS5_liPT6_PT4_
	.p2align	8
	.type	_ZL18rocblas_dot_kernelIlLb1ELi1024ELi32ELb0E19rocblas_complex_numIdEPKS1_S1_EviT5_lT_lS4_lS5_liPT6_PT4_,@function
_ZL18rocblas_dot_kernelIlLb1ELi1024ELi32ELb0E19rocblas_complex_numIdEPKS1_S1_EviT5_lT_lS4_lS5_liPT6_PT4_: ; @_ZL18rocblas_dot_kernelIlLb1ELi1024ELi32ELb0E19rocblas_complex_numIdEPKS1_S1_EviT5_lT_lS4_lS5_liPT6_PT4_
; %bb.0:
	s_mov_b32 s2, s7
	s_load_dword s18, s[4:5], 0x0
	s_load_dwordx2 s[6:7], s[4:5], 0x58
	v_pk_mov_b32 v[2:3], 0, 0
	s_mov_b32 s3, 0
	v_pk_mov_b32 v[6:7], v[2:3], v[2:3] op_sel:[0,1]
	s_waitcnt lgkmcnt(0)
	v_cmp_gt_i32_e32 vcc, s18, v0
	s_and_saveexec_b64 s[16:17], vcc
	s_cbranch_execz .LBB105_4
; %bb.1:
	s_load_dword s19, s[4:5], 0x60
	s_load_dwordx2 s[0:1], s[4:5], 0x40
	s_load_dwordx8 s[8:15], s[4:5], 0x20
	s_load_dwordx2 s[24:25], s[4:5], 0x8
	s_load_dwordx4 s[20:23], s[4:5], 0x10
	s_waitcnt lgkmcnt(0)
	s_lshl_b32 s19, s19, 10
	s_mul_i32 s1, s1, s2
	s_mul_i32 s4, s9, s2
	s_mul_hi_u32 s5, s8, s2
	s_add_i32 s5, s5, s4
	s_mul_i32 s4, s8, s2
	v_mad_u64_u32 v[2:3], s[8:9], s22, v0, 0
	v_mov_b32_e32 v4, v3
	v_mad_u64_u32 v[4:5], s[8:9], s23, v0, v[4:5]
	s_lshl_b64 s[4:5], s[4:5], 4
	s_lshl_b64 s[8:9], s[20:21], 4
	s_add_u32 s8, s24, s8
	s_addc_u32 s9, s25, s9
	v_mov_b32_e32 v3, v4
	s_add_u32 s4, s8, s4
	v_lshlrev_b64 v[2:3], 4, v[2:3]
	s_addc_u32 s5, s9, s5
	v_mov_b32_e32 v4, s5
	v_add_co_u32_e32 v2, vcc, s4, v2
	v_addc_co_u32_e32 v3, vcc, v4, v3, vcc
	v_add_co_u32_e32 v4, vcc, 8, v2
	s_ashr_i32 s20, s19, 31
	s_mul_hi_u32 s8, s0, s2
	v_addc_co_u32_e32 v5, vcc, 0, v3, vcc
	s_mul_i32 s4, s22, s20
	s_mul_hi_u32 s5, s22, s19
	s_add_i32 s1, s8, s1
	v_mad_u64_u32 v[2:3], s[8:9], s14, v0, 0
	s_add_i32 s4, s5, s4
	s_mul_i32 s5, s23, s19
	v_mov_b32_e32 v6, v3
	s_add_i32 s5, s4, s5
	s_mul_i32 s4, s22, s19
	s_mul_i32 s0, s0, s2
	v_mad_u64_u32 v[6:7], s[8:9], s15, v0, v[6:7]
	s_lshl_b64 s[4:5], s[4:5], 4
	s_lshl_b64 s[0:1], s[0:1], 4
	s_lshl_b64 s[8:9], s[12:13], 4
	s_add_u32 s8, s10, s8
	s_addc_u32 s9, s11, s9
	v_mov_b32_e32 v3, v6
	s_add_u32 s0, s8, s0
	v_lshlrev_b64 v[2:3], 4, v[2:3]
	s_addc_u32 s1, s9, s1
	v_mov_b32_e32 v6, s1
	v_add_co_u32_e32 v2, vcc, s0, v2
	s_mul_i32 s0, s14, s20
	s_mul_hi_u32 s1, s14, s19
	v_addc_co_u32_e32 v3, vcc, v6, v3, vcc
	s_add_i32 s0, s1, s0
	s_mul_i32 s1, s15, s19
	v_add_co_u32_e32 v8, vcc, 8, v2
	s_add_i32 s1, s0, s1
	s_mul_i32 s0, s14, s19
	v_addc_co_u32_e32 v9, vcc, 0, v3, vcc
	s_lshl_b64 s[10:11], s[0:1], 4
	v_pk_mov_b32 v[2:3], 0, 0
	v_or_b32_e32 v1, s19, v0
	s_mov_b64 s[8:9], 0
	v_mov_b32_e32 v10, s5
	v_mov_b32_e32 v11, s11
	s_mov_b32 s5, s3
	v_pk_mov_b32 v[6:7], v[2:3], v[2:3] op_sel:[0,1]
.LBB105_2:                              ; =>This Inner Loop Header: Depth=1
	global_load_dwordx4 v[12:15], v[8:9], off offset:-8
	global_load_dwordx4 v[16:19], v[4:5], off offset:-8
	v_add_co_u32_e64 v4, s[0:1], s4, v4
	v_addc_co_u32_e64 v5, s[0:1], v5, v10, s[0:1]
	s_add_i32 s11, s5, 1
	v_add_co_u32_e64 v8, s[0:1], s10, v8
	v_addc_co_u32_e64 v9, s[0:1], v9, v11, s[0:1]
	s_cmp_gt_u32 s5, 30
	v_cmp_le_i32_e32 vcc, s18, v1
	s_cselect_b64 s[0:1], -1, 0
	s_or_b64 s[0:1], s[0:1], vcc
	s_and_b64 s[0:1], exec, s[0:1]
	v_add_u32_e32 v1, s19, v1
	s_mov_b32 s5, s11
	s_or_b64 s[8:9], s[0:1], s[8:9]
	s_waitcnt vmcnt(0)
	v_mul_f64 v[20:21], v[14:15], v[18:19]
	v_mul_f64 v[18:19], v[12:13], v[18:19]
	v_fma_f64 v[12:13], v[12:13], v[16:17], -v[20:21]
	v_fmac_f64_e32 v[18:19], v[14:15], v[16:17]
	v_add_f64 v[6:7], v[6:7], v[12:13]
	v_add_f64 v[2:3], v[2:3], v[18:19]
	s_andn2_b64 exec, exec, s[8:9]
	s_cbranch_execnz .LBB105_2
; %bb.3:
	s_or_b64 exec, exec, s[8:9]
.LBB105_4:
	s_or_b64 exec, exec, s[16:17]
	v_and_b32_e32 v13, 63, v0
	v_cmp_gt_u32_e32 vcc, 64, v0
	v_lshlrev_b32_e32 v1, 4, v13
	s_and_saveexec_b64 s[0:1], vcc
	s_cbranch_execz .LBB105_6
; %bb.5:
	v_mov_b32_e32 v8, 0
	v_mov_b32_e32 v9, v8
	;; [unrolled: 1-line block ×4, first 2 shown]
	ds_write_b128 v1, v[8:11]
.LBB105_6:
	s_or_b64 exec, exec, s[0:1]
	v_mbcnt_lo_u32_b32 v4, -1, 0
	v_mbcnt_hi_u32_b32 v14, -1, v4
	v_and_b32_e32 v15, 63, v14
	v_cmp_gt_u32_e64 s[0:1], 32, v15
	v_cndmask_b32_e64 v4, 0, 1, s[0:1]
	v_lshlrev_b32_e32 v4, 5, v4
	v_add_lshl_u32 v9, v4, v14, 2
	ds_bpermute_b32 v4, v9, v6
	ds_bpermute_b32 v5, v9, v7
	;; [unrolled: 1-line block ×4, first 2 shown]
	v_cmp_gt_u32_e64 s[0:1], 48, v15
	s_waitcnt lgkmcnt(0)
	v_add_f64 v[4:5], v[6:7], v[4:5]
	v_cndmask_b32_e64 v6, 0, 1, s[0:1]
	v_lshlrev_b32_e32 v6, 4, v6
	v_add_f64 v[2:3], v[2:3], v[8:9]
	v_add_lshl_u32 v9, v6, v14, 2
	ds_bpermute_b32 v6, v9, v4
	ds_bpermute_b32 v7, v9, v5
	;; [unrolled: 1-line block ×4, first 2 shown]
	v_cmp_gt_u32_e64 s[0:1], 56, v15
	s_barrier
	s_waitcnt lgkmcnt(2)
	v_add_f64 v[4:5], v[4:5], v[6:7]
	v_cndmask_b32_e64 v6, 0, 1, s[0:1]
	v_lshlrev_b32_e32 v6, 3, v6
	v_add_lshl_u32 v10, v6, v14, 2
	ds_bpermute_b32 v6, v10, v4
	ds_bpermute_b32 v7, v10, v5
	s_waitcnt lgkmcnt(2)
	v_add_f64 v[2:3], v[2:3], v[8:9]
	ds_bpermute_b32 v8, v10, v2
	ds_bpermute_b32 v9, v10, v3
	v_cmp_gt_u32_e64 s[0:1], 60, v15
	s_waitcnt lgkmcnt(2)
	v_add_f64 v[4:5], v[4:5], v[6:7]
	v_cndmask_b32_e64 v6, 0, 1, s[0:1]
	v_lshlrev_b32_e32 v6, 2, v6
	s_waitcnt lgkmcnt(0)
	v_add_f64 v[2:3], v[2:3], v[8:9]
	v_add_lshl_u32 v11, v6, v14, 2
	ds_bpermute_b32 v6, v11, v4
	ds_bpermute_b32 v7, v11, v5
	;; [unrolled: 1-line block ×4, first 2 shown]
	v_cmp_gt_u32_e64 s[0:1], 62, v15
	s_waitcnt lgkmcnt(0)
	v_add_f64 v[4:5], v[4:5], v[6:7]
	v_add_f64 v[6:7], v[2:3], v[8:9]
	v_cndmask_b32_e64 v2, 0, 1, s[0:1]
	v_lshlrev_b32_e32 v2, 1, v2
	v_add_lshl_u32 v12, v2, v14, 2
	ds_bpermute_b32 v2, v12, v4
	ds_bpermute_b32 v3, v12, v5
	;; [unrolled: 1-line block ×4, first 2 shown]
	v_cmp_ne_u32_e64 s[0:1], 63, v15
	s_waitcnt lgkmcnt(2)
	v_add_f64 v[2:3], v[4:5], v[2:3]
	v_addc_co_u32_e64 v4, s[0:1], 0, v14, s[0:1]
	s_waitcnt lgkmcnt(0)
	v_add_f64 v[6:7], v[6:7], v[8:9]
	v_lshlrev_b32_e32 v14, 2, v4
	ds_bpermute_b32 v4, v14, v2
	ds_bpermute_b32 v5, v14, v3
	;; [unrolled: 1-line block ×4, first 2 shown]
	v_cmp_eq_u32_e64 s[0:1], 0, v13
	s_and_saveexec_b64 s[4:5], s[0:1]
	s_cbranch_execz .LBB105_8
; %bb.7:
	v_lshrrev_b32_e32 v13, 2, v0
	v_and_b32_e32 v13, 0xf0, v13
	s_waitcnt lgkmcnt(0)
	v_add_f64 v[6:7], v[6:7], v[8:9]
	v_add_f64 v[4:5], v[2:3], v[4:5]
	ds_write_b128 v13, v[4:7]
.LBB105_8:
	s_or_b64 exec, exec, s[4:5]
	s_waitcnt lgkmcnt(2)
	v_pk_mov_b32 v[4:5], 0, 0
	v_cmp_gt_u32_e64 s[0:1], 16, v0
	v_pk_mov_b32 v[2:3], v[4:5], v[4:5] op_sel:[0,1]
	s_waitcnt lgkmcnt(0)
	s_barrier
	s_and_saveexec_b64 s[4:5], s[0:1]
	s_cbranch_execnz .LBB105_12
; %bb.9:
	s_or_b64 exec, exec, s[4:5]
	s_and_saveexec_b64 s[0:1], vcc
	s_cbranch_execnz .LBB105_13
.LBB105_10:
	s_or_b64 exec, exec, s[0:1]
	v_cmp_eq_u32_e32 vcc, 0, v0
	s_and_saveexec_b64 s[0:1], vcc
	s_cbranch_execnz .LBB105_14
.LBB105_11:
	s_endpgm
.LBB105_12:
	ds_read_b128 v[2:5], v1
	s_or_b64 exec, exec, s[4:5]
	s_and_saveexec_b64 s[0:1], vcc
	s_cbranch_execz .LBB105_10
.LBB105_13:
	s_waitcnt lgkmcnt(0)
	ds_bpermute_b32 v6, v10, v2
	ds_bpermute_b32 v7, v10, v3
	ds_bpermute_b32 v8, v10, v4
	ds_bpermute_b32 v9, v10, v5
	s_waitcnt lgkmcnt(2)
	v_add_f64 v[2:3], v[2:3], v[6:7]
	ds_bpermute_b32 v6, v11, v2
	s_waitcnt lgkmcnt(1)
	v_add_f64 v[4:5], v[4:5], v[8:9]
	ds_bpermute_b32 v7, v11, v3
	ds_bpermute_b32 v8, v11, v4
	ds_bpermute_b32 v9, v11, v5
	s_waitcnt lgkmcnt(2)
	v_add_f64 v[2:3], v[2:3], v[6:7]
	ds_bpermute_b32 v6, v12, v2
	s_waitcnt lgkmcnt(1)
	v_add_f64 v[4:5], v[4:5], v[8:9]
	ds_bpermute_b32 v7, v12, v3
	ds_bpermute_b32 v8, v12, v4
	ds_bpermute_b32 v9, v12, v5
	;; [unrolled: 8-line block ×3, first 2 shown]
	s_waitcnt lgkmcnt(2)
	v_add_f64 v[2:3], v[2:3], v[6:7]
	s_waitcnt lgkmcnt(0)
	v_add_f64 v[4:5], v[4:5], v[8:9]
	s_or_b64 exec, exec, s[0:1]
	v_cmp_eq_u32_e32 vcc, 0, v0
	s_and_saveexec_b64 s[0:1], vcc
	s_cbranch_execz .LBB105_11
.LBB105_14:
	s_lshl_b64 s[0:1], s[2:3], 4
	s_add_u32 s0, s6, s0
	s_addc_u32 s1, s7, s1
	v_mov_b32_e32 v0, 0
	s_waitcnt lgkmcnt(0)
	global_store_dwordx4 v0, v[2:5], s[0:1]
	s_endpgm
	.section	.rodata,"a",@progbits
	.p2align	6, 0x0
	.amdhsa_kernel _ZL18rocblas_dot_kernelIlLb1ELi1024ELi32ELb0E19rocblas_complex_numIdEPKS1_S1_EviT5_lT_lS4_lS5_liPT6_PT4_
		.amdhsa_group_segment_fixed_size 1024
		.amdhsa_private_segment_fixed_size 0
		.amdhsa_kernarg_size 352
		.amdhsa_user_sgpr_count 6
		.amdhsa_user_sgpr_private_segment_buffer 1
		.amdhsa_user_sgpr_dispatch_ptr 0
		.amdhsa_user_sgpr_queue_ptr 0
		.amdhsa_user_sgpr_kernarg_segment_ptr 1
		.amdhsa_user_sgpr_dispatch_id 0
		.amdhsa_user_sgpr_flat_scratch_init 0
		.amdhsa_user_sgpr_kernarg_preload_length 0
		.amdhsa_user_sgpr_kernarg_preload_offset 0
		.amdhsa_user_sgpr_private_segment_size 0
		.amdhsa_uses_dynamic_stack 0
		.amdhsa_system_sgpr_private_segment_wavefront_offset 0
		.amdhsa_system_sgpr_workgroup_id_x 1
		.amdhsa_system_sgpr_workgroup_id_y 0
		.amdhsa_system_sgpr_workgroup_id_z 1
		.amdhsa_system_sgpr_workgroup_info 0
		.amdhsa_system_vgpr_workitem_id 0
		.amdhsa_next_free_vgpr 22
		.amdhsa_next_free_sgpr 26
		.amdhsa_accum_offset 24
		.amdhsa_reserve_vcc 1
		.amdhsa_reserve_flat_scratch 0
		.amdhsa_float_round_mode_32 0
		.amdhsa_float_round_mode_16_64 0
		.amdhsa_float_denorm_mode_32 3
		.amdhsa_float_denorm_mode_16_64 3
		.amdhsa_dx10_clamp 1
		.amdhsa_ieee_mode 1
		.amdhsa_fp16_overflow 0
		.amdhsa_tg_split 0
		.amdhsa_exception_fp_ieee_invalid_op 0
		.amdhsa_exception_fp_denorm_src 0
		.amdhsa_exception_fp_ieee_div_zero 0
		.amdhsa_exception_fp_ieee_overflow 0
		.amdhsa_exception_fp_ieee_underflow 0
		.amdhsa_exception_fp_ieee_inexact 0
		.amdhsa_exception_int_div_zero 0
	.end_amdhsa_kernel
	.section	.text._ZL18rocblas_dot_kernelIlLb1ELi1024ELi32ELb0E19rocblas_complex_numIdEPKS1_S1_EviT5_lT_lS4_lS5_liPT6_PT4_,"axG",@progbits,_ZL18rocblas_dot_kernelIlLb1ELi1024ELi32ELb0E19rocblas_complex_numIdEPKS1_S1_EviT5_lT_lS4_lS5_liPT6_PT4_,comdat
.Lfunc_end105:
	.size	_ZL18rocblas_dot_kernelIlLb1ELi1024ELi32ELb0E19rocblas_complex_numIdEPKS1_S1_EviT5_lT_lS4_lS5_liPT6_PT4_, .Lfunc_end105-_ZL18rocblas_dot_kernelIlLb1ELi1024ELi32ELb0E19rocblas_complex_numIdEPKS1_S1_EviT5_lT_lS4_lS5_liPT6_PT4_
                                        ; -- End function
	.section	.AMDGPU.csdata,"",@progbits
; Kernel info:
; codeLenInByte = 1500
; NumSgprs: 30
; NumVgprs: 22
; NumAgprs: 0
; TotalNumVgprs: 22
; ScratchSize: 0
; MemoryBound: 0
; FloatMode: 240
; IeeeMode: 1
; LDSByteSize: 1024 bytes/workgroup (compile time only)
; SGPRBlocks: 3
; VGPRBlocks: 2
; NumSGPRsForWavesPerEU: 30
; NumVGPRsForWavesPerEU: 22
; AccumOffset: 24
; Occupancy: 8
; WaveLimiterHint : 0
; COMPUTE_PGM_RSRC2:SCRATCH_EN: 0
; COMPUTE_PGM_RSRC2:USER_SGPR: 6
; COMPUTE_PGM_RSRC2:TRAP_HANDLER: 0
; COMPUTE_PGM_RSRC2:TGID_X_EN: 1
; COMPUTE_PGM_RSRC2:TGID_Y_EN: 0
; COMPUTE_PGM_RSRC2:TGID_Z_EN: 1
; COMPUTE_PGM_RSRC2:TIDIG_COMP_CNT: 0
; COMPUTE_PGM_RSRC3_GFX90A:ACCUM_OFFSET: 5
; COMPUTE_PGM_RSRC3_GFX90A:TG_SPLIT: 0
	.section	.text._ZL24rocblas_dot_kernel_magsqIlLb1ELi1024ELi32ELb0E19rocblas_complex_numIdEPKS1_S1_EviT5_lT_liPT6_PT4_,"axG",@progbits,_ZL24rocblas_dot_kernel_magsqIlLb1ELi1024ELi32ELb0E19rocblas_complex_numIdEPKS1_S1_EviT5_lT_liPT6_PT4_,comdat
	.globl	_ZL24rocblas_dot_kernel_magsqIlLb1ELi1024ELi32ELb0E19rocblas_complex_numIdEPKS1_S1_EviT5_lT_liPT6_PT4_ ; -- Begin function _ZL24rocblas_dot_kernel_magsqIlLb1ELi1024ELi32ELb0E19rocblas_complex_numIdEPKS1_S1_EviT5_lT_liPT6_PT4_
	.p2align	8
	.type	_ZL24rocblas_dot_kernel_magsqIlLb1ELi1024ELi32ELb0E19rocblas_complex_numIdEPKS1_S1_EviT5_lT_liPT6_PT4_,@function
_ZL24rocblas_dot_kernel_magsqIlLb1ELi1024ELi32ELb0E19rocblas_complex_numIdEPKS1_S1_EviT5_lT_liPT6_PT4_: ; @_ZL24rocblas_dot_kernel_magsqIlLb1ELi1024ELi32ELb0E19rocblas_complex_numIdEPKS1_S1_EviT5_lT_liPT6_PT4_
; %bb.0:
	s_mov_b32 s2, s7
	s_load_dword s12, s[4:5], 0x0
	s_load_dwordx2 s[6:7], s[4:5], 0x38
	v_pk_mov_b32 v[2:3], 0, 0
	s_mov_b32 s3, 0
	v_pk_mov_b32 v[4:5], v[2:3], v[2:3] op_sel:[0,1]
	s_waitcnt lgkmcnt(0)
	v_cmp_gt_i32_e32 vcc, s12, v0
	s_and_saveexec_b64 s[8:9], vcc
	s_cbranch_execz .LBB106_4
; %bb.1:
	s_load_dword s13, s[4:5], 0x40
	s_load_dwordx2 s[0:1], s[4:5], 0x20
	s_load_dwordx2 s[10:11], s[4:5], 0x8
	s_load_dwordx4 s[16:19], s[4:5], 0x10
	s_waitcnt lgkmcnt(0)
	s_lshl_b32 s13, s13, 10
	s_mul_i32 s1, s1, s2
	s_mul_hi_u32 s4, s0, s2
	s_add_i32 s1, s4, s1
	v_mad_u64_u32 v[2:3], s[4:5], s18, v0, 0
	v_mov_b32_e32 v4, v3
	s_mul_i32 s0, s0, s2
	v_mad_u64_u32 v[4:5], s[4:5], s19, v0, v[4:5]
	s_lshl_b64 s[0:1], s[0:1], 4
	s_lshl_b64 s[4:5], s[16:17], 4
	s_add_u32 s4, s10, s4
	v_mov_b32_e32 v3, v4
	s_addc_u32 s5, s11, s5
	v_lshlrev_b64 v[2:3], 4, v[2:3]
	s_add_u32 s0, s4, s0
	s_addc_u32 s1, s5, s1
	v_add_co_u32_e32 v6, vcc, s0, v2
	s_ashr_i32 s0, s13, 31
	v_mov_b32_e32 v4, s1
	s_mul_i32 s0, s18, s0
	s_mul_hi_u32 s1, s18, s13
	s_add_i32 s0, s1, s0
	s_mul_i32 s1, s19, s13
	s_add_i32 s1, s0, s1
	s_mul_i32 s0, s18, s13
	v_addc_co_u32_e32 v7, vcc, v4, v3, vcc
	s_lshl_b64 s[10:11], s[0:1], 4
	v_pk_mov_b32 v[2:3], 0, 0
	v_or_b32_e32 v1, s13, v0
	s_mov_b64 s[4:5], 0
	v_mov_b32_e32 v8, s11
	s_mov_b32 s11, s3
	v_pk_mov_b32 v[4:5], v[2:3], v[2:3] op_sel:[0,1]
.LBB106_2:                              ; =>This Inner Loop Header: Depth=1
	global_load_dwordx4 v[10:13], v[6:7], off
	s_add_i32 s14, s11, 1
	v_add_co_u32_e64 v6, s[0:1], s10, v6
	v_addc_co_u32_e64 v7, s[0:1], v7, v8, s[0:1]
	s_cmp_gt_u32 s11, 30
	v_cmp_le_i32_e32 vcc, s12, v1
	s_cselect_b64 s[0:1], -1, 0
	s_or_b64 s[0:1], s[0:1], vcc
	s_and_b64 s[0:1], exec, s[0:1]
	v_add_u32_e32 v1, s13, v1
	s_mov_b32 s11, s14
	s_or_b64 s[4:5], s[0:1], s[4:5]
	s_waitcnt vmcnt(0)
	v_mul_f64 v[14:15], v[12:13], v[12:13]
	v_mul_f64 v[12:13], v[10:11], v[12:13]
	v_fma_f64 v[10:11], v[10:11], v[10:11], -v[14:15]
	v_fmac_f64_e32 v[2:3], 2.0, v[12:13]
	v_add_f64 v[4:5], v[4:5], v[10:11]
	s_andn2_b64 exec, exec, s[4:5]
	s_cbranch_execnz .LBB106_2
; %bb.3:
	s_or_b64 exec, exec, s[4:5]
.LBB106_4:
	s_or_b64 exec, exec, s[8:9]
	v_and_b32_e32 v13, 63, v0
	v_cmp_gt_u32_e32 vcc, 64, v0
	v_lshlrev_b32_e32 v1, 4, v13
	s_and_saveexec_b64 s[0:1], vcc
	s_cbranch_execz .LBB106_6
; %bb.5:
	v_mov_b32_e32 v6, 0
	v_mov_b32_e32 v7, v6
	;; [unrolled: 1-line block ×4, first 2 shown]
	ds_write_b128 v1, v[6:9]
.LBB106_6:
	s_or_b64 exec, exec, s[0:1]
	v_mbcnt_lo_u32_b32 v6, -1, 0
	v_mbcnt_hi_u32_b32 v14, -1, v6
	v_and_b32_e32 v15, 63, v14
	v_cmp_gt_u32_e64 s[0:1], 32, v15
	v_cndmask_b32_e64 v6, 0, 1, s[0:1]
	v_lshlrev_b32_e32 v6, 5, v6
	v_add_lshl_u32 v9, v6, v14, 2
	ds_bpermute_b32 v6, v9, v4
	ds_bpermute_b32 v7, v9, v5
	;; [unrolled: 1-line block ×4, first 2 shown]
	v_cmp_gt_u32_e64 s[0:1], 48, v15
	s_waitcnt lgkmcnt(0)
	v_add_f64 v[4:5], v[4:5], v[6:7]
	v_cndmask_b32_e64 v6, 0, 1, s[0:1]
	v_lshlrev_b32_e32 v6, 4, v6
	v_add_f64 v[2:3], v[2:3], v[8:9]
	v_add_lshl_u32 v9, v6, v14, 2
	ds_bpermute_b32 v6, v9, v4
	ds_bpermute_b32 v7, v9, v5
	;; [unrolled: 1-line block ×4, first 2 shown]
	v_cmp_gt_u32_e64 s[0:1], 56, v15
	s_barrier
	s_waitcnt lgkmcnt(2)
	v_add_f64 v[4:5], v[4:5], v[6:7]
	v_cndmask_b32_e64 v6, 0, 1, s[0:1]
	v_lshlrev_b32_e32 v6, 3, v6
	v_add_lshl_u32 v10, v6, v14, 2
	ds_bpermute_b32 v6, v10, v4
	ds_bpermute_b32 v7, v10, v5
	s_waitcnt lgkmcnt(2)
	v_add_f64 v[2:3], v[2:3], v[8:9]
	ds_bpermute_b32 v8, v10, v2
	ds_bpermute_b32 v9, v10, v3
	v_cmp_gt_u32_e64 s[0:1], 60, v15
	s_waitcnt lgkmcnt(2)
	v_add_f64 v[4:5], v[4:5], v[6:7]
	v_cndmask_b32_e64 v6, 0, 1, s[0:1]
	v_lshlrev_b32_e32 v6, 2, v6
	s_waitcnt lgkmcnt(0)
	v_add_f64 v[2:3], v[2:3], v[8:9]
	v_add_lshl_u32 v11, v6, v14, 2
	ds_bpermute_b32 v6, v11, v4
	ds_bpermute_b32 v7, v11, v5
	;; [unrolled: 1-line block ×4, first 2 shown]
	v_cmp_gt_u32_e64 s[0:1], 62, v15
	s_waitcnt lgkmcnt(0)
	v_add_f64 v[4:5], v[4:5], v[6:7]
	v_add_f64 v[6:7], v[2:3], v[8:9]
	v_cndmask_b32_e64 v2, 0, 1, s[0:1]
	v_lshlrev_b32_e32 v2, 1, v2
	v_add_lshl_u32 v12, v2, v14, 2
	ds_bpermute_b32 v2, v12, v4
	ds_bpermute_b32 v3, v12, v5
	ds_bpermute_b32 v8, v12, v6
	ds_bpermute_b32 v9, v12, v7
	v_cmp_ne_u32_e64 s[0:1], 63, v15
	s_waitcnt lgkmcnt(2)
	v_add_f64 v[2:3], v[4:5], v[2:3]
	v_addc_co_u32_e64 v4, s[0:1], 0, v14, s[0:1]
	s_waitcnt lgkmcnt(0)
	v_add_f64 v[6:7], v[6:7], v[8:9]
	v_lshlrev_b32_e32 v14, 2, v4
	ds_bpermute_b32 v4, v14, v2
	ds_bpermute_b32 v5, v14, v3
	;; [unrolled: 1-line block ×4, first 2 shown]
	v_cmp_eq_u32_e64 s[0:1], 0, v13
	s_and_saveexec_b64 s[4:5], s[0:1]
	s_cbranch_execz .LBB106_8
; %bb.7:
	v_lshrrev_b32_e32 v13, 2, v0
	v_and_b32_e32 v13, 0xf0, v13
	s_waitcnt lgkmcnt(0)
	v_add_f64 v[6:7], v[6:7], v[8:9]
	v_add_f64 v[4:5], v[2:3], v[4:5]
	ds_write_b128 v13, v[4:7]
.LBB106_8:
	s_or_b64 exec, exec, s[4:5]
	s_waitcnt lgkmcnt(2)
	v_pk_mov_b32 v[4:5], 0, 0
	v_cmp_gt_u32_e64 s[0:1], 16, v0
	v_pk_mov_b32 v[2:3], v[4:5], v[4:5] op_sel:[0,1]
	s_waitcnt lgkmcnt(0)
	s_barrier
	s_and_saveexec_b64 s[4:5], s[0:1]
	s_cbranch_execnz .LBB106_12
; %bb.9:
	s_or_b64 exec, exec, s[4:5]
	s_and_saveexec_b64 s[0:1], vcc
	s_cbranch_execnz .LBB106_13
.LBB106_10:
	s_or_b64 exec, exec, s[0:1]
	v_cmp_eq_u32_e32 vcc, 0, v0
	s_and_saveexec_b64 s[0:1], vcc
	s_cbranch_execnz .LBB106_14
.LBB106_11:
	s_endpgm
.LBB106_12:
	ds_read_b128 v[2:5], v1
	s_or_b64 exec, exec, s[4:5]
	s_and_saveexec_b64 s[0:1], vcc
	s_cbranch_execz .LBB106_10
.LBB106_13:
	s_waitcnt lgkmcnt(0)
	ds_bpermute_b32 v6, v10, v2
	ds_bpermute_b32 v7, v10, v3
	;; [unrolled: 1-line block ×4, first 2 shown]
	s_waitcnt lgkmcnt(2)
	v_add_f64 v[2:3], v[2:3], v[6:7]
	ds_bpermute_b32 v6, v11, v2
	s_waitcnt lgkmcnt(1)
	v_add_f64 v[4:5], v[4:5], v[8:9]
	ds_bpermute_b32 v7, v11, v3
	ds_bpermute_b32 v8, v11, v4
	ds_bpermute_b32 v9, v11, v5
	s_waitcnt lgkmcnt(2)
	v_add_f64 v[2:3], v[2:3], v[6:7]
	ds_bpermute_b32 v6, v12, v2
	s_waitcnt lgkmcnt(1)
	v_add_f64 v[4:5], v[4:5], v[8:9]
	ds_bpermute_b32 v7, v12, v3
	ds_bpermute_b32 v8, v12, v4
	ds_bpermute_b32 v9, v12, v5
	;; [unrolled: 8-line block ×3, first 2 shown]
	s_waitcnt lgkmcnt(2)
	v_add_f64 v[2:3], v[2:3], v[6:7]
	s_waitcnt lgkmcnt(0)
	v_add_f64 v[4:5], v[4:5], v[8:9]
	s_or_b64 exec, exec, s[0:1]
	v_cmp_eq_u32_e32 vcc, 0, v0
	s_and_saveexec_b64 s[0:1], vcc
	s_cbranch_execz .LBB106_11
.LBB106_14:
	s_lshl_b64 s[0:1], s[2:3], 4
	s_add_u32 s0, s6, s0
	s_addc_u32 s1, s7, s1
	v_mov_b32_e32 v0, 0
	s_waitcnt lgkmcnt(0)
	global_store_dwordx4 v0, v[2:5], s[0:1]
	s_endpgm
	.section	.rodata,"a",@progbits
	.p2align	6, 0x0
	.amdhsa_kernel _ZL24rocblas_dot_kernel_magsqIlLb1ELi1024ELi32ELb0E19rocblas_complex_numIdEPKS1_S1_EviT5_lT_liPT6_PT4_
		.amdhsa_group_segment_fixed_size 1024
		.amdhsa_private_segment_fixed_size 0
		.amdhsa_kernarg_size 320
		.amdhsa_user_sgpr_count 6
		.amdhsa_user_sgpr_private_segment_buffer 1
		.amdhsa_user_sgpr_dispatch_ptr 0
		.amdhsa_user_sgpr_queue_ptr 0
		.amdhsa_user_sgpr_kernarg_segment_ptr 1
		.amdhsa_user_sgpr_dispatch_id 0
		.amdhsa_user_sgpr_flat_scratch_init 0
		.amdhsa_user_sgpr_kernarg_preload_length 0
		.amdhsa_user_sgpr_kernarg_preload_offset 0
		.amdhsa_user_sgpr_private_segment_size 0
		.amdhsa_uses_dynamic_stack 0
		.amdhsa_system_sgpr_private_segment_wavefront_offset 0
		.amdhsa_system_sgpr_workgroup_id_x 1
		.amdhsa_system_sgpr_workgroup_id_y 0
		.amdhsa_system_sgpr_workgroup_id_z 1
		.amdhsa_system_sgpr_workgroup_info 0
		.amdhsa_system_vgpr_workitem_id 0
		.amdhsa_next_free_vgpr 16
		.amdhsa_next_free_sgpr 20
		.amdhsa_accum_offset 16
		.amdhsa_reserve_vcc 1
		.amdhsa_reserve_flat_scratch 0
		.amdhsa_float_round_mode_32 0
		.amdhsa_float_round_mode_16_64 0
		.amdhsa_float_denorm_mode_32 3
		.amdhsa_float_denorm_mode_16_64 3
		.amdhsa_dx10_clamp 1
		.amdhsa_ieee_mode 1
		.amdhsa_fp16_overflow 0
		.amdhsa_tg_split 0
		.amdhsa_exception_fp_ieee_invalid_op 0
		.amdhsa_exception_fp_denorm_src 0
		.amdhsa_exception_fp_ieee_div_zero 0
		.amdhsa_exception_fp_ieee_overflow 0
		.amdhsa_exception_fp_ieee_underflow 0
		.amdhsa_exception_fp_ieee_inexact 0
		.amdhsa_exception_int_div_zero 0
	.end_amdhsa_kernel
	.section	.text._ZL24rocblas_dot_kernel_magsqIlLb1ELi1024ELi32ELb0E19rocblas_complex_numIdEPKS1_S1_EviT5_lT_liPT6_PT4_,"axG",@progbits,_ZL24rocblas_dot_kernel_magsqIlLb1ELi1024ELi32ELb0E19rocblas_complex_numIdEPKS1_S1_EviT5_lT_liPT6_PT4_,comdat
.Lfunc_end106:
	.size	_ZL24rocblas_dot_kernel_magsqIlLb1ELi1024ELi32ELb0E19rocblas_complex_numIdEPKS1_S1_EviT5_lT_liPT6_PT4_, .Lfunc_end106-_ZL24rocblas_dot_kernel_magsqIlLb1ELi1024ELi32ELb0E19rocblas_complex_numIdEPKS1_S1_EviT5_lT_liPT6_PT4_
                                        ; -- End function
	.section	.AMDGPU.csdata,"",@progbits
; Kernel info:
; codeLenInByte = 1328
; NumSgprs: 24
; NumVgprs: 16
; NumAgprs: 0
; TotalNumVgprs: 16
; ScratchSize: 0
; MemoryBound: 0
; FloatMode: 240
; IeeeMode: 1
; LDSByteSize: 1024 bytes/workgroup (compile time only)
; SGPRBlocks: 2
; VGPRBlocks: 1
; NumSGPRsForWavesPerEU: 24
; NumVGPRsForWavesPerEU: 16
; AccumOffset: 16
; Occupancy: 8
; WaveLimiterHint : 0
; COMPUTE_PGM_RSRC2:SCRATCH_EN: 0
; COMPUTE_PGM_RSRC2:USER_SGPR: 6
; COMPUTE_PGM_RSRC2:TRAP_HANDLER: 0
; COMPUTE_PGM_RSRC2:TGID_X_EN: 1
; COMPUTE_PGM_RSRC2:TGID_Y_EN: 0
; COMPUTE_PGM_RSRC2:TGID_Z_EN: 1
; COMPUTE_PGM_RSRC2:TIDIG_COMP_CNT: 0
; COMPUTE_PGM_RSRC3_GFX90A:ACCUM_OFFSET: 3
; COMPUTE_PGM_RSRC3_GFX90A:TG_SPLIT: 0
	.section	.text._ZL38rocblas_dot_kernel_gfx942_float_doubleIlLi1024E19rocblas_complex_numIdEPKS1_S1_EviT2_lT_lS4_lS5_lPT3_PT1_,"axG",@progbits,_ZL38rocblas_dot_kernel_gfx942_float_doubleIlLi1024E19rocblas_complex_numIdEPKS1_S1_EviT2_lT_lS4_lS5_lPT3_PT1_,comdat
	.globl	_ZL38rocblas_dot_kernel_gfx942_float_doubleIlLi1024E19rocblas_complex_numIdEPKS1_S1_EviT2_lT_lS4_lS5_lPT3_PT1_ ; -- Begin function _ZL38rocblas_dot_kernel_gfx942_float_doubleIlLi1024E19rocblas_complex_numIdEPKS1_S1_EviT2_lT_lS4_lS5_lPT3_PT1_
	.p2align	8
	.type	_ZL38rocblas_dot_kernel_gfx942_float_doubleIlLi1024E19rocblas_complex_numIdEPKS1_S1_EviT2_lT_lS4_lS5_lPT3_PT1_,@function
_ZL38rocblas_dot_kernel_gfx942_float_doubleIlLi1024E19rocblas_complex_numIdEPKS1_S1_EviT2_lT_lS4_lS5_lPT3_PT1_: ; @_ZL38rocblas_dot_kernel_gfx942_float_doubleIlLi1024E19rocblas_complex_numIdEPKS1_S1_EviT2_lT_lS4_lS5_lPT3_PT1_
; %bb.0:
	s_endpgm
	.section	.rodata,"a",@progbits
	.p2align	6, 0x0
	.amdhsa_kernel _ZL38rocblas_dot_kernel_gfx942_float_doubleIlLi1024E19rocblas_complex_numIdEPKS1_S1_EviT2_lT_lS4_lS5_lPT3_PT1_
		.amdhsa_group_segment_fixed_size 0
		.amdhsa_private_segment_fixed_size 0
		.amdhsa_kernarg_size 88
		.amdhsa_user_sgpr_count 6
		.amdhsa_user_sgpr_private_segment_buffer 1
		.amdhsa_user_sgpr_dispatch_ptr 0
		.amdhsa_user_sgpr_queue_ptr 0
		.amdhsa_user_sgpr_kernarg_segment_ptr 1
		.amdhsa_user_sgpr_dispatch_id 0
		.amdhsa_user_sgpr_flat_scratch_init 0
		.amdhsa_user_sgpr_kernarg_preload_length 0
		.amdhsa_user_sgpr_kernarg_preload_offset 0
		.amdhsa_user_sgpr_private_segment_size 0
		.amdhsa_uses_dynamic_stack 0
		.amdhsa_system_sgpr_private_segment_wavefront_offset 0
		.amdhsa_system_sgpr_workgroup_id_x 1
		.amdhsa_system_sgpr_workgroup_id_y 0
		.amdhsa_system_sgpr_workgroup_id_z 0
		.amdhsa_system_sgpr_workgroup_info 0
		.amdhsa_system_vgpr_workitem_id 0
		.amdhsa_next_free_vgpr 1
		.amdhsa_next_free_sgpr 0
		.amdhsa_accum_offset 4
		.amdhsa_reserve_vcc 0
		.amdhsa_reserve_flat_scratch 0
		.amdhsa_float_round_mode_32 0
		.amdhsa_float_round_mode_16_64 0
		.amdhsa_float_denorm_mode_32 3
		.amdhsa_float_denorm_mode_16_64 3
		.amdhsa_dx10_clamp 1
		.amdhsa_ieee_mode 1
		.amdhsa_fp16_overflow 0
		.amdhsa_tg_split 0
		.amdhsa_exception_fp_ieee_invalid_op 0
		.amdhsa_exception_fp_denorm_src 0
		.amdhsa_exception_fp_ieee_div_zero 0
		.amdhsa_exception_fp_ieee_overflow 0
		.amdhsa_exception_fp_ieee_underflow 0
		.amdhsa_exception_fp_ieee_inexact 0
		.amdhsa_exception_int_div_zero 0
	.end_amdhsa_kernel
	.section	.text._ZL38rocblas_dot_kernel_gfx942_float_doubleIlLi1024E19rocblas_complex_numIdEPKS1_S1_EviT2_lT_lS4_lS5_lPT3_PT1_,"axG",@progbits,_ZL38rocblas_dot_kernel_gfx942_float_doubleIlLi1024E19rocblas_complex_numIdEPKS1_S1_EviT2_lT_lS4_lS5_lPT3_PT1_,comdat
.Lfunc_end107:
	.size	_ZL38rocblas_dot_kernel_gfx942_float_doubleIlLi1024E19rocblas_complex_numIdEPKS1_S1_EviT2_lT_lS4_lS5_lPT3_PT1_, .Lfunc_end107-_ZL38rocblas_dot_kernel_gfx942_float_doubleIlLi1024E19rocblas_complex_numIdEPKS1_S1_EviT2_lT_lS4_lS5_lPT3_PT1_
                                        ; -- End function
	.section	.AMDGPU.csdata,"",@progbits
; Kernel info:
; codeLenInByte = 4
; NumSgprs: 4
; NumVgprs: 0
; NumAgprs: 0
; TotalNumVgprs: 0
; ScratchSize: 0
; MemoryBound: 0
; FloatMode: 240
; IeeeMode: 1
; LDSByteSize: 0 bytes/workgroup (compile time only)
; SGPRBlocks: 0
; VGPRBlocks: 0
; NumSGPRsForWavesPerEU: 4
; NumVGPRsForWavesPerEU: 1
; AccumOffset: 4
; Occupancy: 8
; WaveLimiterHint : 0
; COMPUTE_PGM_RSRC2:SCRATCH_EN: 0
; COMPUTE_PGM_RSRC2:USER_SGPR: 6
; COMPUTE_PGM_RSRC2:TRAP_HANDLER: 0
; COMPUTE_PGM_RSRC2:TGID_X_EN: 1
; COMPUTE_PGM_RSRC2:TGID_Y_EN: 0
; COMPUTE_PGM_RSRC2:TGID_Z_EN: 0
; COMPUTE_PGM_RSRC2:TIDIG_COMP_CNT: 0
; COMPUTE_PGM_RSRC3_GFX90A:ACCUM_OFFSET: 0
; COMPUTE_PGM_RSRC3_GFX90A:TG_SPLIT: 0
	.section	.text._ZL18rocblas_dot_kernelIlLb0ELi512ELi2ELb0E19rocblas_complex_numIdEPKS1_S1_EviT5_lT_lS4_lS5_liPT6_PT4_,"axG",@progbits,_ZL18rocblas_dot_kernelIlLb0ELi512ELi2ELb0E19rocblas_complex_numIdEPKS1_S1_EviT5_lT_lS4_lS5_liPT6_PT4_,comdat
	.globl	_ZL18rocblas_dot_kernelIlLb0ELi512ELi2ELb0E19rocblas_complex_numIdEPKS1_S1_EviT5_lT_lS4_lS5_liPT6_PT4_ ; -- Begin function _ZL18rocblas_dot_kernelIlLb0ELi512ELi2ELb0E19rocblas_complex_numIdEPKS1_S1_EviT5_lT_lS4_lS5_liPT6_PT4_
	.p2align	8
	.type	_ZL18rocblas_dot_kernelIlLb0ELi512ELi2ELb0E19rocblas_complex_numIdEPKS1_S1_EviT5_lT_lS4_lS5_liPT6_PT4_,@function
_ZL18rocblas_dot_kernelIlLb0ELi512ELi2ELb0E19rocblas_complex_numIdEPKS1_S1_EviT5_lT_lS4_lS5_liPT6_PT4_: ; @_ZL18rocblas_dot_kernelIlLb0ELi512ELi2ELb0E19rocblas_complex_numIdEPKS1_S1_EviT5_lT_lS4_lS5_liPT6_PT4_
; %bb.0:
	s_mov_b32 s16, s7
	s_load_dword s7, s[4:5], 0x0
	s_load_dword s20, s[4:5], 0x60
	v_lshl_or_b32 v1, s6, 9, v0
	v_pk_mov_b32 v[4:5], 0, 0
	s_mov_b32 s17, 0
	s_waitcnt lgkmcnt(0)
	v_cmp_gt_i32_e32 vcc, s7, v1
	v_pk_mov_b32 v[2:3], v[4:5], v[4:5] op_sel:[0,1]
	s_and_saveexec_b64 s[18:19], vcc
	s_cbranch_execz .LBB108_4
; %bb.1:
	s_load_dwordx8 s[8:15], s[4:5], 0x20
	s_load_dwordx2 s[22:23], s[4:5], 0x8
	s_load_dwordx4 s[0:3], s[4:5], 0x10
	s_load_dwordx2 s[24:25], s[4:5], 0x40
	v_ashrrev_i32_e32 v4, 31, v1
	s_waitcnt lgkmcnt(0)
	s_mul_i32 s9, s16, s9
	s_mul_hi_u32 s21, s16, s8
	s_add_i32 s9, s21, s9
	s_mul_i32 s8, s16, s8
	s_lshl_b64 s[8:9], s[8:9], 4
	s_add_u32 s8, s22, s8
	s_addc_u32 s9, s23, s9
	s_lshl_b64 s[0:1], s[0:1], 4
	s_add_u32 s8, s8, s0
	s_addc_u32 s9, s9, s1
	s_mul_i32 s0, s16, s25
	s_mul_hi_u32 s1, s16, s24
	s_add_i32 s1, s1, s0
	s_mul_i32 s0, s16, s24
	s_lshl_b64 s[0:1], s[0:1], 4
	s_add_u32 s10, s10, s0
	s_addc_u32 s11, s11, s1
	s_lshl_b64 s[0:1], s[12:13], 4
	s_add_u32 s10, s10, s0
	s_addc_u32 s11, s11, s1
	v_mul_lo_u32 v5, v1, s15
	v_mul_lo_u32 v6, v4, s14
	v_mad_u64_u32 v[2:3], s[0:1], v1, s14, 0
	v_add3_u32 v3, v3, v5, v6
	v_lshlrev_b64 v[2:3], 4, v[2:3]
	v_mov_b32_e32 v5, s11
	v_add_co_u32_e32 v10, vcc, s10, v2
	v_addc_co_u32_e32 v11, vcc, v5, v3, vcc
	v_mul_lo_u32 v5, v1, s3
	v_mul_lo_u32 v4, v4, s2
	v_mad_u64_u32 v[2:3], s[0:1], v1, s2, 0
	v_add3_u32 v3, v3, v5, v4
	v_lshlrev_b64 v[2:3], 4, v[2:3]
	v_mov_b32_e32 v1, s9
	v_add_co_u32_e32 v12, vcc, s8, v2
	v_addc_co_u32_e32 v13, vcc, v1, v3, vcc
	global_load_dwordx4 v[2:5], v[12:13], off
	global_load_dwordx4 v[6:9], v[10:11], off
	s_add_i32 s0, s6, s20
	v_lshl_or_b32 v1, s0, 9, v0
	v_cmp_gt_i32_e32 vcc, s7, v1
	s_waitcnt vmcnt(0)
	v_mul_f64 v[10:11], v[8:9], v[4:5]
	v_mul_f64 v[12:13], v[6:7], v[4:5]
	v_fma_f64 v[4:5], v[6:7], v[2:3], -v[10:11]
	v_fmac_f64_e32 v[12:13], v[8:9], v[2:3]
	v_add_f64 v[4:5], v[4:5], 0
	v_add_f64 v[2:3], v[12:13], 0
	s_and_saveexec_b64 s[0:1], vcc
	s_cbranch_execz .LBB108_3
; %bb.2:
	v_ashrrev_i32_e32 v10, 31, v1
	v_mul_lo_u32 v8, v1, s15
	v_mul_lo_u32 v9, v10, s14
	v_mad_u64_u32 v[6:7], s[12:13], v1, s14, 0
	v_add3_u32 v7, v7, v8, v9
	v_lshlrev_b64 v[6:7], 4, v[6:7]
	v_mul_lo_u32 v12, v1, s3
	v_mul_lo_u32 v13, v10, s2
	v_mad_u64_u32 v[10:11], s[2:3], v1, s2, 0
	v_mov_b32_e32 v8, s11
	v_add_co_u32_e32 v6, vcc, s10, v6
	v_add3_u32 v11, v11, v12, v13
	v_addc_co_u32_e32 v7, vcc, v8, v7, vcc
	v_lshlrev_b64 v[10:11], 4, v[10:11]
	v_mov_b32_e32 v1, s9
	v_add_co_u32_e32 v10, vcc, s8, v10
	v_addc_co_u32_e32 v11, vcc, v1, v11, vcc
	global_load_dwordx4 v[6:9], v[6:7], off
	s_nop 0
	global_load_dwordx4 v[10:13], v[10:11], off
	s_waitcnt vmcnt(0)
	v_mul_f64 v[14:15], v[6:7], v[12:13]
	v_mul_f64 v[12:13], v[8:9], v[12:13]
	v_fmac_f64_e32 v[14:15], v[8:9], v[10:11]
	v_fma_f64 v[6:7], v[6:7], v[10:11], -v[12:13]
	v_add_f64 v[2:3], v[2:3], v[14:15]
	v_add_f64 v[4:5], v[4:5], v[6:7]
.LBB108_3:
	s_or_b64 exec, exec, s[0:1]
.LBB108_4:
	s_or_b64 exec, exec, s[18:19]
	v_and_b32_e32 v10, 63, v0
	v_cmp_gt_u32_e32 vcc, 64, v0
	v_lshlrev_b32_e32 v1, 4, v10
	s_and_saveexec_b64 s[0:1], vcc
	s_cbranch_execz .LBB108_6
; %bb.5:
	v_mov_b32_e32 v6, 0
	v_mov_b32_e32 v7, v6
	;; [unrolled: 1-line block ×4, first 2 shown]
	ds_write_b128 v1, v[6:9]
.LBB108_6:
	s_or_b64 exec, exec, s[0:1]
	v_mbcnt_lo_u32_b32 v6, -1, 0
	v_mbcnt_hi_u32_b32 v13, -1, v6
	v_and_b32_e32 v14, 63, v13
	v_cmp_gt_u32_e64 s[0:1], 32, v14
	v_cndmask_b32_e64 v6, 0, 1, s[0:1]
	v_lshlrev_b32_e32 v6, 5, v6
	v_add_lshl_u32 v9, v6, v13, 2
	ds_bpermute_b32 v6, v9, v4
	ds_bpermute_b32 v7, v9, v5
	;; [unrolled: 1-line block ×4, first 2 shown]
	v_cmp_gt_u32_e64 s[0:1], 48, v14
	s_waitcnt lgkmcnt(0)
	v_add_f64 v[4:5], v[4:5], v[6:7]
	v_cndmask_b32_e64 v6, 0, 1, s[0:1]
	v_lshlrev_b32_e32 v6, 4, v6
	v_add_f64 v[2:3], v[2:3], v[8:9]
	v_add_lshl_u32 v9, v6, v13, 2
	ds_bpermute_b32 v6, v9, v4
	ds_bpermute_b32 v7, v9, v5
	;; [unrolled: 1-line block ×4, first 2 shown]
	v_cmp_gt_u32_e64 s[0:1], 56, v14
	s_barrier
	s_waitcnt lgkmcnt(2)
	v_add_f64 v[4:5], v[4:5], v[6:7]
	v_cndmask_b32_e64 v6, 0, 1, s[0:1]
	v_lshlrev_b32_e32 v6, 3, v6
	s_waitcnt lgkmcnt(0)
	v_add_f64 v[2:3], v[2:3], v[8:9]
	v_add_lshl_u32 v9, v6, v13, 2
	ds_bpermute_b32 v6, v9, v4
	ds_bpermute_b32 v7, v9, v5
	ds_bpermute_b32 v8, v9, v2
	ds_bpermute_b32 v9, v9, v3
	v_cmp_gt_u32_e64 s[0:1], 60, v14
	s_waitcnt lgkmcnt(0)
	v_add_f64 v[4:5], v[4:5], v[6:7]
	v_cndmask_b32_e64 v6, 0, 1, s[0:1]
	v_lshlrev_b32_e32 v6, 2, v6
	v_add_f64 v[2:3], v[2:3], v[8:9]
	v_add_lshl_u32 v11, v6, v13, 2
	ds_bpermute_b32 v6, v11, v4
	ds_bpermute_b32 v7, v11, v5
	;; [unrolled: 1-line block ×4, first 2 shown]
	v_cmp_gt_u32_e64 s[0:1], 62, v14
	s_waitcnt lgkmcnt(2)
	v_add_f64 v[4:5], v[4:5], v[6:7]
	s_waitcnt lgkmcnt(0)
	v_add_f64 v[6:7], v[2:3], v[8:9]
	v_cndmask_b32_e64 v2, 0, 1, s[0:1]
	v_lshlrev_b32_e32 v2, 1, v2
	v_add_lshl_u32 v12, v2, v13, 2
	ds_bpermute_b32 v2, v12, v4
	ds_bpermute_b32 v3, v12, v5
	;; [unrolled: 1-line block ×4, first 2 shown]
	v_cmp_ne_u32_e64 s[0:1], 63, v14
	s_waitcnt lgkmcnt(2)
	v_add_f64 v[2:3], v[4:5], v[2:3]
	v_addc_co_u32_e64 v4, s[0:1], 0, v13, s[0:1]
	s_waitcnt lgkmcnt(0)
	v_add_f64 v[6:7], v[6:7], v[8:9]
	v_lshlrev_b32_e32 v13, 2, v4
	ds_bpermute_b32 v4, v13, v2
	ds_bpermute_b32 v5, v13, v3
	;; [unrolled: 1-line block ×4, first 2 shown]
	v_cmp_eq_u32_e64 s[0:1], 0, v10
	s_and_saveexec_b64 s[2:3], s[0:1]
	s_cbranch_execz .LBB108_8
; %bb.7:
	v_lshrrev_b32_e32 v10, 2, v0
	v_and_b32_e32 v10, 0x70, v10
	s_waitcnt lgkmcnt(0)
	v_add_f64 v[6:7], v[6:7], v[8:9]
	v_add_f64 v[4:5], v[2:3], v[4:5]
	ds_write_b128 v10, v[4:7]
.LBB108_8:
	s_or_b64 exec, exec, s[2:3]
	s_waitcnt lgkmcnt(2)
	v_pk_mov_b32 v[4:5], 0, 0
	v_cmp_gt_u32_e64 s[0:1], 8, v0
	v_pk_mov_b32 v[2:3], v[4:5], v[4:5] op_sel:[0,1]
	s_waitcnt lgkmcnt(0)
	s_barrier
	s_and_saveexec_b64 s[2:3], s[0:1]
	s_cbranch_execnz .LBB108_12
; %bb.9:
	s_or_b64 exec, exec, s[2:3]
	s_and_saveexec_b64 s[0:1], vcc
	s_cbranch_execnz .LBB108_13
.LBB108_10:
	s_or_b64 exec, exec, s[0:1]
	v_cmp_eq_u32_e32 vcc, 0, v0
	s_and_saveexec_b64 s[0:1], vcc
	s_cbranch_execnz .LBB108_14
.LBB108_11:
	s_endpgm
.LBB108_12:
	ds_read_b128 v[2:5], v1
	s_or_b64 exec, exec, s[2:3]
	s_and_saveexec_b64 s[0:1], vcc
	s_cbranch_execz .LBB108_10
.LBB108_13:
	s_waitcnt lgkmcnt(0)
	ds_bpermute_b32 v6, v11, v2
	ds_bpermute_b32 v7, v11, v3
	ds_bpermute_b32 v8, v11, v4
	ds_bpermute_b32 v9, v11, v5
	s_waitcnt lgkmcnt(2)
	v_add_f64 v[2:3], v[2:3], v[6:7]
	ds_bpermute_b32 v6, v12, v2
	s_waitcnt lgkmcnt(1)
	v_add_f64 v[4:5], v[4:5], v[8:9]
	ds_bpermute_b32 v7, v12, v3
	ds_bpermute_b32 v8, v12, v4
	;; [unrolled: 1-line block ×3, first 2 shown]
	s_waitcnt lgkmcnt(2)
	v_add_f64 v[2:3], v[2:3], v[6:7]
	ds_bpermute_b32 v6, v13, v2
	s_waitcnt lgkmcnt(1)
	v_add_f64 v[4:5], v[4:5], v[8:9]
	ds_bpermute_b32 v7, v13, v3
	ds_bpermute_b32 v8, v13, v4
	;; [unrolled: 1-line block ×3, first 2 shown]
	s_waitcnt lgkmcnt(2)
	v_add_f64 v[2:3], v[2:3], v[6:7]
	s_waitcnt lgkmcnt(0)
	v_add_f64 v[4:5], v[4:5], v[8:9]
	s_or_b64 exec, exec, s[0:1]
	v_cmp_eq_u32_e32 vcc, 0, v0
	s_and_saveexec_b64 s[0:1], vcc
	s_cbranch_execz .LBB108_11
.LBB108_14:
	s_cmp_lg_u32 s20, 1
	s_cbranch_scc0 .LBB108_16
; %bb.15:
	s_load_dwordx2 s[0:1], s[4:5], 0x50
	s_mul_hi_u32 s3, s20, s16
	s_mul_i32 s2, s20, s16
	s_lshl_b64 s[2:3], s[2:3], 4
	s_mov_b32 s7, 0
	s_waitcnt lgkmcnt(0)
	s_add_u32 s2, s0, s2
	s_addc_u32 s3, s1, s3
	s_lshl_b64 s[0:1], s[6:7], 4
	s_add_u32 s0, s2, s0
	s_addc_u32 s1, s3, s1
	s_cbranch_execz .LBB108_17
	s_branch .LBB108_18
.LBB108_16:
                                        ; implicit-def: $sgpr0_sgpr1
.LBB108_17:
	s_load_dwordx2 s[0:1], s[4:5], 0x58
	s_lshl_b64 s[2:3], s[16:17], 4
	s_waitcnt lgkmcnt(0)
	s_add_u32 s0, s0, s2
	s_addc_u32 s1, s1, s3
.LBB108_18:
	v_mov_b32_e32 v0, 0
	s_waitcnt lgkmcnt(0)
	global_store_dwordx4 v0, v[2:5], s[0:1]
	s_endpgm
	.section	.rodata,"a",@progbits
	.p2align	6, 0x0
	.amdhsa_kernel _ZL18rocblas_dot_kernelIlLb0ELi512ELi2ELb0E19rocblas_complex_numIdEPKS1_S1_EviT5_lT_lS4_lS5_liPT6_PT4_
		.amdhsa_group_segment_fixed_size 1024
		.amdhsa_private_segment_fixed_size 0
		.amdhsa_kernarg_size 352
		.amdhsa_user_sgpr_count 6
		.amdhsa_user_sgpr_private_segment_buffer 1
		.amdhsa_user_sgpr_dispatch_ptr 0
		.amdhsa_user_sgpr_queue_ptr 0
		.amdhsa_user_sgpr_kernarg_segment_ptr 1
		.amdhsa_user_sgpr_dispatch_id 0
		.amdhsa_user_sgpr_flat_scratch_init 0
		.amdhsa_user_sgpr_kernarg_preload_length 0
		.amdhsa_user_sgpr_kernarg_preload_offset 0
		.amdhsa_user_sgpr_private_segment_size 0
		.amdhsa_uses_dynamic_stack 0
		.amdhsa_system_sgpr_private_segment_wavefront_offset 0
		.amdhsa_system_sgpr_workgroup_id_x 1
		.amdhsa_system_sgpr_workgroup_id_y 0
		.amdhsa_system_sgpr_workgroup_id_z 1
		.amdhsa_system_sgpr_workgroup_info 0
		.amdhsa_system_vgpr_workitem_id 0
		.amdhsa_next_free_vgpr 16
		.amdhsa_next_free_sgpr 26
		.amdhsa_accum_offset 16
		.amdhsa_reserve_vcc 1
		.amdhsa_reserve_flat_scratch 0
		.amdhsa_float_round_mode_32 0
		.amdhsa_float_round_mode_16_64 0
		.amdhsa_float_denorm_mode_32 3
		.amdhsa_float_denorm_mode_16_64 3
		.amdhsa_dx10_clamp 1
		.amdhsa_ieee_mode 1
		.amdhsa_fp16_overflow 0
		.amdhsa_tg_split 0
		.amdhsa_exception_fp_ieee_invalid_op 0
		.amdhsa_exception_fp_denorm_src 0
		.amdhsa_exception_fp_ieee_div_zero 0
		.amdhsa_exception_fp_ieee_overflow 0
		.amdhsa_exception_fp_ieee_underflow 0
		.amdhsa_exception_fp_ieee_inexact 0
		.amdhsa_exception_int_div_zero 0
	.end_amdhsa_kernel
	.section	.text._ZL18rocblas_dot_kernelIlLb0ELi512ELi2ELb0E19rocblas_complex_numIdEPKS1_S1_EviT5_lT_lS4_lS5_liPT6_PT4_,"axG",@progbits,_ZL18rocblas_dot_kernelIlLb0ELi512ELi2ELb0E19rocblas_complex_numIdEPKS1_S1_EviT5_lT_lS4_lS5_liPT6_PT4_,comdat
.Lfunc_end108:
	.size	_ZL18rocblas_dot_kernelIlLb0ELi512ELi2ELb0E19rocblas_complex_numIdEPKS1_S1_EviT5_lT_lS4_lS5_liPT6_PT4_, .Lfunc_end108-_ZL18rocblas_dot_kernelIlLb0ELi512ELi2ELb0E19rocblas_complex_numIdEPKS1_S1_EviT5_lT_lS4_lS5_liPT6_PT4_
                                        ; -- End function
	.section	.AMDGPU.csdata,"",@progbits
; Kernel info:
; codeLenInByte = 1548
; NumSgprs: 30
; NumVgprs: 16
; NumAgprs: 0
; TotalNumVgprs: 16
; ScratchSize: 0
; MemoryBound: 0
; FloatMode: 240
; IeeeMode: 1
; LDSByteSize: 1024 bytes/workgroup (compile time only)
; SGPRBlocks: 3
; VGPRBlocks: 1
; NumSGPRsForWavesPerEU: 30
; NumVGPRsForWavesPerEU: 16
; AccumOffset: 16
; Occupancy: 8
; WaveLimiterHint : 0
; COMPUTE_PGM_RSRC2:SCRATCH_EN: 0
; COMPUTE_PGM_RSRC2:USER_SGPR: 6
; COMPUTE_PGM_RSRC2:TRAP_HANDLER: 0
; COMPUTE_PGM_RSRC2:TGID_X_EN: 1
; COMPUTE_PGM_RSRC2:TGID_Y_EN: 0
; COMPUTE_PGM_RSRC2:TGID_Z_EN: 1
; COMPUTE_PGM_RSRC2:TIDIG_COMP_CNT: 0
; COMPUTE_PGM_RSRC3_GFX90A:ACCUM_OFFSET: 3
; COMPUTE_PGM_RSRC3_GFX90A:TG_SPLIT: 0
	.section	.text._ZL24rocblas_dot_kernel_magsqIlLb0ELi512ELi2ELb0E19rocblas_complex_numIdEPKS1_S1_EviT5_lT_liPT6_PT4_,"axG",@progbits,_ZL24rocblas_dot_kernel_magsqIlLb0ELi512ELi2ELb0E19rocblas_complex_numIdEPKS1_S1_EviT5_lT_liPT6_PT4_,comdat
	.globl	_ZL24rocblas_dot_kernel_magsqIlLb0ELi512ELi2ELb0E19rocblas_complex_numIdEPKS1_S1_EviT5_lT_liPT6_PT4_ ; -- Begin function _ZL24rocblas_dot_kernel_magsqIlLb0ELi512ELi2ELb0E19rocblas_complex_numIdEPKS1_S1_EviT5_lT_liPT6_PT4_
	.p2align	8
	.type	_ZL24rocblas_dot_kernel_magsqIlLb0ELi512ELi2ELb0E19rocblas_complex_numIdEPKS1_S1_EviT5_lT_liPT6_PT4_,@function
_ZL24rocblas_dot_kernel_magsqIlLb0ELi512ELi2ELb0E19rocblas_complex_numIdEPKS1_S1_EviT5_lT_liPT6_PT4_: ; @_ZL24rocblas_dot_kernel_magsqIlLb0ELi512ELi2ELb0E19rocblas_complex_numIdEPKS1_S1_EviT5_lT_liPT6_PT4_
; %bb.0:
	s_mov_b32 s8, s7
	s_load_dword s7, s[4:5], 0x0
	s_load_dword s12, s[4:5], 0x40
	v_lshl_or_b32 v1, s6, 9, v0
	v_pk_mov_b32 v[4:5], 0, 0
	s_mov_b32 s9, 0
	s_waitcnt lgkmcnt(0)
	v_cmp_gt_i32_e32 vcc, s7, v1
	v_pk_mov_b32 v[2:3], v[4:5], v[4:5] op_sel:[0,1]
	s_and_saveexec_b64 s[10:11], vcc
	s_cbranch_execz .LBB109_4
; %bb.1:
	s_load_dwordx2 s[14:15], s[4:5], 0x20
	s_load_dwordx2 s[16:17], s[4:5], 0x8
	s_load_dwordx4 s[0:3], s[4:5], 0x10
	v_ashrrev_i32_e32 v2, 31, v1
	s_waitcnt lgkmcnt(0)
	s_mul_i32 s13, s8, s15
	s_mul_hi_u32 s15, s8, s14
	s_mul_i32 s14, s8, s14
	s_add_i32 s15, s15, s13
	s_lshl_b64 s[14:15], s[14:15], 4
	s_add_u32 s13, s16, s14
	s_addc_u32 s14, s17, s15
	s_lshl_b64 s[0:1], s[0:1], 4
	s_add_u32 s13, s13, s0
	s_addc_u32 s14, s14, s1
	v_mul_lo_u32 v4, v1, s3
	v_mul_lo_u32 v5, v2, s2
	v_mad_u64_u32 v[2:3], s[0:1], v1, s2, 0
	v_add3_u32 v3, v3, v4, v5
	v_lshlrev_b64 v[2:3], 4, v[2:3]
	v_mov_b32_e32 v1, s14
	v_add_co_u32_e32 v2, vcc, s13, v2
	v_addc_co_u32_e32 v3, vcc, v1, v3, vcc
	global_load_dwordx4 v[2:5], v[2:3], off
	s_add_i32 s0, s6, s12
	v_lshl_or_b32 v1, s0, 9, v0
	v_cmp_gt_i32_e32 vcc, s7, v1
	s_waitcnt vmcnt(0)
	v_mul_f64 v[6:7], v[4:5], v[4:5]
	v_mul_f64 v[8:9], v[2:3], v[4:5]
	v_fma_f64 v[4:5], v[2:3], v[2:3], -v[6:7]
	v_fma_f64 v[2:3], v[8:9], 2.0, 0
	s_and_saveexec_b64 s[0:1], vcc
	s_cbranch_execz .LBB109_3
; %bb.2:
	v_ashrrev_i32_e32 v6, 31, v1
	v_mul_lo_u32 v8, v1, s3
	v_mul_lo_u32 v9, v6, s2
	v_mad_u64_u32 v[6:7], s[2:3], v1, s2, 0
	v_add3_u32 v7, v7, v8, v9
	v_lshlrev_b64 v[6:7], 4, v[6:7]
	v_mov_b32_e32 v1, s14
	v_add_co_u32_e32 v6, vcc, s13, v6
	v_addc_co_u32_e32 v7, vcc, v1, v7, vcc
	global_load_dwordx4 v[6:9], v[6:7], off
	s_waitcnt vmcnt(0)
	v_mul_f64 v[10:11], v[6:7], v[8:9]
	v_mul_f64 v[8:9], v[8:9], v[8:9]
	v_fma_f64 v[6:7], v[6:7], v[6:7], -v[8:9]
	v_fmac_f64_e32 v[2:3], 2.0, v[10:11]
	v_add_f64 v[4:5], v[4:5], v[6:7]
.LBB109_3:
	s_or_b64 exec, exec, s[0:1]
.LBB109_4:
	s_or_b64 exec, exec, s[10:11]
	v_and_b32_e32 v10, 63, v0
	v_cmp_gt_u32_e32 vcc, 64, v0
	v_lshlrev_b32_e32 v1, 4, v10
	s_and_saveexec_b64 s[0:1], vcc
	s_cbranch_execz .LBB109_6
; %bb.5:
	v_mov_b32_e32 v6, 0
	v_mov_b32_e32 v7, v6
	;; [unrolled: 1-line block ×4, first 2 shown]
	ds_write_b128 v1, v[6:9]
.LBB109_6:
	s_or_b64 exec, exec, s[0:1]
	v_mbcnt_lo_u32_b32 v6, -1, 0
	v_mbcnt_hi_u32_b32 v13, -1, v6
	v_and_b32_e32 v14, 63, v13
	v_cmp_gt_u32_e64 s[0:1], 32, v14
	v_cndmask_b32_e64 v6, 0, 1, s[0:1]
	v_lshlrev_b32_e32 v6, 5, v6
	v_add_lshl_u32 v9, v6, v13, 2
	ds_bpermute_b32 v6, v9, v4
	ds_bpermute_b32 v7, v9, v5
	;; [unrolled: 1-line block ×4, first 2 shown]
	v_cmp_gt_u32_e64 s[0:1], 48, v14
	s_waitcnt lgkmcnt(0)
	v_add_f64 v[4:5], v[4:5], v[6:7]
	v_cndmask_b32_e64 v6, 0, 1, s[0:1]
	v_lshlrev_b32_e32 v6, 4, v6
	v_add_f64 v[2:3], v[2:3], v[8:9]
	v_add_lshl_u32 v9, v6, v13, 2
	ds_bpermute_b32 v6, v9, v4
	ds_bpermute_b32 v7, v9, v5
	;; [unrolled: 1-line block ×4, first 2 shown]
	v_cmp_gt_u32_e64 s[0:1], 56, v14
	s_barrier
	s_waitcnt lgkmcnt(2)
	v_add_f64 v[4:5], v[4:5], v[6:7]
	v_cndmask_b32_e64 v6, 0, 1, s[0:1]
	v_lshlrev_b32_e32 v6, 3, v6
	s_waitcnt lgkmcnt(0)
	v_add_f64 v[2:3], v[2:3], v[8:9]
	v_add_lshl_u32 v9, v6, v13, 2
	ds_bpermute_b32 v6, v9, v4
	ds_bpermute_b32 v7, v9, v5
	;; [unrolled: 1-line block ×4, first 2 shown]
	v_cmp_gt_u32_e64 s[0:1], 60, v14
	s_waitcnt lgkmcnt(0)
	v_add_f64 v[4:5], v[4:5], v[6:7]
	v_cndmask_b32_e64 v6, 0, 1, s[0:1]
	v_lshlrev_b32_e32 v6, 2, v6
	v_add_f64 v[2:3], v[2:3], v[8:9]
	v_add_lshl_u32 v11, v6, v13, 2
	ds_bpermute_b32 v6, v11, v4
	ds_bpermute_b32 v7, v11, v5
	;; [unrolled: 1-line block ×4, first 2 shown]
	v_cmp_gt_u32_e64 s[0:1], 62, v14
	s_waitcnt lgkmcnt(2)
	v_add_f64 v[4:5], v[4:5], v[6:7]
	s_waitcnt lgkmcnt(0)
	v_add_f64 v[6:7], v[2:3], v[8:9]
	v_cndmask_b32_e64 v2, 0, 1, s[0:1]
	v_lshlrev_b32_e32 v2, 1, v2
	v_add_lshl_u32 v12, v2, v13, 2
	ds_bpermute_b32 v2, v12, v4
	ds_bpermute_b32 v3, v12, v5
	;; [unrolled: 1-line block ×4, first 2 shown]
	v_cmp_ne_u32_e64 s[0:1], 63, v14
	s_waitcnt lgkmcnt(2)
	v_add_f64 v[2:3], v[4:5], v[2:3]
	v_addc_co_u32_e64 v4, s[0:1], 0, v13, s[0:1]
	s_waitcnt lgkmcnt(0)
	v_add_f64 v[6:7], v[6:7], v[8:9]
	v_lshlrev_b32_e32 v13, 2, v4
	ds_bpermute_b32 v4, v13, v2
	ds_bpermute_b32 v5, v13, v3
	;; [unrolled: 1-line block ×4, first 2 shown]
	v_cmp_eq_u32_e64 s[0:1], 0, v10
	s_and_saveexec_b64 s[2:3], s[0:1]
	s_cbranch_execz .LBB109_8
; %bb.7:
	v_lshrrev_b32_e32 v10, 2, v0
	v_and_b32_e32 v10, 0x70, v10
	s_waitcnt lgkmcnt(0)
	v_add_f64 v[6:7], v[6:7], v[8:9]
	v_add_f64 v[4:5], v[2:3], v[4:5]
	ds_write_b128 v10, v[4:7]
.LBB109_8:
	s_or_b64 exec, exec, s[2:3]
	s_waitcnt lgkmcnt(2)
	v_pk_mov_b32 v[4:5], 0, 0
	v_cmp_gt_u32_e64 s[0:1], 8, v0
	v_pk_mov_b32 v[2:3], v[4:5], v[4:5] op_sel:[0,1]
	s_waitcnt lgkmcnt(0)
	s_barrier
	s_and_saveexec_b64 s[2:3], s[0:1]
	s_cbranch_execnz .LBB109_12
; %bb.9:
	s_or_b64 exec, exec, s[2:3]
	s_and_saveexec_b64 s[0:1], vcc
	s_cbranch_execnz .LBB109_13
.LBB109_10:
	s_or_b64 exec, exec, s[0:1]
	v_cmp_eq_u32_e32 vcc, 0, v0
	s_and_saveexec_b64 s[0:1], vcc
	s_cbranch_execnz .LBB109_14
.LBB109_11:
	s_endpgm
.LBB109_12:
	ds_read_b128 v[2:5], v1
	s_or_b64 exec, exec, s[2:3]
	s_and_saveexec_b64 s[0:1], vcc
	s_cbranch_execz .LBB109_10
.LBB109_13:
	s_waitcnt lgkmcnt(0)
	ds_bpermute_b32 v6, v11, v2
	ds_bpermute_b32 v7, v11, v3
	ds_bpermute_b32 v8, v11, v4
	ds_bpermute_b32 v9, v11, v5
	s_waitcnt lgkmcnt(2)
	v_add_f64 v[2:3], v[2:3], v[6:7]
	ds_bpermute_b32 v6, v12, v2
	s_waitcnt lgkmcnt(1)
	v_add_f64 v[4:5], v[4:5], v[8:9]
	ds_bpermute_b32 v7, v12, v3
	ds_bpermute_b32 v8, v12, v4
	;; [unrolled: 1-line block ×3, first 2 shown]
	s_waitcnt lgkmcnt(2)
	v_add_f64 v[2:3], v[2:3], v[6:7]
	ds_bpermute_b32 v6, v13, v2
	s_waitcnt lgkmcnt(1)
	v_add_f64 v[4:5], v[4:5], v[8:9]
	ds_bpermute_b32 v7, v13, v3
	ds_bpermute_b32 v8, v13, v4
	;; [unrolled: 1-line block ×3, first 2 shown]
	s_waitcnt lgkmcnt(2)
	v_add_f64 v[2:3], v[2:3], v[6:7]
	s_waitcnt lgkmcnt(0)
	v_add_f64 v[4:5], v[4:5], v[8:9]
	s_or_b64 exec, exec, s[0:1]
	v_cmp_eq_u32_e32 vcc, 0, v0
	s_and_saveexec_b64 s[0:1], vcc
	s_cbranch_execz .LBB109_11
.LBB109_14:
	s_cmp_lg_u32 s12, 1
	s_cbranch_scc0 .LBB109_16
; %bb.15:
	s_load_dwordx2 s[0:1], s[4:5], 0x30
	s_mul_hi_u32 s3, s12, s8
	s_mul_i32 s2, s12, s8
	s_lshl_b64 s[2:3], s[2:3], 4
	s_mov_b32 s7, 0
	s_waitcnt lgkmcnt(0)
	s_add_u32 s2, s0, s2
	s_addc_u32 s3, s1, s3
	s_lshl_b64 s[0:1], s[6:7], 4
	s_add_u32 s0, s2, s0
	s_addc_u32 s1, s3, s1
	s_cbranch_execz .LBB109_17
	s_branch .LBB109_18
.LBB109_16:
                                        ; implicit-def: $sgpr0_sgpr1
.LBB109_17:
	s_load_dwordx2 s[0:1], s[4:5], 0x38
	s_lshl_b64 s[2:3], s[8:9], 4
	s_waitcnt lgkmcnt(0)
	s_add_u32 s0, s0, s2
	s_addc_u32 s1, s1, s3
.LBB109_18:
	v_mov_b32_e32 v0, 0
	s_waitcnt lgkmcnt(0)
	global_store_dwordx4 v0, v[2:5], s[0:1]
	s_endpgm
	.section	.rodata,"a",@progbits
	.p2align	6, 0x0
	.amdhsa_kernel _ZL24rocblas_dot_kernel_magsqIlLb0ELi512ELi2ELb0E19rocblas_complex_numIdEPKS1_S1_EviT5_lT_liPT6_PT4_
		.amdhsa_group_segment_fixed_size 1024
		.amdhsa_private_segment_fixed_size 0
		.amdhsa_kernarg_size 320
		.amdhsa_user_sgpr_count 6
		.amdhsa_user_sgpr_private_segment_buffer 1
		.amdhsa_user_sgpr_dispatch_ptr 0
		.amdhsa_user_sgpr_queue_ptr 0
		.amdhsa_user_sgpr_kernarg_segment_ptr 1
		.amdhsa_user_sgpr_dispatch_id 0
		.amdhsa_user_sgpr_flat_scratch_init 0
		.amdhsa_user_sgpr_kernarg_preload_length 0
		.amdhsa_user_sgpr_kernarg_preload_offset 0
		.amdhsa_user_sgpr_private_segment_size 0
		.amdhsa_uses_dynamic_stack 0
		.amdhsa_system_sgpr_private_segment_wavefront_offset 0
		.amdhsa_system_sgpr_workgroup_id_x 1
		.amdhsa_system_sgpr_workgroup_id_y 0
		.amdhsa_system_sgpr_workgroup_id_z 1
		.amdhsa_system_sgpr_workgroup_info 0
		.amdhsa_system_vgpr_workitem_id 0
		.amdhsa_next_free_vgpr 15
		.amdhsa_next_free_sgpr 18
		.amdhsa_accum_offset 16
		.amdhsa_reserve_vcc 1
		.amdhsa_reserve_flat_scratch 0
		.amdhsa_float_round_mode_32 0
		.amdhsa_float_round_mode_16_64 0
		.amdhsa_float_denorm_mode_32 3
		.amdhsa_float_denorm_mode_16_64 3
		.amdhsa_dx10_clamp 1
		.amdhsa_ieee_mode 1
		.amdhsa_fp16_overflow 0
		.amdhsa_tg_split 0
		.amdhsa_exception_fp_ieee_invalid_op 0
		.amdhsa_exception_fp_denorm_src 0
		.amdhsa_exception_fp_ieee_div_zero 0
		.amdhsa_exception_fp_ieee_overflow 0
		.amdhsa_exception_fp_ieee_underflow 0
		.amdhsa_exception_fp_ieee_inexact 0
		.amdhsa_exception_int_div_zero 0
	.end_amdhsa_kernel
	.section	.text._ZL24rocblas_dot_kernel_magsqIlLb0ELi512ELi2ELb0E19rocblas_complex_numIdEPKS1_S1_EviT5_lT_liPT6_PT4_,"axG",@progbits,_ZL24rocblas_dot_kernel_magsqIlLb0ELi512ELi2ELb0E19rocblas_complex_numIdEPKS1_S1_EviT5_lT_liPT6_PT4_,comdat
.Lfunc_end109:
	.size	_ZL24rocblas_dot_kernel_magsqIlLb0ELi512ELi2ELb0E19rocblas_complex_numIdEPKS1_S1_EviT5_lT_liPT6_PT4_, .Lfunc_end109-_ZL24rocblas_dot_kernel_magsqIlLb0ELi512ELi2ELb0E19rocblas_complex_numIdEPKS1_S1_EviT5_lT_liPT6_PT4_
                                        ; -- End function
	.section	.AMDGPU.csdata,"",@progbits
; Kernel info:
; codeLenInByte = 1356
; NumSgprs: 22
; NumVgprs: 15
; NumAgprs: 0
; TotalNumVgprs: 15
; ScratchSize: 0
; MemoryBound: 0
; FloatMode: 240
; IeeeMode: 1
; LDSByteSize: 1024 bytes/workgroup (compile time only)
; SGPRBlocks: 2
; VGPRBlocks: 1
; NumSGPRsForWavesPerEU: 22
; NumVGPRsForWavesPerEU: 15
; AccumOffset: 16
; Occupancy: 8
; WaveLimiterHint : 0
; COMPUTE_PGM_RSRC2:SCRATCH_EN: 0
; COMPUTE_PGM_RSRC2:USER_SGPR: 6
; COMPUTE_PGM_RSRC2:TRAP_HANDLER: 0
; COMPUTE_PGM_RSRC2:TGID_X_EN: 1
; COMPUTE_PGM_RSRC2:TGID_Y_EN: 0
; COMPUTE_PGM_RSRC2:TGID_Z_EN: 1
; COMPUTE_PGM_RSRC2:TIDIG_COMP_CNT: 0
; COMPUTE_PGM_RSRC3_GFX90A:ACCUM_OFFSET: 3
; COMPUTE_PGM_RSRC3_GFX90A:TG_SPLIT: 0
	.section	.text._ZL28rocblas_dot_batched_4_kernelIiLi32ELi4ELb1E19rocblas_complex_numIfES1_PKS1_EviT5_lT_lS4_lS5_liPT4_,"axG",@progbits,_ZL28rocblas_dot_batched_4_kernelIiLi32ELi4ELb1E19rocblas_complex_numIfES1_PKS1_EviT5_lT_lS4_lS5_liPT4_,comdat
	.globl	_ZL28rocblas_dot_batched_4_kernelIiLi32ELi4ELb1E19rocblas_complex_numIfES1_PKS1_EviT5_lT_lS4_lS5_liPT4_ ; -- Begin function _ZL28rocblas_dot_batched_4_kernelIiLi32ELi4ELb1E19rocblas_complex_numIfES1_PKS1_EviT5_lT_lS4_lS5_liPT4_
	.p2align	8
	.type	_ZL28rocblas_dot_batched_4_kernelIiLi32ELi4ELb1E19rocblas_complex_numIfES1_PKS1_EviT5_lT_lS4_lS5_liPT4_,@function
_ZL28rocblas_dot_batched_4_kernelIiLi32ELi4ELb1E19rocblas_complex_numIfES1_PKS1_EviT5_lT_lS4_lS5_liPT4_: ; @_ZL28rocblas_dot_batched_4_kernelIiLi32ELi4ELb1E19rocblas_complex_numIfES1_PKS1_EviT5_lT_lS4_lS5_liPT4_
; %bb.0:
	s_load_dword s0, s[4:5], 0x48
	v_bfe_u32 v1, v0, 10, 10
	v_lshl_add_u32 v2, s6, 2, v1
	s_waitcnt lgkmcnt(0)
	v_cmp_gt_u32_e32 vcc, s0, v2
	s_and_saveexec_b64 s[0:1], vcc
	s_cbranch_execz .LBB110_7
; %bb.1:
	s_load_dword s10, s[4:5], 0x0
	s_load_dwordx2 s[6:7], s[4:5], 0x50
	v_mov_b32_e32 v3, 0
	v_and_b32_e32 v8, 0x3ff, v0
	v_mov_b32_e32 v1, v3
	s_waitcnt lgkmcnt(0)
	v_cmp_gt_i32_e32 vcc, s10, v8
	v_mov_b32_e32 v0, v3
	s_and_saveexec_b64 s[8:9], vcc
	s_cbranch_execz .LBB110_5
; %bb.2:
	s_load_dwordx4 s[12:15], s[4:5], 0x8
	s_load_dword s16, s[4:5], 0x18
	s_load_dword s18, s[4:5], 0x38
	s_load_dwordx4 s[0:3], s[4:5], 0x20
	s_load_dwordx2 s[20:21], s[4:5], 0x30
	s_load_dwordx2 s[22:23], s[4:5], 0x40
	s_waitcnt lgkmcnt(0)
	v_mad_i64_i32 v[0:1], s[4:5], s16, v8, 0
	v_mad_u64_u32 v[4:5], s[4:5], s0, v2, 0
	v_mov_b32_e32 v6, v5
	v_mad_u64_u32 v[6:7], s[0:1], s1, v2, v[6:7]
	v_mov_b32_e32 v5, v6
	s_ashr_i32 s17, s16, 31
	s_ashr_i32 s19, s18, 31
	v_lshlrev_b64 v[0:1], 3, v[0:1]
	v_lshlrev_b64 v[4:5], 3, v[4:5]
	s_lshl_b64 s[0:1], s[14:15], 3
	v_add_co_u32_e32 v0, vcc, v0, v4
	s_add_u32 s0, s12, s0
	v_addc_co_u32_e32 v1, vcc, v1, v5, vcc
	s_addc_u32 s1, s13, s1
	v_mov_b32_e32 v4, s1
	v_add_co_u32_e32 v0, vcc, s0, v0
	v_mad_u64_u32 v[6:7], s[4:5], s22, v2, 0
	v_addc_co_u32_e32 v1, vcc, v4, v1, vcc
	v_mov_b32_e32 v10, v7
	v_add_co_u32_e32 v4, vcc, 4, v0
	v_mad_u64_u32 v[10:11], s[4:5], s23, v2, v[10:11]
	v_addc_co_u32_e32 v5, vcc, 0, v1, vcc
	v_mad_i64_i32 v[0:1], s[4:5], s18, v8, 0
	v_mov_b32_e32 v7, v10
	s_lshl_b64 s[0:1], s[16:17], 8
	v_lshlrev_b64 v[0:1], 3, v[0:1]
	v_lshlrev_b64 v[6:7], 3, v[6:7]
	s_lshl_b64 s[4:5], s[20:21], 3
	v_add_co_u32_e32 v0, vcc, v0, v6
	s_add_u32 s2, s2, s4
	v_addc_co_u32_e32 v1, vcc, v1, v7, vcc
	s_addc_u32 s3, s3, s5
	v_mov_b32_e32 v7, s3
	v_add_co_u32_e32 v6, vcc, s2, v0
	s_lshl_b64 s[4:5], s[18:19], 8
	v_mov_b32_e32 v0, 0
	v_addc_co_u32_e32 v7, vcc, v7, v1, vcc
	s_mov_b64 s[2:3], 0
	v_mov_b32_e32 v9, s1
	v_mov_b32_e32 v10, s5
	;; [unrolled: 1-line block ×4, first 2 shown]
.LBB110_3:                              ; =>This Inner Loop Header: Depth=1
	global_load_dwordx2 v[12:13], v[4:5], off offset:-4
	global_load_dwordx2 v[14:15], v[6:7], off
	v_add_co_u32_e32 v4, vcc, s0, v4
	v_addc_co_u32_e32 v5, vcc, v5, v9, vcc
	v_add_co_u32_e32 v6, vcc, s4, v6
	v_add_u32_e32 v11, 32, v11
	v_addc_co_u32_e32 v7, vcc, v7, v10, vcc
	v_cmp_le_i32_e32 vcc, s10, v11
	s_or_b64 s[2:3], vcc, s[2:3]
	s_waitcnt vmcnt(0)
	v_pk_mul_f32 v[16:17], v[12:13], v[14:15] op_sel:[1,0]
	v_pk_fma_f32 v[18:19], v[12:13], v[14:15], v[16:17] op_sel:[0,0,1] op_sel_hi:[1,1,0]
	v_pk_fma_f32 v[12:13], v[12:13], v[14:15], v[16:17] op_sel:[0,0,1] op_sel_hi:[0,1,0] neg_lo:[0,0,1] neg_hi:[0,0,1]
	v_mov_b32_e32 v19, v13
	v_pk_add_f32 v[0:1], v[0:1], v[18:19]
	s_andn2_b64 exec, exec, s[2:3]
	s_cbranch_execnz .LBB110_3
; %bb.4:
	s_or_b64 exec, exec, s[2:3]
.LBB110_5:
	s_or_b64 exec, exec, s[8:9]
	v_mbcnt_lo_u32_b32 v4, -1, 0
	v_mbcnt_hi_u32_b32 v6, -1, v4
	v_and_b32_e32 v7, 63, v6
	v_cmp_gt_u32_e32 vcc, 48, v7
	v_cndmask_b32_e64 v4, 0, 1, vcc
	v_lshlrev_b32_e32 v4, 4, v4
	v_add_lshl_u32 v5, v4, v6, 2
	ds_bpermute_b32 v4, v5, v0
	ds_bpermute_b32 v5, v5, v1
	v_cmp_gt_u32_e32 vcc, 56, v7
	v_cndmask_b32_e64 v9, 0, 1, vcc
	v_lshlrev_b32_e32 v9, 3, v9
	v_add_lshl_u32 v9, v9, v6, 2
	s_waitcnt lgkmcnt(0)
	v_pk_add_f32 v[0:1], v[0:1], v[4:5]
	ds_bpermute_b32 v4, v9, v0
	ds_bpermute_b32 v5, v9, v1
	v_cmp_gt_u32_e32 vcc, 60, v7
	v_cndmask_b32_e64 v9, 0, 1, vcc
	v_lshlrev_b32_e32 v9, 2, v9
	v_add_lshl_u32 v9, v9, v6, 2
	s_waitcnt lgkmcnt(0)
	v_pk_add_f32 v[0:1], v[0:1], v[4:5]
	;; [unrolled: 8-line block ×3, first 2 shown]
	ds_bpermute_b32 v4, v9, v0
	ds_bpermute_b32 v5, v9, v1
	v_cmp_ne_u32_e32 vcc, 63, v7
	s_waitcnt lgkmcnt(0)
	s_barrier
	v_pk_add_f32 v[0:1], v[0:1], v[4:5]
	v_addc_co_u32_e32 v4, vcc, 0, v6, vcc
	v_lshlrev_b32_e32 v5, 2, v4
	ds_bpermute_b32 v4, v5, v0
	ds_bpermute_b32 v5, v5, v1
	v_cmp_eq_u32_e32 vcc, 0, v8
	s_and_b64 exec, exec, vcc
	s_cbranch_execz .LBB110_7
; %bb.6:
	v_lshlrev_b64 v[2:3], 3, v[2:3]
	v_mov_b32_e32 v6, s7
	v_add_co_u32_e32 v2, vcc, s6, v2
	v_addc_co_u32_e32 v3, vcc, v6, v3, vcc
	s_waitcnt lgkmcnt(0)
	v_pk_add_f32 v[0:1], v[0:1], v[4:5]
	global_store_dwordx2 v[2:3], v[0:1], off
.LBB110_7:
	s_endpgm
	.section	.rodata,"a",@progbits
	.p2align	6, 0x0
	.amdhsa_kernel _ZL28rocblas_dot_batched_4_kernelIiLi32ELi4ELb1E19rocblas_complex_numIfES1_PKS1_EviT5_lT_lS4_lS5_liPT4_
		.amdhsa_group_segment_fixed_size 0
		.amdhsa_private_segment_fixed_size 0
		.amdhsa_kernarg_size 88
		.amdhsa_user_sgpr_count 6
		.amdhsa_user_sgpr_private_segment_buffer 1
		.amdhsa_user_sgpr_dispatch_ptr 0
		.amdhsa_user_sgpr_queue_ptr 0
		.amdhsa_user_sgpr_kernarg_segment_ptr 1
		.amdhsa_user_sgpr_dispatch_id 0
		.amdhsa_user_sgpr_flat_scratch_init 0
		.amdhsa_user_sgpr_kernarg_preload_length 0
		.amdhsa_user_sgpr_kernarg_preload_offset 0
		.amdhsa_user_sgpr_private_segment_size 0
		.amdhsa_uses_dynamic_stack 0
		.amdhsa_system_sgpr_private_segment_wavefront_offset 0
		.amdhsa_system_sgpr_workgroup_id_x 1
		.amdhsa_system_sgpr_workgroup_id_y 0
		.amdhsa_system_sgpr_workgroup_id_z 0
		.amdhsa_system_sgpr_workgroup_info 0
		.amdhsa_system_vgpr_workitem_id 1
		.amdhsa_next_free_vgpr 20
		.amdhsa_next_free_sgpr 24
		.amdhsa_accum_offset 20
		.amdhsa_reserve_vcc 1
		.amdhsa_reserve_flat_scratch 0
		.amdhsa_float_round_mode_32 0
		.amdhsa_float_round_mode_16_64 0
		.amdhsa_float_denorm_mode_32 3
		.amdhsa_float_denorm_mode_16_64 3
		.amdhsa_dx10_clamp 1
		.amdhsa_ieee_mode 1
		.amdhsa_fp16_overflow 0
		.amdhsa_tg_split 0
		.amdhsa_exception_fp_ieee_invalid_op 0
		.amdhsa_exception_fp_denorm_src 0
		.amdhsa_exception_fp_ieee_div_zero 0
		.amdhsa_exception_fp_ieee_overflow 0
		.amdhsa_exception_fp_ieee_underflow 0
		.amdhsa_exception_fp_ieee_inexact 0
		.amdhsa_exception_int_div_zero 0
	.end_amdhsa_kernel
	.section	.text._ZL28rocblas_dot_batched_4_kernelIiLi32ELi4ELb1E19rocblas_complex_numIfES1_PKS1_EviT5_lT_lS4_lS5_liPT4_,"axG",@progbits,_ZL28rocblas_dot_batched_4_kernelIiLi32ELi4ELb1E19rocblas_complex_numIfES1_PKS1_EviT5_lT_lS4_lS5_liPT4_,comdat
.Lfunc_end110:
	.size	_ZL28rocblas_dot_batched_4_kernelIiLi32ELi4ELb1E19rocblas_complex_numIfES1_PKS1_EviT5_lT_lS4_lS5_liPT4_, .Lfunc_end110-_ZL28rocblas_dot_batched_4_kernelIiLi32ELi4ELb1E19rocblas_complex_numIfES1_PKS1_EviT5_lT_lS4_lS5_liPT4_
                                        ; -- End function
	.section	.AMDGPU.csdata,"",@progbits
; Kernel info:
; codeLenInByte = 768
; NumSgprs: 28
; NumVgprs: 20
; NumAgprs: 0
; TotalNumVgprs: 20
; ScratchSize: 0
; MemoryBound: 0
; FloatMode: 240
; IeeeMode: 1
; LDSByteSize: 0 bytes/workgroup (compile time only)
; SGPRBlocks: 3
; VGPRBlocks: 2
; NumSGPRsForWavesPerEU: 28
; NumVGPRsForWavesPerEU: 20
; AccumOffset: 20
; Occupancy: 8
; WaveLimiterHint : 0
; COMPUTE_PGM_RSRC2:SCRATCH_EN: 0
; COMPUTE_PGM_RSRC2:USER_SGPR: 6
; COMPUTE_PGM_RSRC2:TRAP_HANDLER: 0
; COMPUTE_PGM_RSRC2:TGID_X_EN: 1
; COMPUTE_PGM_RSRC2:TGID_Y_EN: 0
; COMPUTE_PGM_RSRC2:TGID_Z_EN: 0
; COMPUTE_PGM_RSRC2:TIDIG_COMP_CNT: 1
; COMPUTE_PGM_RSRC3_GFX90A:ACCUM_OFFSET: 4
; COMPUTE_PGM_RSRC3_GFX90A:TG_SPLIT: 0
	.section	.text._ZL28rocblas_dot_batched_4_kernelIiLi64ELi4ELb1E19rocblas_complex_numIfES1_PKS1_EviT5_lT_lS4_lS5_liPT4_,"axG",@progbits,_ZL28rocblas_dot_batched_4_kernelIiLi64ELi4ELb1E19rocblas_complex_numIfES1_PKS1_EviT5_lT_lS4_lS5_liPT4_,comdat
	.globl	_ZL28rocblas_dot_batched_4_kernelIiLi64ELi4ELb1E19rocblas_complex_numIfES1_PKS1_EviT5_lT_lS4_lS5_liPT4_ ; -- Begin function _ZL28rocblas_dot_batched_4_kernelIiLi64ELi4ELb1E19rocblas_complex_numIfES1_PKS1_EviT5_lT_lS4_lS5_liPT4_
	.p2align	8
	.type	_ZL28rocblas_dot_batched_4_kernelIiLi64ELi4ELb1E19rocblas_complex_numIfES1_PKS1_EviT5_lT_lS4_lS5_liPT4_,@function
_ZL28rocblas_dot_batched_4_kernelIiLi64ELi4ELb1E19rocblas_complex_numIfES1_PKS1_EviT5_lT_lS4_lS5_liPT4_: ; @_ZL28rocblas_dot_batched_4_kernelIiLi64ELi4ELb1E19rocblas_complex_numIfES1_PKS1_EviT5_lT_lS4_lS5_liPT4_
; %bb.0:
	s_load_dword s0, s[4:5], 0x48
	v_bfe_u32 v1, v0, 10, 10
	v_lshl_add_u32 v2, s6, 2, v1
	s_waitcnt lgkmcnt(0)
	v_cmp_gt_u32_e32 vcc, s0, v2
	s_and_saveexec_b64 s[0:1], vcc
	s_cbranch_execz .LBB111_7
; %bb.1:
	s_load_dword s10, s[4:5], 0x0
	s_load_dwordx2 s[6:7], s[4:5], 0x50
	v_mov_b32_e32 v3, 0
	v_and_b32_e32 v8, 0x3ff, v0
	v_mov_b32_e32 v1, v3
	s_waitcnt lgkmcnt(0)
	v_cmp_gt_i32_e32 vcc, s10, v8
	v_mov_b32_e32 v0, v3
	s_and_saveexec_b64 s[8:9], vcc
	s_cbranch_execz .LBB111_5
; %bb.2:
	s_load_dwordx4 s[12:15], s[4:5], 0x8
	s_load_dword s16, s[4:5], 0x18
	s_load_dword s18, s[4:5], 0x38
	s_load_dwordx4 s[0:3], s[4:5], 0x20
	s_load_dwordx2 s[20:21], s[4:5], 0x30
	s_load_dwordx2 s[22:23], s[4:5], 0x40
	s_waitcnt lgkmcnt(0)
	v_mad_i64_i32 v[0:1], s[4:5], s16, v8, 0
	v_mad_u64_u32 v[4:5], s[4:5], s0, v2, 0
	v_mov_b32_e32 v6, v5
	v_mad_u64_u32 v[6:7], s[0:1], s1, v2, v[6:7]
	v_mov_b32_e32 v5, v6
	s_ashr_i32 s17, s16, 31
	s_ashr_i32 s19, s18, 31
	v_lshlrev_b64 v[0:1], 3, v[0:1]
	v_lshlrev_b64 v[4:5], 3, v[4:5]
	s_lshl_b64 s[0:1], s[14:15], 3
	v_add_co_u32_e32 v0, vcc, v0, v4
	s_add_u32 s0, s12, s0
	v_addc_co_u32_e32 v1, vcc, v1, v5, vcc
	s_addc_u32 s1, s13, s1
	v_mov_b32_e32 v4, s1
	v_add_co_u32_e32 v0, vcc, s0, v0
	v_mad_u64_u32 v[6:7], s[4:5], s22, v2, 0
	v_addc_co_u32_e32 v1, vcc, v4, v1, vcc
	v_mov_b32_e32 v10, v7
	v_add_co_u32_e32 v4, vcc, 4, v0
	v_mad_u64_u32 v[10:11], s[4:5], s23, v2, v[10:11]
	v_addc_co_u32_e32 v5, vcc, 0, v1, vcc
	v_mad_i64_i32 v[0:1], s[4:5], s18, v8, 0
	v_mov_b32_e32 v7, v10
	s_lshl_b64 s[0:1], s[16:17], 9
	v_lshlrev_b64 v[0:1], 3, v[0:1]
	v_lshlrev_b64 v[6:7], 3, v[6:7]
	s_lshl_b64 s[4:5], s[20:21], 3
	v_add_co_u32_e32 v0, vcc, v0, v6
	s_add_u32 s2, s2, s4
	v_addc_co_u32_e32 v1, vcc, v1, v7, vcc
	s_addc_u32 s3, s3, s5
	v_mov_b32_e32 v7, s3
	v_add_co_u32_e32 v6, vcc, s2, v0
	s_lshl_b64 s[4:5], s[18:19], 9
	v_mov_b32_e32 v0, 0
	v_addc_co_u32_e32 v7, vcc, v7, v1, vcc
	s_mov_b64 s[2:3], 0
	v_mov_b32_e32 v9, s1
	v_mov_b32_e32 v10, s5
	;; [unrolled: 1-line block ×4, first 2 shown]
.LBB111_3:                              ; =>This Inner Loop Header: Depth=1
	global_load_dwordx2 v[12:13], v[4:5], off offset:-4
	global_load_dwordx2 v[14:15], v[6:7], off
	v_add_co_u32_e32 v4, vcc, s0, v4
	v_addc_co_u32_e32 v5, vcc, v5, v9, vcc
	v_add_co_u32_e32 v6, vcc, s4, v6
	v_add_u32_e32 v11, 64, v11
	v_addc_co_u32_e32 v7, vcc, v7, v10, vcc
	v_cmp_le_i32_e32 vcc, s10, v11
	s_or_b64 s[2:3], vcc, s[2:3]
	s_waitcnt vmcnt(0)
	v_pk_mul_f32 v[16:17], v[12:13], v[14:15] op_sel:[1,0]
	v_pk_fma_f32 v[18:19], v[12:13], v[14:15], v[16:17] op_sel:[0,0,1] op_sel_hi:[1,1,0]
	v_pk_fma_f32 v[12:13], v[12:13], v[14:15], v[16:17] op_sel:[0,0,1] op_sel_hi:[0,1,0] neg_lo:[0,0,1] neg_hi:[0,0,1]
	v_mov_b32_e32 v19, v13
	v_pk_add_f32 v[0:1], v[0:1], v[18:19]
	s_andn2_b64 exec, exec, s[2:3]
	s_cbranch_execnz .LBB111_3
; %bb.4:
	s_or_b64 exec, exec, s[2:3]
.LBB111_5:
	s_or_b64 exec, exec, s[8:9]
	v_mbcnt_lo_u32_b32 v4, -1, 0
	v_mbcnt_hi_u32_b32 v6, -1, v4
	v_and_b32_e32 v7, 63, v6
	v_cmp_gt_u32_e32 vcc, 32, v7
	v_cndmask_b32_e64 v4, 0, 1, vcc
	v_lshlrev_b32_e32 v4, 5, v4
	v_add_lshl_u32 v5, v4, v6, 2
	ds_bpermute_b32 v4, v5, v0
	ds_bpermute_b32 v5, v5, v1
	v_cmp_gt_u32_e32 vcc, 48, v7
	v_cndmask_b32_e64 v9, 0, 1, vcc
	v_lshlrev_b32_e32 v9, 4, v9
	v_add_lshl_u32 v9, v9, v6, 2
	s_waitcnt lgkmcnt(0)
	v_pk_add_f32 v[0:1], v[0:1], v[4:5]
	ds_bpermute_b32 v4, v9, v0
	ds_bpermute_b32 v5, v9, v1
	v_cmp_gt_u32_e32 vcc, 56, v7
	v_cndmask_b32_e64 v9, 0, 1, vcc
	v_lshlrev_b32_e32 v9, 3, v9
	v_add_lshl_u32 v9, v9, v6, 2
	s_waitcnt lgkmcnt(0)
	v_pk_add_f32 v[0:1], v[0:1], v[4:5]
	;; [unrolled: 8-line block ×4, first 2 shown]
	ds_bpermute_b32 v4, v9, v0
	ds_bpermute_b32 v5, v9, v1
	v_cmp_ne_u32_e32 vcc, 63, v7
	s_waitcnt lgkmcnt(0)
	s_barrier
	v_pk_add_f32 v[0:1], v[0:1], v[4:5]
	v_addc_co_u32_e32 v4, vcc, 0, v6, vcc
	v_lshlrev_b32_e32 v5, 2, v4
	ds_bpermute_b32 v4, v5, v0
	ds_bpermute_b32 v5, v5, v1
	v_cmp_eq_u32_e32 vcc, 0, v8
	s_and_b64 exec, exec, vcc
	s_cbranch_execz .LBB111_7
; %bb.6:
	v_lshlrev_b64 v[2:3], 3, v[2:3]
	v_mov_b32_e32 v6, s7
	v_add_co_u32_e32 v2, vcc, s6, v2
	v_addc_co_u32_e32 v3, vcc, v6, v3, vcc
	s_waitcnt lgkmcnt(0)
	v_pk_add_f32 v[0:1], v[0:1], v[4:5]
	global_store_dwordx2 v[2:3], v[0:1], off
.LBB111_7:
	s_endpgm
	.section	.rodata,"a",@progbits
	.p2align	6, 0x0
	.amdhsa_kernel _ZL28rocblas_dot_batched_4_kernelIiLi64ELi4ELb1E19rocblas_complex_numIfES1_PKS1_EviT5_lT_lS4_lS5_liPT4_
		.amdhsa_group_segment_fixed_size 0
		.amdhsa_private_segment_fixed_size 0
		.amdhsa_kernarg_size 88
		.amdhsa_user_sgpr_count 6
		.amdhsa_user_sgpr_private_segment_buffer 1
		.amdhsa_user_sgpr_dispatch_ptr 0
		.amdhsa_user_sgpr_queue_ptr 0
		.amdhsa_user_sgpr_kernarg_segment_ptr 1
		.amdhsa_user_sgpr_dispatch_id 0
		.amdhsa_user_sgpr_flat_scratch_init 0
		.amdhsa_user_sgpr_kernarg_preload_length 0
		.amdhsa_user_sgpr_kernarg_preload_offset 0
		.amdhsa_user_sgpr_private_segment_size 0
		.amdhsa_uses_dynamic_stack 0
		.amdhsa_system_sgpr_private_segment_wavefront_offset 0
		.amdhsa_system_sgpr_workgroup_id_x 1
		.amdhsa_system_sgpr_workgroup_id_y 0
		.amdhsa_system_sgpr_workgroup_id_z 0
		.amdhsa_system_sgpr_workgroup_info 0
		.amdhsa_system_vgpr_workitem_id 1
		.amdhsa_next_free_vgpr 20
		.amdhsa_next_free_sgpr 24
		.amdhsa_accum_offset 20
		.amdhsa_reserve_vcc 1
		.amdhsa_reserve_flat_scratch 0
		.amdhsa_float_round_mode_32 0
		.amdhsa_float_round_mode_16_64 0
		.amdhsa_float_denorm_mode_32 3
		.amdhsa_float_denorm_mode_16_64 3
		.amdhsa_dx10_clamp 1
		.amdhsa_ieee_mode 1
		.amdhsa_fp16_overflow 0
		.amdhsa_tg_split 0
		.amdhsa_exception_fp_ieee_invalid_op 0
		.amdhsa_exception_fp_denorm_src 0
		.amdhsa_exception_fp_ieee_div_zero 0
		.amdhsa_exception_fp_ieee_overflow 0
		.amdhsa_exception_fp_ieee_underflow 0
		.amdhsa_exception_fp_ieee_inexact 0
		.amdhsa_exception_int_div_zero 0
	.end_amdhsa_kernel
	.section	.text._ZL28rocblas_dot_batched_4_kernelIiLi64ELi4ELb1E19rocblas_complex_numIfES1_PKS1_EviT5_lT_lS4_lS5_liPT4_,"axG",@progbits,_ZL28rocblas_dot_batched_4_kernelIiLi64ELi4ELb1E19rocblas_complex_numIfES1_PKS1_EviT5_lT_lS4_lS5_liPT4_,comdat
.Lfunc_end111:
	.size	_ZL28rocblas_dot_batched_4_kernelIiLi64ELi4ELb1E19rocblas_complex_numIfES1_PKS1_EviT5_lT_lS4_lS5_liPT4_, .Lfunc_end111-_ZL28rocblas_dot_batched_4_kernelIiLi64ELi4ELb1E19rocblas_complex_numIfES1_PKS1_EviT5_lT_lS4_lS5_liPT4_
                                        ; -- End function
	.section	.AMDGPU.csdata,"",@progbits
; Kernel info:
; codeLenInByte = 820
; NumSgprs: 28
; NumVgprs: 20
; NumAgprs: 0
; TotalNumVgprs: 20
; ScratchSize: 0
; MemoryBound: 0
; FloatMode: 240
; IeeeMode: 1
; LDSByteSize: 0 bytes/workgroup (compile time only)
; SGPRBlocks: 3
; VGPRBlocks: 2
; NumSGPRsForWavesPerEU: 28
; NumVGPRsForWavesPerEU: 20
; AccumOffset: 20
; Occupancy: 8
; WaveLimiterHint : 0
; COMPUTE_PGM_RSRC2:SCRATCH_EN: 0
; COMPUTE_PGM_RSRC2:USER_SGPR: 6
; COMPUTE_PGM_RSRC2:TRAP_HANDLER: 0
; COMPUTE_PGM_RSRC2:TGID_X_EN: 1
; COMPUTE_PGM_RSRC2:TGID_Y_EN: 0
; COMPUTE_PGM_RSRC2:TGID_Z_EN: 0
; COMPUTE_PGM_RSRC2:TIDIG_COMP_CNT: 1
; COMPUTE_PGM_RSRC3_GFX90A:ACCUM_OFFSET: 4
; COMPUTE_PGM_RSRC3_GFX90A:TG_SPLIT: 0
	.section	.text._ZL26rocblas_dot_kernel_inc1by2ILb1ELi1024ELi32ELb1E19rocblas_complex_numIfEPKS1_S1_EviT4_llS4_lliPT5_PT3_,"axG",@progbits,_ZL26rocblas_dot_kernel_inc1by2ILb1ELi1024ELi32ELb1E19rocblas_complex_numIfEPKS1_S1_EviT4_llS4_lliPT5_PT3_,comdat
	.globl	_ZL26rocblas_dot_kernel_inc1by2ILb1ELi1024ELi32ELb1E19rocblas_complex_numIfEPKS1_S1_EviT4_llS4_lliPT5_PT3_ ; -- Begin function _ZL26rocblas_dot_kernel_inc1by2ILb1ELi1024ELi32ELb1E19rocblas_complex_numIfEPKS1_S1_EviT4_llS4_lliPT5_PT3_
	.p2align	8
	.type	_ZL26rocblas_dot_kernel_inc1by2ILb1ELi1024ELi32ELb1E19rocblas_complex_numIfEPKS1_S1_EviT4_llS4_lliPT5_PT3_,@function
_ZL26rocblas_dot_kernel_inc1by2ILb1ELi1024ELi32ELb1E19rocblas_complex_numIfEPKS1_S1_EviT4_llS4_lliPT5_PT3_: ; @_ZL26rocblas_dot_kernel_inc1by2ILb1ELi1024ELi32ELb1E19rocblas_complex_numIfEPKS1_S1_EviT4_llS4_lliPT5_PT3_
; %bb.0:
	s_mov_b32 s2, s7
	s_load_dword s10, s[4:5], 0x0
	s_load_dwordx2 s[6:7], s[4:5], 0x48
	v_mov_b32_e32 v3, 0
	s_mov_b32 s3, 0
	v_mov_b32_e32 v2, v3
	s_waitcnt lgkmcnt(0)
	v_cmp_gt_i32_e32 vcc, s10, v0
	s_and_saveexec_b64 s[8:9], vcc
	s_cbranch_execz .LBB112_4
; %bb.1:
	s_load_dwordx4 s[12:15], s[4:5], 0x28
	s_load_dwordx2 s[0:1], s[4:5], 0x20
	s_load_dwordx2 s[20:21], s[4:5], 0x8
	s_load_dwordx4 s[16:19], s[4:5], 0x10
	v_lshlrev_b32_e32 v2, 3, v0
	s_waitcnt lgkmcnt(0)
	s_mul_i32 s4, s15, s2
	s_mul_hi_u32 s5, s14, s2
	s_add_i32 s5, s5, s4
	s_mul_i32 s4, s14, s2
	s_lshl_b64 s[4:5], s[4:5], 3
	s_lshl_b64 s[12:13], s[12:13], 3
	s_add_u32 s4, s4, s12
	s_addc_u32 s5, s5, s13
	s_add_u32 s0, s0, s4
	s_addc_u32 s1, s1, s5
	v_mov_b32_e32 v3, s1
	v_add_co_u32_e32 v4, vcc, s0, v2
	s_mul_i32 s0, s19, s2
	s_mul_hi_u32 s1, s18, s2
	s_add_i32 s1, s1, s0
	s_mul_i32 s0, s18, s2
	s_lshl_b64 s[0:1], s[0:1], 3
	s_lshl_b64 s[4:5], s[16:17], 3
	s_add_u32 s0, s0, s4
	s_addc_u32 s1, s1, s5
	s_add_u32 s0, s20, s0
	v_addc_co_u32_e32 v5, vcc, 0, v3, vcc
	s_addc_u32 s1, s21, s1
	v_mov_b32_e32 v3, s1
	v_add_co_u32_e32 v6, vcc, s0, v2
	v_mov_b32_e32 v2, 0
	v_or_b32_e32 v1, 0x400, v0
	v_addc_co_u32_e32 v7, vcc, 0, v3, vcc
	s_mov_b64 s[4:5], 0
	s_mov_b32 s11, s3
	v_mov_b32_e32 v3, v2
.LBB112_2:                              ; =>This Inner Loop Header: Depth=1
	global_load_dwordx2 v[8:9], v[4:5], off
	global_load_dwordx2 v[10:11], v[6:7], off
	s_add_i32 s12, s11, 1
	s_cmp_gt_u32 s11, 30
	v_cmp_le_i32_e64 s[0:1], s10, v1
	v_add_co_u32_e32 v4, vcc, 0x2000, v4
	s_mov_b32 s11, s12
	s_cselect_b64 s[12:13], -1, 0
	v_addc_co_u32_e32 v5, vcc, 0, v5, vcc
	s_or_b64 s[0:1], s[12:13], s[0:1]
	v_add_co_u32_e32 v6, vcc, 0x2000, v6
	s_and_b64 s[0:1], exec, s[0:1]
	v_add_u32_e32 v1, 0x400, v1
	v_addc_co_u32_e32 v7, vcc, 0, v7, vcc
	s_or_b64 s[4:5], s[0:1], s[4:5]
	s_waitcnt vmcnt(0)
	v_pk_mul_f32 v[12:13], v[10:11], v[8:9] op_sel:[0,1]
	v_pk_fma_f32 v[14:15], v[10:11], v[8:9], v[12:13] op_sel:[0,0,1] op_sel_hi:[1,1,0]
	v_pk_fma_f32 v[8:9], v[10:11], v[8:9], v[12:13] op_sel:[0,0,1] op_sel_hi:[1,0,0] neg_lo:[1,0,0] neg_hi:[1,0,0]
	v_mov_b32_e32 v15, v9
	v_pk_add_f32 v[2:3], v[2:3], v[14:15]
	s_andn2_b64 exec, exec, s[4:5]
	s_cbranch_execnz .LBB112_2
; %bb.3:
	s_or_b64 exec, exec, s[4:5]
.LBB112_4:
	s_or_b64 exec, exec, s[8:9]
	v_and_b32_e32 v6, 63, v0
	v_cmp_gt_u32_e32 vcc, 64, v0
	v_lshlrev_b32_e32 v1, 3, v6
	s_and_saveexec_b64 s[0:1], vcc
	s_cbranch_execz .LBB112_6
; %bb.5:
	v_mov_b32_e32 v4, 0
	v_mov_b32_e32 v5, v4
	ds_write_b64 v1, v[4:5]
.LBB112_6:
	s_or_b64 exec, exec, s[0:1]
	v_mbcnt_lo_u32_b32 v4, -1, 0
	v_mbcnt_hi_u32_b32 v10, -1, v4
	v_and_b32_e32 v11, 63, v10
	v_cmp_gt_u32_e64 s[0:1], 32, v11
	v_cndmask_b32_e64 v4, 0, 1, s[0:1]
	v_lshlrev_b32_e32 v4, 5, v4
	v_add_lshl_u32 v5, v4, v10, 2
	ds_bpermute_b32 v4, v5, v2
	ds_bpermute_b32 v5, v5, v3
	v_cmp_gt_u32_e64 s[0:1], 48, v11
	v_cndmask_b32_e64 v7, 0, 1, s[0:1]
	v_lshlrev_b32_e32 v7, 4, v7
	v_add_lshl_u32 v7, v7, v10, 2
	s_waitcnt lgkmcnt(0)
	v_pk_add_f32 v[2:3], v[2:3], v[4:5]
	ds_bpermute_b32 v4, v7, v2
	ds_bpermute_b32 v5, v7, v3
	v_cmp_gt_u32_e64 s[0:1], 56, v11
	v_cndmask_b32_e64 v7, 0, 1, s[0:1]
	v_lshlrev_b32_e32 v7, 3, v7
	v_add_lshl_u32 v7, v7, v10, 2
	s_waitcnt lgkmcnt(0)
	v_pk_add_f32 v[2:3], v[2:3], v[4:5]
	;; [unrolled: 8-line block ×4, first 2 shown]
	ds_bpermute_b32 v4, v9, v2
	ds_bpermute_b32 v5, v9, v3
	v_cmp_ne_u32_e64 s[0:1], 63, v11
	s_waitcnt lgkmcnt(0)
	s_barrier
	v_pk_add_f32 v[2:3], v[2:3], v[4:5]
	v_addc_co_u32_e64 v4, s[0:1], 0, v10, s[0:1]
	v_lshlrev_b32_e32 v10, 2, v4
	ds_bpermute_b32 v4, v10, v2
	ds_bpermute_b32 v5, v10, v3
	v_cmp_eq_u32_e64 s[0:1], 0, v6
	s_and_saveexec_b64 s[4:5], s[0:1]
	s_cbranch_execz .LBB112_8
; %bb.7:
	v_lshrrev_b32_e32 v6, 3, v0
	v_and_b32_e32 v6, 0x78, v6
	s_waitcnt lgkmcnt(0)
	v_pk_add_f32 v[2:3], v[2:3], v[4:5]
	ds_write_b64 v6, v[2:3]
.LBB112_8:
	s_or_b64 exec, exec, s[4:5]
	v_cmp_gt_u32_e64 s[0:1], 16, v0
	v_mov_b32_e32 v2, 0
	v_mov_b32_e32 v3, 0
	s_waitcnt lgkmcnt(0)
	s_barrier
	s_and_saveexec_b64 s[4:5], s[0:1]
	s_cbranch_execnz .LBB112_12
; %bb.9:
	s_or_b64 exec, exec, s[4:5]
	s_and_saveexec_b64 s[0:1], vcc
	s_cbranch_execnz .LBB112_13
.LBB112_10:
	s_or_b64 exec, exec, s[0:1]
	v_cmp_eq_u32_e32 vcc, 0, v0
	s_and_saveexec_b64 s[0:1], vcc
	s_cbranch_execnz .LBB112_14
.LBB112_11:
	s_endpgm
.LBB112_12:
	ds_read_b64 v[2:3], v1
	s_or_b64 exec, exec, s[4:5]
	s_and_saveexec_b64 s[0:1], vcc
	s_cbranch_execz .LBB112_10
.LBB112_13:
	s_waitcnt lgkmcnt(0)
	ds_bpermute_b32 v4, v7, v2
	ds_bpermute_b32 v5, v7, v3
	s_waitcnt lgkmcnt(0)
	v_pk_add_f32 v[2:3], v[2:3], v[4:5]
	ds_bpermute_b32 v4, v8, v2
	ds_bpermute_b32 v5, v8, v3
	s_waitcnt lgkmcnt(0)
	v_pk_add_f32 v[2:3], v[2:3], v[4:5]
	;; [unrolled: 4-line block ×4, first 2 shown]
	s_or_b64 exec, exec, s[0:1]
	v_cmp_eq_u32_e32 vcc, 0, v0
	s_and_saveexec_b64 s[0:1], vcc
	s_cbranch_execz .LBB112_11
.LBB112_14:
	s_lshl_b64 s[0:1], s[2:3], 3
	s_add_u32 s0, s6, s0
	s_addc_u32 s1, s7, s1
	v_mov_b32_e32 v0, 0
	s_waitcnt lgkmcnt(0)
	global_store_dwordx2 v0, v[2:3], s[0:1]
	s_endpgm
	.section	.rodata,"a",@progbits
	.p2align	6, 0x0
	.amdhsa_kernel _ZL26rocblas_dot_kernel_inc1by2ILb1ELi1024ELi32ELb1E19rocblas_complex_numIfEPKS1_S1_EviT4_llS4_lliPT5_PT3_
		.amdhsa_group_segment_fixed_size 512
		.amdhsa_private_segment_fixed_size 0
		.amdhsa_kernarg_size 80
		.amdhsa_user_sgpr_count 6
		.amdhsa_user_sgpr_private_segment_buffer 1
		.amdhsa_user_sgpr_dispatch_ptr 0
		.amdhsa_user_sgpr_queue_ptr 0
		.amdhsa_user_sgpr_kernarg_segment_ptr 1
		.amdhsa_user_sgpr_dispatch_id 0
		.amdhsa_user_sgpr_flat_scratch_init 0
		.amdhsa_user_sgpr_kernarg_preload_length 0
		.amdhsa_user_sgpr_kernarg_preload_offset 0
		.amdhsa_user_sgpr_private_segment_size 0
		.amdhsa_uses_dynamic_stack 0
		.amdhsa_system_sgpr_private_segment_wavefront_offset 0
		.amdhsa_system_sgpr_workgroup_id_x 1
		.amdhsa_system_sgpr_workgroup_id_y 0
		.amdhsa_system_sgpr_workgroup_id_z 1
		.amdhsa_system_sgpr_workgroup_info 0
		.amdhsa_system_vgpr_workitem_id 0
		.amdhsa_next_free_vgpr 16
		.amdhsa_next_free_sgpr 22
		.amdhsa_accum_offset 16
		.amdhsa_reserve_vcc 1
		.amdhsa_reserve_flat_scratch 0
		.amdhsa_float_round_mode_32 0
		.amdhsa_float_round_mode_16_64 0
		.amdhsa_float_denorm_mode_32 3
		.amdhsa_float_denorm_mode_16_64 3
		.amdhsa_dx10_clamp 1
		.amdhsa_ieee_mode 1
		.amdhsa_fp16_overflow 0
		.amdhsa_tg_split 0
		.amdhsa_exception_fp_ieee_invalid_op 0
		.amdhsa_exception_fp_denorm_src 0
		.amdhsa_exception_fp_ieee_div_zero 0
		.amdhsa_exception_fp_ieee_overflow 0
		.amdhsa_exception_fp_ieee_underflow 0
		.amdhsa_exception_fp_ieee_inexact 0
		.amdhsa_exception_int_div_zero 0
	.end_amdhsa_kernel
	.section	.text._ZL26rocblas_dot_kernel_inc1by2ILb1ELi1024ELi32ELb1E19rocblas_complex_numIfEPKS1_S1_EviT4_llS4_lliPT5_PT3_,"axG",@progbits,_ZL26rocblas_dot_kernel_inc1by2ILb1ELi1024ELi32ELb1E19rocblas_complex_numIfEPKS1_S1_EviT4_llS4_lliPT5_PT3_,comdat
.Lfunc_end112:
	.size	_ZL26rocblas_dot_kernel_inc1by2ILb1ELi1024ELi32ELb1E19rocblas_complex_numIfEPKS1_S1_EviT4_llS4_lliPT5_PT3_, .Lfunc_end112-_ZL26rocblas_dot_kernel_inc1by2ILb1ELi1024ELi32ELb1E19rocblas_complex_numIfEPKS1_S1_EviT4_llS4_lliPT5_PT3_
                                        ; -- End function
	.section	.AMDGPU.csdata,"",@progbits
; Kernel info:
; codeLenInByte = 1036
; NumSgprs: 26
; NumVgprs: 16
; NumAgprs: 0
; TotalNumVgprs: 16
; ScratchSize: 0
; MemoryBound: 0
; FloatMode: 240
; IeeeMode: 1
; LDSByteSize: 512 bytes/workgroup (compile time only)
; SGPRBlocks: 3
; VGPRBlocks: 1
; NumSGPRsForWavesPerEU: 26
; NumVGPRsForWavesPerEU: 16
; AccumOffset: 16
; Occupancy: 8
; WaveLimiterHint : 0
; COMPUTE_PGM_RSRC2:SCRATCH_EN: 0
; COMPUTE_PGM_RSRC2:USER_SGPR: 6
; COMPUTE_PGM_RSRC2:TRAP_HANDLER: 0
; COMPUTE_PGM_RSRC2:TGID_X_EN: 1
; COMPUTE_PGM_RSRC2:TGID_Y_EN: 0
; COMPUTE_PGM_RSRC2:TGID_Z_EN: 1
; COMPUTE_PGM_RSRC2:TIDIG_COMP_CNT: 0
; COMPUTE_PGM_RSRC3_GFX90A:ACCUM_OFFSET: 3
; COMPUTE_PGM_RSRC3_GFX90A:TG_SPLIT: 0
	.section	.text._ZL18rocblas_dot_kernelIiLb1ELi1024ELi32ELb1E19rocblas_complex_numIfEPKS1_S1_EviT5_lT_lS4_lS5_liPT6_PT4_,"axG",@progbits,_ZL18rocblas_dot_kernelIiLb1ELi1024ELi32ELb1E19rocblas_complex_numIfEPKS1_S1_EviT5_lT_lS4_lS5_liPT6_PT4_,comdat
	.globl	_ZL18rocblas_dot_kernelIiLb1ELi1024ELi32ELb1E19rocblas_complex_numIfEPKS1_S1_EviT5_lT_lS4_lS5_liPT6_PT4_ ; -- Begin function _ZL18rocblas_dot_kernelIiLb1ELi1024ELi32ELb1E19rocblas_complex_numIfEPKS1_S1_EviT5_lT_lS4_lS5_liPT6_PT4_
	.p2align	8
	.type	_ZL18rocblas_dot_kernelIiLb1ELi1024ELi32ELb1E19rocblas_complex_numIfEPKS1_S1_EviT5_lT_lS4_lS5_liPT6_PT4_,@function
_ZL18rocblas_dot_kernelIiLb1ELi1024ELi32ELb1E19rocblas_complex_numIfEPKS1_S1_EviT5_lT_lS4_lS5_liPT6_PT4_: ; @_ZL18rocblas_dot_kernelIiLb1ELi1024ELi32ELb1E19rocblas_complex_numIfEPKS1_S1_EviT5_lT_lS4_lS5_liPT6_PT4_
; %bb.0:
	s_load_dword s14, s[4:5], 0x0
	s_load_dwordx2 s[8:9], s[4:5], 0x58
	v_mov_b32_e32 v3, 0
	s_mov_b32 s6, s7
	s_mov_b32 s7, 0
	s_waitcnt lgkmcnt(0)
	v_cmp_gt_i32_e32 vcc, s14, v0
	v_mov_b32_e32 v2, v3
	s_and_saveexec_b64 s[10:11], vcc
	s_cbranch_execz .LBB113_4
; %bb.1:
	s_load_dword s22, s[4:5], 0x38
	s_load_dwordx2 s[12:13], s[4:5], 0x40
	s_load_dword s15, s[4:5], 0x60
	s_load_dwordx4 s[0:3], s[4:5], 0x20
	s_load_dwordx4 s[16:19], s[4:5], 0x8
	s_load_dword s23, s[4:5], 0x18
	s_load_dwordx2 s[20:21], s[4:5], 0x30
	s_waitcnt lgkmcnt(0)
	s_lshl_b32 s15, s15, 10
	s_mul_i32 s1, s1, s6
	s_mul_hi_u32 s4, s0, s6
	s_add_i32 s1, s4, s1
	s_mul_i32 s0, s0, s6
	v_mad_i64_i32 v[2:3], s[4:5], s23, v0, 0
	s_lshl_b64 s[0:1], s[0:1], 3
	s_lshl_b64 s[4:5], s[18:19], 3
	s_add_u32 s4, s16, s4
	s_addc_u32 s5, s17, s5
	s_add_u32 s0, s4, s0
	v_lshlrev_b64 v[2:3], 3, v[2:3]
	s_addc_u32 s1, s5, s1
	v_mov_b32_e32 v5, s1
	v_add_co_u32_e32 v4, vcc, s0, v2
	s_mul_hi_i32 s1, s23, s15
	s_mul_i32 s0, s23, s15
	s_lshl_b64 s[4:5], s[0:1], 3
	s_mul_i32 s0, s13, s6
	s_mul_hi_u32 s1, s12, s6
	v_addc_co_u32_e32 v5, vcc, v5, v3, vcc
	s_add_i32 s1, s1, s0
	s_mul_i32 s0, s12, s6
	v_mad_i64_i32 v[2:3], s[12:13], s22, v0, 0
	s_lshl_b64 s[0:1], s[0:1], 3
	s_lshl_b64 s[12:13], s[20:21], 3
	s_add_u32 s2, s2, s12
	s_addc_u32 s3, s3, s13
	s_add_u32 s0, s2, s0
	v_lshlrev_b64 v[2:3], 3, v[2:3]
	s_addc_u32 s1, s3, s1
	v_mov_b32_e32 v7, s1
	v_add_co_u32_e32 v6, vcc, s0, v2
	s_mul_hi_i32 s1, s22, s15
	s_mul_i32 s0, s22, s15
	s_lshl_b64 s[12:13], s[0:1], 3
	v_mov_b32_e32 v2, 0
	v_or_b32_e32 v1, s15, v0
	v_addc_co_u32_e32 v7, vcc, v7, v3, vcc
	s_mov_b64 s[2:3], 0
	v_mov_b32_e32 v8, s5
	v_mov_b32_e32 v9, s13
	s_mov_b32 s5, s7
	v_mov_b32_e32 v3, v2
.LBB113_2:                              ; =>This Inner Loop Header: Depth=1
	global_load_dwordx2 v[10:11], v[6:7], off
	global_load_dwordx2 v[12:13], v[4:5], off
	v_add_co_u32_e64 v4, s[0:1], s4, v4
	v_addc_co_u32_e64 v5, s[0:1], v5, v8, s[0:1]
	s_add_i32 s13, s5, 1
	v_add_co_u32_e64 v6, s[0:1], s12, v6
	v_addc_co_u32_e64 v7, s[0:1], v7, v9, s[0:1]
	s_cmp_gt_u32 s5, 30
	v_cmp_le_i32_e32 vcc, s14, v1
	s_cselect_b64 s[0:1], -1, 0
	s_or_b64 s[0:1], s[0:1], vcc
	s_and_b64 s[0:1], exec, s[0:1]
	v_add_u32_e32 v1, s15, v1
	s_mov_b32 s5, s13
	s_or_b64 s[2:3], s[0:1], s[2:3]
	s_waitcnt vmcnt(0)
	v_pk_mul_f32 v[14:15], v[12:13], v[10:11] op_sel:[0,1]
	v_pk_fma_f32 v[16:17], v[12:13], v[10:11], v[14:15] op_sel:[0,0,1] op_sel_hi:[1,1,0]
	v_pk_fma_f32 v[10:11], v[12:13], v[10:11], v[14:15] op_sel:[0,0,1] op_sel_hi:[1,0,0] neg_lo:[1,0,0] neg_hi:[1,0,0]
	v_mov_b32_e32 v17, v11
	v_pk_add_f32 v[2:3], v[2:3], v[16:17]
	s_andn2_b64 exec, exec, s[2:3]
	s_cbranch_execnz .LBB113_2
; %bb.3:
	s_or_b64 exec, exec, s[2:3]
.LBB113_4:
	s_or_b64 exec, exec, s[10:11]
	v_and_b32_e32 v6, 63, v0
	v_cmp_gt_u32_e32 vcc, 64, v0
	v_lshlrev_b32_e32 v1, 3, v6
	s_and_saveexec_b64 s[0:1], vcc
	s_cbranch_execz .LBB113_6
; %bb.5:
	v_mov_b32_e32 v4, 0
	v_mov_b32_e32 v5, v4
	ds_write_b64 v1, v[4:5]
.LBB113_6:
	s_or_b64 exec, exec, s[0:1]
	v_mbcnt_lo_u32_b32 v4, -1, 0
	v_mbcnt_hi_u32_b32 v10, -1, v4
	v_and_b32_e32 v11, 63, v10
	v_cmp_gt_u32_e64 s[0:1], 32, v11
	v_cndmask_b32_e64 v4, 0, 1, s[0:1]
	v_lshlrev_b32_e32 v4, 5, v4
	v_add_lshl_u32 v5, v4, v10, 2
	ds_bpermute_b32 v4, v5, v2
	ds_bpermute_b32 v5, v5, v3
	v_cmp_gt_u32_e64 s[0:1], 48, v11
	v_cndmask_b32_e64 v7, 0, 1, s[0:1]
	v_lshlrev_b32_e32 v7, 4, v7
	v_add_lshl_u32 v7, v7, v10, 2
	s_waitcnt lgkmcnt(0)
	v_pk_add_f32 v[2:3], v[2:3], v[4:5]
	ds_bpermute_b32 v4, v7, v2
	ds_bpermute_b32 v5, v7, v3
	v_cmp_gt_u32_e64 s[0:1], 56, v11
	v_cndmask_b32_e64 v7, 0, 1, s[0:1]
	v_lshlrev_b32_e32 v7, 3, v7
	v_add_lshl_u32 v7, v7, v10, 2
	s_waitcnt lgkmcnt(0)
	v_pk_add_f32 v[2:3], v[2:3], v[4:5]
	;; [unrolled: 8-line block ×4, first 2 shown]
	ds_bpermute_b32 v4, v9, v2
	ds_bpermute_b32 v5, v9, v3
	v_cmp_ne_u32_e64 s[0:1], 63, v11
	s_waitcnt lgkmcnt(0)
	s_barrier
	v_pk_add_f32 v[2:3], v[2:3], v[4:5]
	v_addc_co_u32_e64 v4, s[0:1], 0, v10, s[0:1]
	v_lshlrev_b32_e32 v10, 2, v4
	ds_bpermute_b32 v4, v10, v2
	ds_bpermute_b32 v5, v10, v3
	v_cmp_eq_u32_e64 s[0:1], 0, v6
	s_and_saveexec_b64 s[2:3], s[0:1]
	s_cbranch_execz .LBB113_8
; %bb.7:
	v_lshrrev_b32_e32 v6, 3, v0
	v_and_b32_e32 v6, 0x78, v6
	s_waitcnt lgkmcnt(0)
	v_pk_add_f32 v[2:3], v[2:3], v[4:5]
	ds_write_b64 v6, v[2:3]
.LBB113_8:
	s_or_b64 exec, exec, s[2:3]
	v_cmp_gt_u32_e64 s[0:1], 16, v0
	v_mov_b32_e32 v2, 0
	v_mov_b32_e32 v3, 0
	s_waitcnt lgkmcnt(0)
	s_barrier
	s_and_saveexec_b64 s[2:3], s[0:1]
	s_cbranch_execnz .LBB113_12
; %bb.9:
	s_or_b64 exec, exec, s[2:3]
	s_and_saveexec_b64 s[0:1], vcc
	s_cbranch_execnz .LBB113_13
.LBB113_10:
	s_or_b64 exec, exec, s[0:1]
	v_cmp_eq_u32_e32 vcc, 0, v0
	s_and_saveexec_b64 s[0:1], vcc
	s_cbranch_execnz .LBB113_14
.LBB113_11:
	s_endpgm
.LBB113_12:
	ds_read_b64 v[2:3], v1
	s_or_b64 exec, exec, s[2:3]
	s_and_saveexec_b64 s[0:1], vcc
	s_cbranch_execz .LBB113_10
.LBB113_13:
	s_waitcnt lgkmcnt(0)
	ds_bpermute_b32 v4, v7, v2
	ds_bpermute_b32 v5, v7, v3
	s_waitcnt lgkmcnt(0)
	v_pk_add_f32 v[2:3], v[2:3], v[4:5]
	ds_bpermute_b32 v4, v8, v2
	ds_bpermute_b32 v5, v8, v3
	s_waitcnt lgkmcnt(0)
	v_pk_add_f32 v[2:3], v[2:3], v[4:5]
	;; [unrolled: 4-line block ×4, first 2 shown]
	s_or_b64 exec, exec, s[0:1]
	v_cmp_eq_u32_e32 vcc, 0, v0
	s_and_saveexec_b64 s[0:1], vcc
	s_cbranch_execz .LBB113_11
.LBB113_14:
	s_lshl_b64 s[0:1], s[6:7], 3
	s_add_u32 s0, s8, s0
	s_addc_u32 s1, s9, s1
	v_mov_b32_e32 v0, 0
	s_waitcnt lgkmcnt(0)
	global_store_dwordx2 v0, v[2:3], s[0:1]
	s_endpgm
	.section	.rodata,"a",@progbits
	.p2align	6, 0x0
	.amdhsa_kernel _ZL18rocblas_dot_kernelIiLb1ELi1024ELi32ELb1E19rocblas_complex_numIfEPKS1_S1_EviT5_lT_lS4_lS5_liPT6_PT4_
		.amdhsa_group_segment_fixed_size 512
		.amdhsa_private_segment_fixed_size 0
		.amdhsa_kernarg_size 352
		.amdhsa_user_sgpr_count 6
		.amdhsa_user_sgpr_private_segment_buffer 1
		.amdhsa_user_sgpr_dispatch_ptr 0
		.amdhsa_user_sgpr_queue_ptr 0
		.amdhsa_user_sgpr_kernarg_segment_ptr 1
		.amdhsa_user_sgpr_dispatch_id 0
		.amdhsa_user_sgpr_flat_scratch_init 0
		.amdhsa_user_sgpr_kernarg_preload_length 0
		.amdhsa_user_sgpr_kernarg_preload_offset 0
		.amdhsa_user_sgpr_private_segment_size 0
		.amdhsa_uses_dynamic_stack 0
		.amdhsa_system_sgpr_private_segment_wavefront_offset 0
		.amdhsa_system_sgpr_workgroup_id_x 1
		.amdhsa_system_sgpr_workgroup_id_y 0
		.amdhsa_system_sgpr_workgroup_id_z 1
		.amdhsa_system_sgpr_workgroup_info 0
		.amdhsa_system_vgpr_workitem_id 0
		.amdhsa_next_free_vgpr 18
		.amdhsa_next_free_sgpr 24
		.amdhsa_accum_offset 20
		.amdhsa_reserve_vcc 1
		.amdhsa_reserve_flat_scratch 0
		.amdhsa_float_round_mode_32 0
		.amdhsa_float_round_mode_16_64 0
		.amdhsa_float_denorm_mode_32 3
		.amdhsa_float_denorm_mode_16_64 3
		.amdhsa_dx10_clamp 1
		.amdhsa_ieee_mode 1
		.amdhsa_fp16_overflow 0
		.amdhsa_tg_split 0
		.amdhsa_exception_fp_ieee_invalid_op 0
		.amdhsa_exception_fp_denorm_src 0
		.amdhsa_exception_fp_ieee_div_zero 0
		.amdhsa_exception_fp_ieee_overflow 0
		.amdhsa_exception_fp_ieee_underflow 0
		.amdhsa_exception_fp_ieee_inexact 0
		.amdhsa_exception_int_div_zero 0
	.end_amdhsa_kernel
	.section	.text._ZL18rocblas_dot_kernelIiLb1ELi1024ELi32ELb1E19rocblas_complex_numIfEPKS1_S1_EviT5_lT_lS4_lS5_liPT6_PT4_,"axG",@progbits,_ZL18rocblas_dot_kernelIiLb1ELi1024ELi32ELb1E19rocblas_complex_numIfEPKS1_S1_EviT5_lT_lS4_lS5_liPT6_PT4_,comdat
.Lfunc_end113:
	.size	_ZL18rocblas_dot_kernelIiLb1ELi1024ELi32ELb1E19rocblas_complex_numIfEPKS1_S1_EviT5_lT_lS4_lS5_liPT6_PT4_, .Lfunc_end113-_ZL18rocblas_dot_kernelIiLb1ELi1024ELi32ELb1E19rocblas_complex_numIfEPKS1_S1_EviT5_lT_lS4_lS5_liPT6_PT4_
                                        ; -- End function
	.section	.AMDGPU.csdata,"",@progbits
; Kernel info:
; codeLenInByte = 1120
; NumSgprs: 28
; NumVgprs: 18
; NumAgprs: 0
; TotalNumVgprs: 18
; ScratchSize: 0
; MemoryBound: 0
; FloatMode: 240
; IeeeMode: 1
; LDSByteSize: 512 bytes/workgroup (compile time only)
; SGPRBlocks: 3
; VGPRBlocks: 2
; NumSGPRsForWavesPerEU: 28
; NumVGPRsForWavesPerEU: 18
; AccumOffset: 20
; Occupancy: 8
; WaveLimiterHint : 0
; COMPUTE_PGM_RSRC2:SCRATCH_EN: 0
; COMPUTE_PGM_RSRC2:USER_SGPR: 6
; COMPUTE_PGM_RSRC2:TRAP_HANDLER: 0
; COMPUTE_PGM_RSRC2:TGID_X_EN: 1
; COMPUTE_PGM_RSRC2:TGID_Y_EN: 0
; COMPUTE_PGM_RSRC2:TGID_Z_EN: 1
; COMPUTE_PGM_RSRC2:TIDIG_COMP_CNT: 0
; COMPUTE_PGM_RSRC3_GFX90A:ACCUM_OFFSET: 4
; COMPUTE_PGM_RSRC3_GFX90A:TG_SPLIT: 0
	.section	.text._ZL24rocblas_dot_kernel_magsqIiLb1ELi1024ELi32ELb1E19rocblas_complex_numIfEPKS1_S1_EviT5_lT_liPT6_PT4_,"axG",@progbits,_ZL24rocblas_dot_kernel_magsqIiLb1ELi1024ELi32ELb1E19rocblas_complex_numIfEPKS1_S1_EviT5_lT_liPT6_PT4_,comdat
	.globl	_ZL24rocblas_dot_kernel_magsqIiLb1ELi1024ELi32ELb1E19rocblas_complex_numIfEPKS1_S1_EviT5_lT_liPT6_PT4_ ; -- Begin function _ZL24rocblas_dot_kernel_magsqIiLb1ELi1024ELi32ELb1E19rocblas_complex_numIfEPKS1_S1_EviT5_lT_liPT6_PT4_
	.p2align	8
	.type	_ZL24rocblas_dot_kernel_magsqIiLb1ELi1024ELi32ELb1E19rocblas_complex_numIfEPKS1_S1_EviT5_lT_liPT6_PT4_,@function
_ZL24rocblas_dot_kernel_magsqIiLb1ELi1024ELi32ELb1E19rocblas_complex_numIfEPKS1_S1_EviT5_lT_liPT6_PT4_: ; @_ZL24rocblas_dot_kernel_magsqIiLb1ELi1024ELi32ELb1E19rocblas_complex_numIfEPKS1_S1_EviT5_lT_liPT6_PT4_
; %bb.0:
	s_mov_b32 s2, s7
	s_load_dword s12, s[4:5], 0x0
	s_load_dwordx2 s[6:7], s[4:5], 0x38
	v_mov_b32_e32 v3, 0
	s_mov_b32 s3, 0
	v_mov_b32_e32 v2, v3
	s_waitcnt lgkmcnt(0)
	v_cmp_gt_i32_e32 vcc, s12, v0
	s_and_saveexec_b64 s[8:9], vcc
	s_cbranch_execz .LBB114_4
; %bb.1:
	s_load_dword s10, s[4:5], 0x40
	s_load_dwordx2 s[0:1], s[4:5], 0x20
	s_load_dwordx4 s[16:19], s[4:5], 0x8
	s_load_dword s11, s[4:5], 0x18
	s_waitcnt lgkmcnt(0)
	s_lshl_b32 s13, s10, 10
	s_mul_i32 s1, s1, s2
	s_mul_hi_u32 s4, s0, s2
	s_add_i32 s1, s4, s1
	s_mul_i32 s0, s0, s2
	v_mad_i64_i32 v[2:3], s[4:5], s11, v0, 0
	s_lshl_b64 s[0:1], s[0:1], 3
	s_lshl_b64 s[4:5], s[18:19], 3
	s_add_u32 s4, s16, s4
	s_addc_u32 s5, s17, s5
	s_add_u32 s0, s4, s0
	v_lshlrev_b64 v[2:3], 3, v[2:3]
	s_addc_u32 s1, s5, s1
	v_mov_b32_e32 v5, s1
	v_add_co_u32_e32 v4, vcc, s0, v2
	s_mul_hi_i32 s1, s11, s13
	s_mul_i32 s0, s11, s13
	s_lshl_b64 s[10:11], s[0:1], 3
	v_mov_b32_e32 v2, 0
	v_or_b32_e32 v1, s13, v0
	v_addc_co_u32_e32 v5, vcc, v5, v3, vcc
	s_mov_b64 s[4:5], 0
	v_mov_b32_e32 v6, s11
	s_mov_b32 s11, s3
	v_mov_b32_e32 v3, v2
.LBB114_2:                              ; =>This Inner Loop Header: Depth=1
	global_load_dwordx2 v[8:9], v[4:5], off
	s_add_i32 s14, s11, 1
	v_add_co_u32_e64 v4, s[0:1], s10, v4
	v_addc_co_u32_e64 v5, s[0:1], v5, v6, s[0:1]
	s_cmp_gt_u32 s11, 30
	v_cmp_le_i32_e32 vcc, s12, v1
	s_cselect_b64 s[0:1], -1, 0
	s_or_b64 s[0:1], s[0:1], vcc
	s_and_b64 s[0:1], exec, s[0:1]
	v_add_u32_e32 v1, s13, v1
	s_mov_b32 s11, s14
	s_or_b64 s[4:5], s[0:1], s[4:5]
	s_waitcnt vmcnt(0)
	v_pk_mul_f32 v[10:11], v[8:9], v[8:9]
	v_pk_mul_f32 v[12:13], v[8:9], v[8:9] op_sel_hi:[0,1]
	v_mov_b32_e32 v10, v11
	v_mov_b32_e32 v11, v13
	v_pk_fma_f32 v[12:13], v[8:9], v[8:9], v[12:13] op_sel_hi:[0,1,1] neg_lo:[0,0,1] neg_hi:[0,0,1]
	v_pk_fma_f32 v[8:9], v[8:9], v[8:9], v[10:11] op_sel_hi:[0,1,1]
	v_mov_b32_e32 v9, v13
	v_pk_add_f32 v[2:3], v[2:3], v[8:9]
	s_andn2_b64 exec, exec, s[4:5]
	s_cbranch_execnz .LBB114_2
; %bb.3:
	s_or_b64 exec, exec, s[4:5]
.LBB114_4:
	s_or_b64 exec, exec, s[8:9]
	v_and_b32_e32 v6, 63, v0
	v_cmp_gt_u32_e32 vcc, 64, v0
	v_lshlrev_b32_e32 v1, 3, v6
	s_and_saveexec_b64 s[0:1], vcc
	s_cbranch_execz .LBB114_6
; %bb.5:
	v_mov_b32_e32 v4, 0
	v_mov_b32_e32 v5, v4
	ds_write_b64 v1, v[4:5]
.LBB114_6:
	s_or_b64 exec, exec, s[0:1]
	v_mbcnt_lo_u32_b32 v4, -1, 0
	v_mbcnt_hi_u32_b32 v10, -1, v4
	v_and_b32_e32 v11, 63, v10
	v_cmp_gt_u32_e64 s[0:1], 32, v11
	v_cndmask_b32_e64 v4, 0, 1, s[0:1]
	v_lshlrev_b32_e32 v4, 5, v4
	v_add_lshl_u32 v5, v4, v10, 2
	ds_bpermute_b32 v4, v5, v2
	ds_bpermute_b32 v5, v5, v3
	v_cmp_gt_u32_e64 s[0:1], 48, v11
	v_cndmask_b32_e64 v7, 0, 1, s[0:1]
	v_lshlrev_b32_e32 v7, 4, v7
	v_add_lshl_u32 v7, v7, v10, 2
	s_waitcnt lgkmcnt(0)
	v_pk_add_f32 v[2:3], v[2:3], v[4:5]
	ds_bpermute_b32 v4, v7, v2
	ds_bpermute_b32 v5, v7, v3
	v_cmp_gt_u32_e64 s[0:1], 56, v11
	v_cndmask_b32_e64 v7, 0, 1, s[0:1]
	v_lshlrev_b32_e32 v7, 3, v7
	v_add_lshl_u32 v7, v7, v10, 2
	s_waitcnt lgkmcnt(0)
	v_pk_add_f32 v[2:3], v[2:3], v[4:5]
	;; [unrolled: 8-line block ×4, first 2 shown]
	ds_bpermute_b32 v4, v9, v2
	ds_bpermute_b32 v5, v9, v3
	v_cmp_ne_u32_e64 s[0:1], 63, v11
	s_waitcnt lgkmcnt(0)
	s_barrier
	v_pk_add_f32 v[2:3], v[2:3], v[4:5]
	v_addc_co_u32_e64 v4, s[0:1], 0, v10, s[0:1]
	v_lshlrev_b32_e32 v10, 2, v4
	ds_bpermute_b32 v4, v10, v2
	ds_bpermute_b32 v5, v10, v3
	v_cmp_eq_u32_e64 s[0:1], 0, v6
	s_and_saveexec_b64 s[4:5], s[0:1]
	s_cbranch_execz .LBB114_8
; %bb.7:
	v_lshrrev_b32_e32 v6, 3, v0
	v_and_b32_e32 v6, 0x78, v6
	s_waitcnt lgkmcnt(0)
	v_pk_add_f32 v[2:3], v[2:3], v[4:5]
	ds_write_b64 v6, v[2:3]
.LBB114_8:
	s_or_b64 exec, exec, s[4:5]
	v_cmp_gt_u32_e64 s[0:1], 16, v0
	v_mov_b32_e32 v2, 0
	v_mov_b32_e32 v3, 0
	s_waitcnt lgkmcnt(0)
	s_barrier
	s_and_saveexec_b64 s[4:5], s[0:1]
	s_cbranch_execnz .LBB114_12
; %bb.9:
	s_or_b64 exec, exec, s[4:5]
	s_and_saveexec_b64 s[0:1], vcc
	s_cbranch_execnz .LBB114_13
.LBB114_10:
	s_or_b64 exec, exec, s[0:1]
	v_cmp_eq_u32_e32 vcc, 0, v0
	s_and_saveexec_b64 s[0:1], vcc
	s_cbranch_execnz .LBB114_14
.LBB114_11:
	s_endpgm
.LBB114_12:
	ds_read_b64 v[2:3], v1
	s_or_b64 exec, exec, s[4:5]
	s_and_saveexec_b64 s[0:1], vcc
	s_cbranch_execz .LBB114_10
.LBB114_13:
	s_waitcnt lgkmcnt(0)
	ds_bpermute_b32 v4, v7, v2
	ds_bpermute_b32 v5, v7, v3
	s_waitcnt lgkmcnt(0)
	v_pk_add_f32 v[2:3], v[2:3], v[4:5]
	ds_bpermute_b32 v4, v8, v2
	ds_bpermute_b32 v5, v8, v3
	s_waitcnt lgkmcnt(0)
	v_pk_add_f32 v[2:3], v[2:3], v[4:5]
	;; [unrolled: 4-line block ×4, first 2 shown]
	s_or_b64 exec, exec, s[0:1]
	v_cmp_eq_u32_e32 vcc, 0, v0
	s_and_saveexec_b64 s[0:1], vcc
	s_cbranch_execz .LBB114_11
.LBB114_14:
	s_lshl_b64 s[0:1], s[2:3], 3
	s_add_u32 s0, s6, s0
	s_addc_u32 s1, s7, s1
	v_mov_b32_e32 v0, 0
	s_waitcnt lgkmcnt(0)
	global_store_dwordx2 v0, v[2:3], s[0:1]
	s_endpgm
	.section	.rodata,"a",@progbits
	.p2align	6, 0x0
	.amdhsa_kernel _ZL24rocblas_dot_kernel_magsqIiLb1ELi1024ELi32ELb1E19rocblas_complex_numIfEPKS1_S1_EviT5_lT_liPT6_PT4_
		.amdhsa_group_segment_fixed_size 512
		.amdhsa_private_segment_fixed_size 0
		.amdhsa_kernarg_size 320
		.amdhsa_user_sgpr_count 6
		.amdhsa_user_sgpr_private_segment_buffer 1
		.amdhsa_user_sgpr_dispatch_ptr 0
		.amdhsa_user_sgpr_queue_ptr 0
		.amdhsa_user_sgpr_kernarg_segment_ptr 1
		.amdhsa_user_sgpr_dispatch_id 0
		.amdhsa_user_sgpr_flat_scratch_init 0
		.amdhsa_user_sgpr_kernarg_preload_length 0
		.amdhsa_user_sgpr_kernarg_preload_offset 0
		.amdhsa_user_sgpr_private_segment_size 0
		.amdhsa_uses_dynamic_stack 0
		.amdhsa_system_sgpr_private_segment_wavefront_offset 0
		.amdhsa_system_sgpr_workgroup_id_x 1
		.amdhsa_system_sgpr_workgroup_id_y 0
		.amdhsa_system_sgpr_workgroup_id_z 1
		.amdhsa_system_sgpr_workgroup_info 0
		.amdhsa_system_vgpr_workitem_id 0
		.amdhsa_next_free_vgpr 14
		.amdhsa_next_free_sgpr 20
		.amdhsa_accum_offset 16
		.amdhsa_reserve_vcc 1
		.amdhsa_reserve_flat_scratch 0
		.amdhsa_float_round_mode_32 0
		.amdhsa_float_round_mode_16_64 0
		.amdhsa_float_denorm_mode_32 3
		.amdhsa_float_denorm_mode_16_64 3
		.amdhsa_dx10_clamp 1
		.amdhsa_ieee_mode 1
		.amdhsa_fp16_overflow 0
		.amdhsa_tg_split 0
		.amdhsa_exception_fp_ieee_invalid_op 0
		.amdhsa_exception_fp_denorm_src 0
		.amdhsa_exception_fp_ieee_div_zero 0
		.amdhsa_exception_fp_ieee_overflow 0
		.amdhsa_exception_fp_ieee_underflow 0
		.amdhsa_exception_fp_ieee_inexact 0
		.amdhsa_exception_int_div_zero 0
	.end_amdhsa_kernel
	.section	.text._ZL24rocblas_dot_kernel_magsqIiLb1ELi1024ELi32ELb1E19rocblas_complex_numIfEPKS1_S1_EviT5_lT_liPT6_PT4_,"axG",@progbits,_ZL24rocblas_dot_kernel_magsqIiLb1ELi1024ELi32ELb1E19rocblas_complex_numIfEPKS1_S1_EviT5_lT_liPT6_PT4_,comdat
.Lfunc_end114:
	.size	_ZL24rocblas_dot_kernel_magsqIiLb1ELi1024ELi32ELb1E19rocblas_complex_numIfEPKS1_S1_EviT5_lT_liPT6_PT4_, .Lfunc_end114-_ZL24rocblas_dot_kernel_magsqIiLb1ELi1024ELi32ELb1E19rocblas_complex_numIfEPKS1_S1_EviT5_lT_liPT6_PT4_
                                        ; -- End function
	.section	.AMDGPU.csdata,"",@progbits
; Kernel info:
; codeLenInByte = 1004
; NumSgprs: 24
; NumVgprs: 14
; NumAgprs: 0
; TotalNumVgprs: 14
; ScratchSize: 0
; MemoryBound: 0
; FloatMode: 240
; IeeeMode: 1
; LDSByteSize: 512 bytes/workgroup (compile time only)
; SGPRBlocks: 2
; VGPRBlocks: 1
; NumSGPRsForWavesPerEU: 24
; NumVGPRsForWavesPerEU: 14
; AccumOffset: 16
; Occupancy: 8
; WaveLimiterHint : 0
; COMPUTE_PGM_RSRC2:SCRATCH_EN: 0
; COMPUTE_PGM_RSRC2:USER_SGPR: 6
; COMPUTE_PGM_RSRC2:TRAP_HANDLER: 0
; COMPUTE_PGM_RSRC2:TGID_X_EN: 1
; COMPUTE_PGM_RSRC2:TGID_Y_EN: 0
; COMPUTE_PGM_RSRC2:TGID_Z_EN: 1
; COMPUTE_PGM_RSRC2:TIDIG_COMP_CNT: 0
; COMPUTE_PGM_RSRC3_GFX90A:ACCUM_OFFSET: 3
; COMPUTE_PGM_RSRC3_GFX90A:TG_SPLIT: 0
	.section	.text._ZL23rocblas_dot_kernel_inc1ILb0ELi512ELi2ELb1E19rocblas_complex_numIfEPKS1_S1_EviT4_llS4_lliPT5_PT3_,"axG",@progbits,_ZL23rocblas_dot_kernel_inc1ILb0ELi512ELi2ELb1E19rocblas_complex_numIfEPKS1_S1_EviT4_llS4_lliPT5_PT3_,comdat
	.globl	_ZL23rocblas_dot_kernel_inc1ILb0ELi512ELi2ELb1E19rocblas_complex_numIfEPKS1_S1_EviT4_llS4_lliPT5_PT3_ ; -- Begin function _ZL23rocblas_dot_kernel_inc1ILb0ELi512ELi2ELb1E19rocblas_complex_numIfEPKS1_S1_EviT4_llS4_lliPT5_PT3_
	.p2align	8
	.type	_ZL23rocblas_dot_kernel_inc1ILb0ELi512ELi2ELb1E19rocblas_complex_numIfEPKS1_S1_EviT4_llS4_lliPT5_PT3_,@function
_ZL23rocblas_dot_kernel_inc1ILb0ELi512ELi2ELb1E19rocblas_complex_numIfEPKS1_S1_EviT4_llS4_lliPT5_PT3_: ; @_ZL23rocblas_dot_kernel_inc1ILb0ELi512ELi2ELb1E19rocblas_complex_numIfEPKS1_S1_EviT4_llS4_lliPT5_PT3_
; %bb.0:
	s_mov_b32 s2, s7
	s_load_dword s7, s[4:5], 0x0
	s_load_dword s10, s[4:5], 0x50
	v_lshl_or_b32 v4, s6, 9, v0
	v_mov_b32_e32 v2, 0
	s_mov_b32 s3, 0
	s_waitcnt lgkmcnt(0)
	v_cmp_gt_i32_e32 vcc, s7, v4
	v_mov_b32_e32 v3, v2
	s_and_saveexec_b64 s[0:1], vcc
	s_cbranch_execz .LBB115_4
; %bb.1:
	s_load_dwordx4 s[12:15], s[4:5], 0x10
	s_load_dwordx2 s[8:9], s[4:5], 0x8
	s_load_dwordx2 s[20:21], s[4:5], 0x20
	s_load_dwordx4 s[16:19], s[4:5], 0x28
	v_ashrrev_i32_e32 v5, 31, v4
	s_waitcnt lgkmcnt(0)
	s_mul_i32 s11, s2, s15
	s_mul_hi_u32 s15, s2, s14
	s_add_i32 s15, s15, s11
	s_mul_i32 s14, s2, s14
	s_lshl_b64 s[14:15], s[14:15], 3
	s_add_u32 s11, s8, s14
	s_addc_u32 s14, s9, s15
	s_lshl_b64 s[8:9], s[12:13], 3
	s_add_u32 s11, s11, s8
	s_addc_u32 s12, s14, s9
	s_mul_i32 s8, s2, s19
	s_mul_hi_u32 s9, s2, s18
	s_add_i32 s9, s9, s8
	s_mul_i32 s8, s2, s18
	s_lshl_b64 s[8:9], s[8:9], 3
	s_add_u32 s13, s20, s8
	s_addc_u32 s14, s21, s9
	s_lshl_b64 s[8:9], s[16:17], 3
	s_add_u32 s13, s13, s8
	s_addc_u32 s14, s14, s9
	v_lshlrev_b64 v[2:3], 3, v[4:5]
	v_mov_b32_e32 v1, s14
	v_add_co_u32_e32 v4, vcc, s13, v2
	v_addc_co_u32_e32 v5, vcc, v1, v3, vcc
	v_mov_b32_e32 v1, s12
	v_add_co_u32_e32 v2, vcc, s11, v2
	v_addc_co_u32_e32 v3, vcc, v1, v3, vcc
	global_load_dwordx2 v[6:7], v[2:3], off
	global_load_dwordx2 v[8:9], v[4:5], off
	s_add_i32 s8, s6, s10
	v_lshl_or_b32 v4, s8, 9, v0
	v_cmp_gt_i32_e32 vcc, s7, v4
	s_waitcnt vmcnt(0)
	v_pk_mul_f32 v[2:3], v[6:7], v[8:9] op_sel:[0,1]
	v_pk_fma_f32 v[10:11], v[6:7], v[8:9], v[2:3] op_sel:[0,0,1] op_sel_hi:[1,1,0]
	v_pk_fma_f32 v[2:3], v[6:7], v[8:9], v[2:3] op_sel:[0,0,1] op_sel_hi:[1,0,0] neg_lo:[1,0,0] neg_hi:[1,0,0]
	v_mov_b32_e32 v11, v3
	v_pk_add_f32 v[2:3], v[10:11], 0 op_sel_hi:[1,0]
	s_and_saveexec_b64 s[8:9], vcc
	s_cbranch_execz .LBB115_3
; %bb.2:
	v_ashrrev_i32_e32 v5, 31, v4
	v_lshlrev_b64 v[4:5], 3, v[4:5]
	v_mov_b32_e32 v1, s12
	v_add_co_u32_e32 v6, vcc, s11, v4
	v_addc_co_u32_e32 v7, vcc, v1, v5, vcc
	v_mov_b32_e32 v1, s14
	v_add_co_u32_e32 v4, vcc, s13, v4
	v_addc_co_u32_e32 v5, vcc, v1, v5, vcc
	global_load_dwordx2 v[6:7], v[6:7], off
	s_nop 0
	global_load_dwordx2 v[4:5], v[4:5], off
	s_waitcnt vmcnt(0)
	v_pk_mul_f32 v[8:9], v[6:7], v[4:5] op_sel:[0,1]
	v_pk_fma_f32 v[10:11], v[6:7], v[4:5], v[8:9] op_sel:[0,0,1] op_sel_hi:[1,1,0]
	v_pk_fma_f32 v[4:5], v[6:7], v[4:5], v[8:9] op_sel:[0,0,1] op_sel_hi:[1,0,0] neg_lo:[1,0,0] neg_hi:[1,0,0]
	v_mov_b32_e32 v11, v5
	v_pk_add_f32 v[2:3], v[2:3], v[10:11]
.LBB115_3:
	s_or_b64 exec, exec, s[8:9]
.LBB115_4:
	s_or_b64 exec, exec, s[0:1]
	v_and_b32_e32 v6, 63, v0
	v_cmp_gt_u32_e32 vcc, 64, v0
	v_lshlrev_b32_e32 v1, 3, v6
	s_and_saveexec_b64 s[0:1], vcc
	s_cbranch_execz .LBB115_6
; %bb.5:
	v_mov_b32_e32 v4, 0
	v_mov_b32_e32 v5, v4
	ds_write_b64 v1, v[4:5]
.LBB115_6:
	s_or_b64 exec, exec, s[0:1]
	v_mbcnt_lo_u32_b32 v4, -1, 0
	v_mbcnt_hi_u32_b32 v9, -1, v4
	v_and_b32_e32 v10, 63, v9
	v_cmp_gt_u32_e64 s[0:1], 32, v10
	v_cndmask_b32_e64 v4, 0, 1, s[0:1]
	v_lshlrev_b32_e32 v4, 5, v4
	v_add_lshl_u32 v5, v4, v9, 2
	ds_bpermute_b32 v4, v5, v2
	ds_bpermute_b32 v5, v5, v3
	v_cmp_gt_u32_e64 s[0:1], 48, v10
	v_cndmask_b32_e64 v7, 0, 1, s[0:1]
	v_lshlrev_b32_e32 v7, 4, v7
	v_add_lshl_u32 v7, v7, v9, 2
	s_waitcnt lgkmcnt(0)
	v_pk_add_f32 v[2:3], v[2:3], v[4:5]
	ds_bpermute_b32 v4, v7, v2
	ds_bpermute_b32 v5, v7, v3
	v_cmp_gt_u32_e64 s[0:1], 56, v10
	v_cndmask_b32_e64 v7, 0, 1, s[0:1]
	v_lshlrev_b32_e32 v7, 3, v7
	v_add_lshl_u32 v7, v7, v9, 2
	s_waitcnt lgkmcnt(0)
	v_pk_add_f32 v[2:3], v[2:3], v[4:5]
	ds_bpermute_b32 v4, v7, v2
	ds_bpermute_b32 v5, v7, v3
	v_cmp_gt_u32_e64 s[0:1], 60, v10
	v_cndmask_b32_e64 v7, 0, 1, s[0:1]
	v_lshlrev_b32_e32 v7, 2, v7
	v_add_lshl_u32 v7, v7, v9, 2
	s_waitcnt lgkmcnt(0)
	v_pk_add_f32 v[2:3], v[2:3], v[4:5]
	ds_bpermute_b32 v4, v7, v2
	ds_bpermute_b32 v5, v7, v3
	v_cmp_gt_u32_e64 s[0:1], 62, v10
	v_cndmask_b32_e64 v8, 0, 1, s[0:1]
	v_lshlrev_b32_e32 v8, 1, v8
	v_add_lshl_u32 v8, v8, v9, 2
	s_waitcnt lgkmcnt(0)
	v_pk_add_f32 v[2:3], v[2:3], v[4:5]
	ds_bpermute_b32 v4, v8, v2
	ds_bpermute_b32 v5, v8, v3
	v_cmp_ne_u32_e64 s[0:1], 63, v10
	s_waitcnt lgkmcnt(0)
	s_barrier
	v_pk_add_f32 v[2:3], v[2:3], v[4:5]
	v_addc_co_u32_e64 v4, s[0:1], 0, v9, s[0:1]
	v_lshlrev_b32_e32 v9, 2, v4
	ds_bpermute_b32 v4, v9, v2
	ds_bpermute_b32 v5, v9, v3
	v_cmp_eq_u32_e64 s[0:1], 0, v6
	s_and_saveexec_b64 s[8:9], s[0:1]
	s_cbranch_execz .LBB115_8
; %bb.7:
	v_lshrrev_b32_e32 v6, 3, v0
	v_and_b32_e32 v6, 56, v6
	s_waitcnt lgkmcnt(0)
	v_pk_add_f32 v[2:3], v[2:3], v[4:5]
	ds_write_b64 v6, v[2:3]
.LBB115_8:
	s_or_b64 exec, exec, s[8:9]
	v_cmp_gt_u32_e64 s[0:1], 8, v0
	v_mov_b32_e32 v2, 0
	v_mov_b32_e32 v3, 0
	s_waitcnt lgkmcnt(0)
	s_barrier
	s_and_saveexec_b64 s[8:9], s[0:1]
	s_cbranch_execnz .LBB115_12
; %bb.9:
	s_or_b64 exec, exec, s[8:9]
	s_and_saveexec_b64 s[0:1], vcc
	s_cbranch_execnz .LBB115_13
.LBB115_10:
	s_or_b64 exec, exec, s[0:1]
	v_cmp_eq_u32_e32 vcc, 0, v0
	s_and_saveexec_b64 s[0:1], vcc
	s_cbranch_execnz .LBB115_14
.LBB115_11:
	s_endpgm
.LBB115_12:
	ds_read_b64 v[2:3], v1
	s_or_b64 exec, exec, s[8:9]
	s_and_saveexec_b64 s[0:1], vcc
	s_cbranch_execz .LBB115_10
.LBB115_13:
	s_waitcnt lgkmcnt(0)
	ds_bpermute_b32 v4, v7, v2
	ds_bpermute_b32 v5, v7, v3
	s_waitcnt lgkmcnt(0)
	v_pk_add_f32 v[2:3], v[2:3], v[4:5]
	ds_bpermute_b32 v4, v8, v2
	ds_bpermute_b32 v5, v8, v3
	s_waitcnt lgkmcnt(0)
	v_pk_add_f32 v[2:3], v[2:3], v[4:5]
	;; [unrolled: 4-line block ×3, first 2 shown]
	s_or_b64 exec, exec, s[0:1]
	v_cmp_eq_u32_e32 vcc, 0, v0
	s_and_saveexec_b64 s[0:1], vcc
	s_cbranch_execz .LBB115_11
.LBB115_14:
	s_cmp_lg_u32 s10, 1
	s_cbranch_scc0 .LBB115_16
; %bb.15:
	s_load_dwordx2 s[0:1], s[4:5], 0x40
	s_mul_hi_u32 s9, s10, s2
	s_mul_i32 s8, s10, s2
	s_lshl_b64 s[8:9], s[8:9], 3
	s_mov_b32 s7, 0
	s_waitcnt lgkmcnt(0)
	s_add_u32 s8, s0, s8
	s_addc_u32 s9, s1, s9
	s_lshl_b64 s[0:1], s[6:7], 3
	s_add_u32 s0, s8, s0
	s_addc_u32 s1, s9, s1
	s_cbranch_execz .LBB115_17
	s_branch .LBB115_18
.LBB115_16:
                                        ; implicit-def: $sgpr0_sgpr1
.LBB115_17:
	s_load_dwordx2 s[0:1], s[4:5], 0x48
	s_lshl_b64 s[2:3], s[2:3], 3
	s_waitcnt lgkmcnt(0)
	s_add_u32 s0, s0, s2
	s_addc_u32 s1, s1, s3
.LBB115_18:
	v_mov_b32_e32 v0, 0
	s_waitcnt lgkmcnt(0)
	global_store_dwordx2 v0, v[2:3], s[0:1]
	s_endpgm
	.section	.rodata,"a",@progbits
	.p2align	6, 0x0
	.amdhsa_kernel _ZL23rocblas_dot_kernel_inc1ILb0ELi512ELi2ELb1E19rocblas_complex_numIfEPKS1_S1_EviT4_llS4_lliPT5_PT3_
		.amdhsa_group_segment_fixed_size 512
		.amdhsa_private_segment_fixed_size 0
		.amdhsa_kernarg_size 336
		.amdhsa_user_sgpr_count 6
		.amdhsa_user_sgpr_private_segment_buffer 1
		.amdhsa_user_sgpr_dispatch_ptr 0
		.amdhsa_user_sgpr_queue_ptr 0
		.amdhsa_user_sgpr_kernarg_segment_ptr 1
		.amdhsa_user_sgpr_dispatch_id 0
		.amdhsa_user_sgpr_flat_scratch_init 0
		.amdhsa_user_sgpr_kernarg_preload_length 0
		.amdhsa_user_sgpr_kernarg_preload_offset 0
		.amdhsa_user_sgpr_private_segment_size 0
		.amdhsa_uses_dynamic_stack 0
		.amdhsa_system_sgpr_private_segment_wavefront_offset 0
		.amdhsa_system_sgpr_workgroup_id_x 1
		.amdhsa_system_sgpr_workgroup_id_y 0
		.amdhsa_system_sgpr_workgroup_id_z 1
		.amdhsa_system_sgpr_workgroup_info 0
		.amdhsa_system_vgpr_workitem_id 0
		.amdhsa_next_free_vgpr 12
		.amdhsa_next_free_sgpr 22
		.amdhsa_accum_offset 12
		.amdhsa_reserve_vcc 1
		.amdhsa_reserve_flat_scratch 0
		.amdhsa_float_round_mode_32 0
		.amdhsa_float_round_mode_16_64 0
		.amdhsa_float_denorm_mode_32 3
		.amdhsa_float_denorm_mode_16_64 3
		.amdhsa_dx10_clamp 1
		.amdhsa_ieee_mode 1
		.amdhsa_fp16_overflow 0
		.amdhsa_tg_split 0
		.amdhsa_exception_fp_ieee_invalid_op 0
		.amdhsa_exception_fp_denorm_src 0
		.amdhsa_exception_fp_ieee_div_zero 0
		.amdhsa_exception_fp_ieee_overflow 0
		.amdhsa_exception_fp_ieee_underflow 0
		.amdhsa_exception_fp_ieee_inexact 0
		.amdhsa_exception_int_div_zero 0
	.end_amdhsa_kernel
	.section	.text._ZL23rocblas_dot_kernel_inc1ILb0ELi512ELi2ELb1E19rocblas_complex_numIfEPKS1_S1_EviT4_llS4_lliPT5_PT3_,"axG",@progbits,_ZL23rocblas_dot_kernel_inc1ILb0ELi512ELi2ELb1E19rocblas_complex_numIfEPKS1_S1_EviT4_llS4_lliPT5_PT3_,comdat
.Lfunc_end115:
	.size	_ZL23rocblas_dot_kernel_inc1ILb0ELi512ELi2ELb1E19rocblas_complex_numIfEPKS1_S1_EviT4_llS4_lliPT5_PT3_, .Lfunc_end115-_ZL23rocblas_dot_kernel_inc1ILb0ELi512ELi2ELb1E19rocblas_complex_numIfEPKS1_S1_EviT4_llS4_lliPT5_PT3_
                                        ; -- End function
	.section	.AMDGPU.csdata,"",@progbits
; Kernel info:
; codeLenInByte = 1116
; NumSgprs: 26
; NumVgprs: 12
; NumAgprs: 0
; TotalNumVgprs: 12
; ScratchSize: 0
; MemoryBound: 0
; FloatMode: 240
; IeeeMode: 1
; LDSByteSize: 512 bytes/workgroup (compile time only)
; SGPRBlocks: 3
; VGPRBlocks: 1
; NumSGPRsForWavesPerEU: 26
; NumVGPRsForWavesPerEU: 12
; AccumOffset: 12
; Occupancy: 8
; WaveLimiterHint : 0
; COMPUTE_PGM_RSRC2:SCRATCH_EN: 0
; COMPUTE_PGM_RSRC2:USER_SGPR: 6
; COMPUTE_PGM_RSRC2:TRAP_HANDLER: 0
; COMPUTE_PGM_RSRC2:TGID_X_EN: 1
; COMPUTE_PGM_RSRC2:TGID_Y_EN: 0
; COMPUTE_PGM_RSRC2:TGID_Z_EN: 1
; COMPUTE_PGM_RSRC2:TIDIG_COMP_CNT: 0
; COMPUTE_PGM_RSRC3_GFX90A:ACCUM_OFFSET: 2
; COMPUTE_PGM_RSRC3_GFX90A:TG_SPLIT: 0
	.section	.text._ZL18rocblas_dot_kernelIiLb0ELi512ELi2ELb1E19rocblas_complex_numIfEPKS1_S1_EviT5_lT_lS4_lS5_liPT6_PT4_,"axG",@progbits,_ZL18rocblas_dot_kernelIiLb0ELi512ELi2ELb1E19rocblas_complex_numIfEPKS1_S1_EviT5_lT_lS4_lS5_liPT6_PT4_,comdat
	.globl	_ZL18rocblas_dot_kernelIiLb0ELi512ELi2ELb1E19rocblas_complex_numIfEPKS1_S1_EviT5_lT_lS4_lS5_liPT6_PT4_ ; -- Begin function _ZL18rocblas_dot_kernelIiLb0ELi512ELi2ELb1E19rocblas_complex_numIfEPKS1_S1_EviT5_lT_lS4_lS5_liPT6_PT4_
	.p2align	8
	.type	_ZL18rocblas_dot_kernelIiLb0ELi512ELi2ELb1E19rocblas_complex_numIfEPKS1_S1_EviT5_lT_lS4_lS5_liPT6_PT4_,@function
_ZL18rocblas_dot_kernelIiLb0ELi512ELi2ELb1E19rocblas_complex_numIfEPKS1_S1_EviT5_lT_lS4_lS5_liPT6_PT4_: ; @_ZL18rocblas_dot_kernelIiLb0ELi512ELi2ELb1E19rocblas_complex_numIfEPKS1_S1_EviT5_lT_lS4_lS5_liPT6_PT4_
; %bb.0:
	s_mov_b32 s2, s7
	s_load_dword s7, s[4:5], 0x0
	s_load_dword s10, s[4:5], 0x60
	v_lshl_or_b32 v1, s6, 9, v0
	v_mov_b32_e32 v2, 0
	s_mov_b32 s3, 0
	s_waitcnt lgkmcnt(0)
	v_cmp_gt_i32_e32 vcc, s7, v1
	v_mov_b32_e32 v3, v2
	s_and_saveexec_b64 s[0:1], vcc
	s_cbranch_execz .LBB116_4
; %bb.1:
	s_load_dwordx4 s[16:19], s[4:5], 0x20
	s_load_dwordx4 s[20:23], s[4:5], 0x8
	s_load_dword s12, s[4:5], 0x18
	s_load_dwordx2 s[8:9], s[4:5], 0x30
	s_load_dword s11, s[4:5], 0x38
	s_load_dwordx2 s[24:25], s[4:5], 0x40
	s_waitcnt lgkmcnt(0)
	s_mul_i32 s13, s2, s17
	s_mul_hi_u32 s14, s2, s16
	s_add_i32 s15, s14, s13
	s_mul_i32 s14, s2, s16
	s_lshl_b64 s[14:15], s[14:15], 3
	s_add_u32 s13, s20, s14
	s_addc_u32 s16, s21, s15
	s_lshl_b64 s[14:15], s[22:23], 3
	s_add_u32 s13, s13, s14
	s_addc_u32 s15, s16, s15
	s_mul_i32 s14, s2, s25
	s_mul_hi_u32 s16, s2, s24
	s_add_i32 s17, s16, s14
	s_mul_i32 s16, s2, s24
	s_lshl_b64 s[16:17], s[16:17], 3
	s_add_u32 s14, s18, s16
	s_addc_u32 s16, s19, s17
	s_lshl_b64 s[8:9], s[8:9], 3
	s_add_u32 s14, s14, s8
	s_addc_u32 s16, s16, s9
	v_mad_i64_i32 v[2:3], s[8:9], v1, s11, 0
	v_lshlrev_b64 v[2:3], 3, v[2:3]
	v_mov_b32_e32 v4, s16
	v_add_co_u32_e32 v2, vcc, s14, v2
	v_addc_co_u32_e32 v3, vcc, v4, v3, vcc
	v_mad_i64_i32 v[4:5], s[8:9], v1, s12, 0
	v_lshlrev_b64 v[4:5], 3, v[4:5]
	v_mov_b32_e32 v1, s15
	v_add_co_u32_e32 v4, vcc, s13, v4
	v_addc_co_u32_e32 v5, vcc, v1, v5, vcc
	global_load_dwordx2 v[6:7], v[4:5], off
	global_load_dwordx2 v[8:9], v[2:3], off
	s_add_i32 s8, s6, s10
	v_lshl_or_b32 v1, s8, 9, v0
	v_cmp_gt_i32_e32 vcc, s7, v1
	s_waitcnt vmcnt(0)
	v_pk_mul_f32 v[2:3], v[6:7], v[8:9] op_sel:[0,1]
	v_pk_fma_f32 v[4:5], v[6:7], v[8:9], v[2:3] op_sel:[0,0,1] op_sel_hi:[1,1,0]
	v_pk_fma_f32 v[2:3], v[6:7], v[8:9], v[2:3] op_sel:[0,0,1] op_sel_hi:[1,0,0] neg_lo:[1,0,0] neg_hi:[1,0,0]
	v_mov_b32_e32 v5, v3
	v_pk_add_f32 v[2:3], v[4:5], 0 op_sel_hi:[1,0]
	s_and_saveexec_b64 s[8:9], vcc
	s_cbranch_execz .LBB116_3
; %bb.2:
	v_mad_i64_i32 v[4:5], s[18:19], v1, s12, 0
	v_lshlrev_b64 v[4:5], 3, v[4:5]
	v_mov_b32_e32 v6, s15
	v_add_co_u32_e32 v4, vcc, s13, v4
	v_addc_co_u32_e32 v5, vcc, v6, v5, vcc
	v_mad_i64_i32 v[6:7], s[12:13], v1, s11, 0
	v_lshlrev_b64 v[6:7], 3, v[6:7]
	v_mov_b32_e32 v1, s16
	v_add_co_u32_e32 v6, vcc, s14, v6
	v_addc_co_u32_e32 v7, vcc, v1, v7, vcc
	global_load_dwordx2 v[4:5], v[4:5], off
	s_nop 0
	global_load_dwordx2 v[6:7], v[6:7], off
	s_waitcnt vmcnt(0)
	v_pk_mul_f32 v[8:9], v[4:5], v[6:7] op_sel:[0,1]
	v_pk_fma_f32 v[10:11], v[4:5], v[6:7], v[8:9] op_sel:[0,0,1] op_sel_hi:[1,1,0]
	v_pk_fma_f32 v[4:5], v[4:5], v[6:7], v[8:9] op_sel:[0,0,1] op_sel_hi:[1,0,0] neg_lo:[1,0,0] neg_hi:[1,0,0]
	v_mov_b32_e32 v11, v5
	v_pk_add_f32 v[2:3], v[2:3], v[10:11]
.LBB116_3:
	s_or_b64 exec, exec, s[8:9]
.LBB116_4:
	s_or_b64 exec, exec, s[0:1]
	v_and_b32_e32 v6, 63, v0
	v_cmp_gt_u32_e32 vcc, 64, v0
	v_lshlrev_b32_e32 v1, 3, v6
	s_and_saveexec_b64 s[0:1], vcc
	s_cbranch_execz .LBB116_6
; %bb.5:
	v_mov_b32_e32 v4, 0
	v_mov_b32_e32 v5, v4
	ds_write_b64 v1, v[4:5]
.LBB116_6:
	s_or_b64 exec, exec, s[0:1]
	v_mbcnt_lo_u32_b32 v4, -1, 0
	v_mbcnt_hi_u32_b32 v9, -1, v4
	v_and_b32_e32 v10, 63, v9
	v_cmp_gt_u32_e64 s[0:1], 32, v10
	v_cndmask_b32_e64 v4, 0, 1, s[0:1]
	v_lshlrev_b32_e32 v4, 5, v4
	v_add_lshl_u32 v5, v4, v9, 2
	ds_bpermute_b32 v4, v5, v2
	ds_bpermute_b32 v5, v5, v3
	v_cmp_gt_u32_e64 s[0:1], 48, v10
	v_cndmask_b32_e64 v7, 0, 1, s[0:1]
	v_lshlrev_b32_e32 v7, 4, v7
	v_add_lshl_u32 v7, v7, v9, 2
	s_waitcnt lgkmcnt(0)
	v_pk_add_f32 v[2:3], v[2:3], v[4:5]
	ds_bpermute_b32 v4, v7, v2
	ds_bpermute_b32 v5, v7, v3
	v_cmp_gt_u32_e64 s[0:1], 56, v10
	v_cndmask_b32_e64 v7, 0, 1, s[0:1]
	v_lshlrev_b32_e32 v7, 3, v7
	v_add_lshl_u32 v7, v7, v9, 2
	s_waitcnt lgkmcnt(0)
	v_pk_add_f32 v[2:3], v[2:3], v[4:5]
	;; [unrolled: 8-line block ×4, first 2 shown]
	ds_bpermute_b32 v4, v8, v2
	ds_bpermute_b32 v5, v8, v3
	v_cmp_ne_u32_e64 s[0:1], 63, v10
	s_waitcnt lgkmcnt(0)
	s_barrier
	v_pk_add_f32 v[2:3], v[2:3], v[4:5]
	v_addc_co_u32_e64 v4, s[0:1], 0, v9, s[0:1]
	v_lshlrev_b32_e32 v9, 2, v4
	ds_bpermute_b32 v4, v9, v2
	ds_bpermute_b32 v5, v9, v3
	v_cmp_eq_u32_e64 s[0:1], 0, v6
	s_and_saveexec_b64 s[8:9], s[0:1]
	s_cbranch_execz .LBB116_8
; %bb.7:
	v_lshrrev_b32_e32 v6, 3, v0
	v_and_b32_e32 v6, 56, v6
	s_waitcnt lgkmcnt(0)
	v_pk_add_f32 v[2:3], v[2:3], v[4:5]
	ds_write_b64 v6, v[2:3]
.LBB116_8:
	s_or_b64 exec, exec, s[8:9]
	v_cmp_gt_u32_e64 s[0:1], 8, v0
	v_mov_b32_e32 v2, 0
	v_mov_b32_e32 v3, 0
	s_waitcnt lgkmcnt(0)
	s_barrier
	s_and_saveexec_b64 s[8:9], s[0:1]
	s_cbranch_execnz .LBB116_12
; %bb.9:
	s_or_b64 exec, exec, s[8:9]
	s_and_saveexec_b64 s[0:1], vcc
	s_cbranch_execnz .LBB116_13
.LBB116_10:
	s_or_b64 exec, exec, s[0:1]
	v_cmp_eq_u32_e32 vcc, 0, v0
	s_and_saveexec_b64 s[0:1], vcc
	s_cbranch_execnz .LBB116_14
.LBB116_11:
	s_endpgm
.LBB116_12:
	ds_read_b64 v[2:3], v1
	s_or_b64 exec, exec, s[8:9]
	s_and_saveexec_b64 s[0:1], vcc
	s_cbranch_execz .LBB116_10
.LBB116_13:
	s_waitcnt lgkmcnt(0)
	ds_bpermute_b32 v4, v7, v2
	ds_bpermute_b32 v5, v7, v3
	s_waitcnt lgkmcnt(0)
	v_pk_add_f32 v[2:3], v[2:3], v[4:5]
	ds_bpermute_b32 v4, v8, v2
	ds_bpermute_b32 v5, v8, v3
	s_waitcnt lgkmcnt(0)
	v_pk_add_f32 v[2:3], v[2:3], v[4:5]
	;; [unrolled: 4-line block ×3, first 2 shown]
	s_or_b64 exec, exec, s[0:1]
	v_cmp_eq_u32_e32 vcc, 0, v0
	s_and_saveexec_b64 s[0:1], vcc
	s_cbranch_execz .LBB116_11
.LBB116_14:
	s_cmp_lg_u32 s10, 1
	s_cbranch_scc0 .LBB116_16
; %bb.15:
	s_load_dwordx2 s[0:1], s[4:5], 0x50
	s_mul_hi_u32 s9, s10, s2
	s_mul_i32 s8, s10, s2
	s_lshl_b64 s[8:9], s[8:9], 3
	s_mov_b32 s7, 0
	s_waitcnt lgkmcnt(0)
	s_add_u32 s8, s0, s8
	s_addc_u32 s9, s1, s9
	s_lshl_b64 s[0:1], s[6:7], 3
	s_add_u32 s0, s8, s0
	s_addc_u32 s1, s9, s1
	s_cbranch_execz .LBB116_17
	s_branch .LBB116_18
.LBB116_16:
                                        ; implicit-def: $sgpr0_sgpr1
.LBB116_17:
	s_load_dwordx2 s[0:1], s[4:5], 0x58
	s_lshl_b64 s[2:3], s[2:3], 3
	s_waitcnt lgkmcnt(0)
	s_add_u32 s0, s0, s2
	s_addc_u32 s1, s1, s3
.LBB116_18:
	v_mov_b32_e32 v0, 0
	s_waitcnt lgkmcnt(0)
	global_store_dwordx2 v0, v[2:3], s[0:1]
	s_endpgm
	.section	.rodata,"a",@progbits
	.p2align	6, 0x0
	.amdhsa_kernel _ZL18rocblas_dot_kernelIiLb0ELi512ELi2ELb1E19rocblas_complex_numIfEPKS1_S1_EviT5_lT_lS4_lS5_liPT6_PT4_
		.amdhsa_group_segment_fixed_size 512
		.amdhsa_private_segment_fixed_size 0
		.amdhsa_kernarg_size 352
		.amdhsa_user_sgpr_count 6
		.amdhsa_user_sgpr_private_segment_buffer 1
		.amdhsa_user_sgpr_dispatch_ptr 0
		.amdhsa_user_sgpr_queue_ptr 0
		.amdhsa_user_sgpr_kernarg_segment_ptr 1
		.amdhsa_user_sgpr_dispatch_id 0
		.amdhsa_user_sgpr_flat_scratch_init 0
		.amdhsa_user_sgpr_kernarg_preload_length 0
		.amdhsa_user_sgpr_kernarg_preload_offset 0
		.amdhsa_user_sgpr_private_segment_size 0
		.amdhsa_uses_dynamic_stack 0
		.amdhsa_system_sgpr_private_segment_wavefront_offset 0
		.amdhsa_system_sgpr_workgroup_id_x 1
		.amdhsa_system_sgpr_workgroup_id_y 0
		.amdhsa_system_sgpr_workgroup_id_z 1
		.amdhsa_system_sgpr_workgroup_info 0
		.amdhsa_system_vgpr_workitem_id 0
		.amdhsa_next_free_vgpr 12
		.amdhsa_next_free_sgpr 26
		.amdhsa_accum_offset 12
		.amdhsa_reserve_vcc 1
		.amdhsa_reserve_flat_scratch 0
		.amdhsa_float_round_mode_32 0
		.amdhsa_float_round_mode_16_64 0
		.amdhsa_float_denorm_mode_32 3
		.amdhsa_float_denorm_mode_16_64 3
		.amdhsa_dx10_clamp 1
		.amdhsa_ieee_mode 1
		.amdhsa_fp16_overflow 0
		.amdhsa_tg_split 0
		.amdhsa_exception_fp_ieee_invalid_op 0
		.amdhsa_exception_fp_denorm_src 0
		.amdhsa_exception_fp_ieee_div_zero 0
		.amdhsa_exception_fp_ieee_overflow 0
		.amdhsa_exception_fp_ieee_underflow 0
		.amdhsa_exception_fp_ieee_inexact 0
		.amdhsa_exception_int_div_zero 0
	.end_amdhsa_kernel
	.section	.text._ZL18rocblas_dot_kernelIiLb0ELi512ELi2ELb1E19rocblas_complex_numIfEPKS1_S1_EviT5_lT_lS4_lS5_liPT6_PT4_,"axG",@progbits,_ZL18rocblas_dot_kernelIiLb0ELi512ELi2ELb1E19rocblas_complex_numIfEPKS1_S1_EviT5_lT_lS4_lS5_liPT6_PT4_,comdat
.Lfunc_end116:
	.size	_ZL18rocblas_dot_kernelIiLb0ELi512ELi2ELb1E19rocblas_complex_numIfEPKS1_S1_EviT5_lT_lS4_lS5_liPT6_PT4_, .Lfunc_end116-_ZL18rocblas_dot_kernelIiLb0ELi512ELi2ELb1E19rocblas_complex_numIfEPKS1_S1_EviT5_lT_lS4_lS5_liPT6_PT4_
                                        ; -- End function
	.section	.AMDGPU.csdata,"",@progbits
; Kernel info:
; codeLenInByte = 1172
; NumSgprs: 30
; NumVgprs: 12
; NumAgprs: 0
; TotalNumVgprs: 12
; ScratchSize: 0
; MemoryBound: 0
; FloatMode: 240
; IeeeMode: 1
; LDSByteSize: 512 bytes/workgroup (compile time only)
; SGPRBlocks: 3
; VGPRBlocks: 1
; NumSGPRsForWavesPerEU: 30
; NumVGPRsForWavesPerEU: 12
; AccumOffset: 12
; Occupancy: 8
; WaveLimiterHint : 0
; COMPUTE_PGM_RSRC2:SCRATCH_EN: 0
; COMPUTE_PGM_RSRC2:USER_SGPR: 6
; COMPUTE_PGM_RSRC2:TRAP_HANDLER: 0
; COMPUTE_PGM_RSRC2:TGID_X_EN: 1
; COMPUTE_PGM_RSRC2:TGID_Y_EN: 0
; COMPUTE_PGM_RSRC2:TGID_Z_EN: 1
; COMPUTE_PGM_RSRC2:TIDIG_COMP_CNT: 0
; COMPUTE_PGM_RSRC3_GFX90A:ACCUM_OFFSET: 2
; COMPUTE_PGM_RSRC3_GFX90A:TG_SPLIT: 0
	.section	.text._ZL24rocblas_dot_kernel_magsqIiLb0ELi512ELi2ELb1E19rocblas_complex_numIfEPKS1_S1_EviT5_lT_liPT6_PT4_,"axG",@progbits,_ZL24rocblas_dot_kernel_magsqIiLb0ELi512ELi2ELb1E19rocblas_complex_numIfEPKS1_S1_EviT5_lT_liPT6_PT4_,comdat
	.globl	_ZL24rocblas_dot_kernel_magsqIiLb0ELi512ELi2ELb1E19rocblas_complex_numIfEPKS1_S1_EviT5_lT_liPT6_PT4_ ; -- Begin function _ZL24rocblas_dot_kernel_magsqIiLb0ELi512ELi2ELb1E19rocblas_complex_numIfEPKS1_S1_EviT5_lT_liPT6_PT4_
	.p2align	8
	.type	_ZL24rocblas_dot_kernel_magsqIiLb0ELi512ELi2ELb1E19rocblas_complex_numIfEPKS1_S1_EviT5_lT_liPT6_PT4_,@function
_ZL24rocblas_dot_kernel_magsqIiLb0ELi512ELi2ELb1E19rocblas_complex_numIfEPKS1_S1_EviT5_lT_liPT6_PT4_: ; @_ZL24rocblas_dot_kernel_magsqIiLb0ELi512ELi2ELb1E19rocblas_complex_numIfEPKS1_S1_EviT5_lT_liPT6_PT4_
; %bb.0:
	s_mov_b32 s2, s7
	s_load_dword s7, s[4:5], 0x0
	s_load_dword s10, s[4:5], 0x40
	v_lshl_or_b32 v1, s6, 9, v0
	v_mov_b32_e32 v2, 0
	s_mov_b32 s3, 0
	s_waitcnt lgkmcnt(0)
	v_cmp_gt_i32_e32 vcc, s7, v1
	v_mov_b32_e32 v3, v2
	s_and_saveexec_b64 s[0:1], vcc
	s_cbranch_execz .LBB117_4
; %bb.1:
	s_load_dwordx2 s[8:9], s[4:5], 0x20
	s_load_dwordx4 s[12:15], s[4:5], 0x8
	s_load_dword s11, s[4:5], 0x18
	s_waitcnt lgkmcnt(0)
	s_mul_i32 s9, s2, s9
	s_mul_hi_u32 s16, s2, s8
	s_mul_i32 s8, s2, s8
	s_add_i32 s9, s16, s9
	s_lshl_b64 s[8:9], s[8:9], 3
	s_add_u32 s12, s12, s8
	s_addc_u32 s13, s13, s9
	s_lshl_b64 s[8:9], s[14:15], 3
	s_add_u32 s12, s12, s8
	s_addc_u32 s13, s13, s9
	v_mad_i64_i32 v[2:3], s[8:9], v1, s11, 0
	v_lshlrev_b64 v[2:3], 3, v[2:3]
	v_mov_b32_e32 v1, s13
	v_add_co_u32_e32 v2, vcc, s12, v2
	v_addc_co_u32_e32 v3, vcc, v1, v3, vcc
	global_load_dwordx2 v[2:3], v[2:3], off
	s_add_i32 s8, s6, s10
	v_lshl_or_b32 v1, s8, 9, v0
	v_cmp_gt_i32_e32 vcc, s7, v1
	s_waitcnt vmcnt(0)
	v_pk_mul_f32 v[4:5], v[2:3], v[2:3]
	v_pk_mul_f32 v[6:7], v[2:3], v[2:3] op_sel_hi:[0,1]
	v_mov_b32_e32 v4, v5
	v_mov_b32_e32 v5, v7
	v_pk_fma_f32 v[6:7], v[2:3], v[2:3], v[6:7] op_sel_hi:[0,1,1] neg_lo:[0,0,1] neg_hi:[0,0,1]
	v_pk_fma_f32 v[2:3], v[2:3], v[2:3], v[4:5] op_sel_hi:[0,1,1]
	v_mov_b32_e32 v3, v7
	v_pk_add_f32 v[2:3], v[2:3], 0 op_sel_hi:[1,0]
	s_and_saveexec_b64 s[8:9], vcc
	s_cbranch_execz .LBB117_3
; %bb.2:
	v_mad_i64_i32 v[4:5], s[14:15], v1, s11, 0
	v_lshlrev_b64 v[4:5], 3, v[4:5]
	v_mov_b32_e32 v1, s13
	v_add_co_u32_e32 v4, vcc, s12, v4
	v_addc_co_u32_e32 v5, vcc, v1, v5, vcc
	global_load_dwordx2 v[4:5], v[4:5], off
	s_waitcnt vmcnt(0)
	v_pk_mul_f32 v[6:7], v[4:5], v[4:5] op_sel_hi:[0,1]
	v_pk_mul_f32 v[8:9], v[4:5], v[4:5]
	v_mov_b32_e32 v8, v9
	v_mov_b32_e32 v9, v7
	v_pk_fma_f32 v[8:9], v[4:5], v[4:5], v[8:9] op_sel_hi:[0,1,1]
	v_pk_fma_f32 v[4:5], v[4:5], v[4:5], v[6:7] op_sel_hi:[0,1,1] neg_lo:[0,0,1] neg_hi:[0,0,1]
	v_mov_b32_e32 v9, v5
	v_pk_add_f32 v[2:3], v[2:3], v[8:9]
.LBB117_3:
	s_or_b64 exec, exec, s[8:9]
.LBB117_4:
	s_or_b64 exec, exec, s[0:1]
	v_and_b32_e32 v6, 63, v0
	v_cmp_gt_u32_e32 vcc, 64, v0
	v_lshlrev_b32_e32 v1, 3, v6
	s_and_saveexec_b64 s[0:1], vcc
	s_cbranch_execz .LBB117_6
; %bb.5:
	v_mov_b32_e32 v4, 0
	v_mov_b32_e32 v5, v4
	ds_write_b64 v1, v[4:5]
.LBB117_6:
	s_or_b64 exec, exec, s[0:1]
	v_mbcnt_lo_u32_b32 v4, -1, 0
	v_mbcnt_hi_u32_b32 v9, -1, v4
	v_and_b32_e32 v10, 63, v9
	v_cmp_gt_u32_e64 s[0:1], 32, v10
	v_cndmask_b32_e64 v4, 0, 1, s[0:1]
	v_lshlrev_b32_e32 v4, 5, v4
	v_add_lshl_u32 v5, v4, v9, 2
	ds_bpermute_b32 v4, v5, v2
	ds_bpermute_b32 v5, v5, v3
	v_cmp_gt_u32_e64 s[0:1], 48, v10
	v_cndmask_b32_e64 v7, 0, 1, s[0:1]
	v_lshlrev_b32_e32 v7, 4, v7
	v_add_lshl_u32 v7, v7, v9, 2
	s_waitcnt lgkmcnt(0)
	v_pk_add_f32 v[2:3], v[2:3], v[4:5]
	ds_bpermute_b32 v4, v7, v2
	ds_bpermute_b32 v5, v7, v3
	v_cmp_gt_u32_e64 s[0:1], 56, v10
	v_cndmask_b32_e64 v7, 0, 1, s[0:1]
	v_lshlrev_b32_e32 v7, 3, v7
	v_add_lshl_u32 v7, v7, v9, 2
	s_waitcnt lgkmcnt(0)
	v_pk_add_f32 v[2:3], v[2:3], v[4:5]
	;; [unrolled: 8-line block ×4, first 2 shown]
	ds_bpermute_b32 v4, v8, v2
	ds_bpermute_b32 v5, v8, v3
	v_cmp_ne_u32_e64 s[0:1], 63, v10
	s_waitcnt lgkmcnt(0)
	s_barrier
	v_pk_add_f32 v[2:3], v[2:3], v[4:5]
	v_addc_co_u32_e64 v4, s[0:1], 0, v9, s[0:1]
	v_lshlrev_b32_e32 v9, 2, v4
	ds_bpermute_b32 v4, v9, v2
	ds_bpermute_b32 v5, v9, v3
	v_cmp_eq_u32_e64 s[0:1], 0, v6
	s_and_saveexec_b64 s[8:9], s[0:1]
	s_cbranch_execz .LBB117_8
; %bb.7:
	v_lshrrev_b32_e32 v6, 3, v0
	v_and_b32_e32 v6, 56, v6
	s_waitcnt lgkmcnt(0)
	v_pk_add_f32 v[2:3], v[2:3], v[4:5]
	ds_write_b64 v6, v[2:3]
.LBB117_8:
	s_or_b64 exec, exec, s[8:9]
	v_cmp_gt_u32_e64 s[0:1], 8, v0
	v_mov_b32_e32 v2, 0
	v_mov_b32_e32 v3, 0
	s_waitcnt lgkmcnt(0)
	s_barrier
	s_and_saveexec_b64 s[8:9], s[0:1]
	s_cbranch_execnz .LBB117_12
; %bb.9:
	s_or_b64 exec, exec, s[8:9]
	s_and_saveexec_b64 s[0:1], vcc
	s_cbranch_execnz .LBB117_13
.LBB117_10:
	s_or_b64 exec, exec, s[0:1]
	v_cmp_eq_u32_e32 vcc, 0, v0
	s_and_saveexec_b64 s[0:1], vcc
	s_cbranch_execnz .LBB117_14
.LBB117_11:
	s_endpgm
.LBB117_12:
	ds_read_b64 v[2:3], v1
	s_or_b64 exec, exec, s[8:9]
	s_and_saveexec_b64 s[0:1], vcc
	s_cbranch_execz .LBB117_10
.LBB117_13:
	s_waitcnt lgkmcnt(0)
	ds_bpermute_b32 v4, v7, v2
	ds_bpermute_b32 v5, v7, v3
	s_waitcnt lgkmcnt(0)
	v_pk_add_f32 v[2:3], v[2:3], v[4:5]
	ds_bpermute_b32 v4, v8, v2
	ds_bpermute_b32 v5, v8, v3
	s_waitcnt lgkmcnt(0)
	v_pk_add_f32 v[2:3], v[2:3], v[4:5]
	;; [unrolled: 4-line block ×3, first 2 shown]
	s_or_b64 exec, exec, s[0:1]
	v_cmp_eq_u32_e32 vcc, 0, v0
	s_and_saveexec_b64 s[0:1], vcc
	s_cbranch_execz .LBB117_11
.LBB117_14:
	s_cmp_lg_u32 s10, 1
	s_cbranch_scc0 .LBB117_16
; %bb.15:
	s_load_dwordx2 s[0:1], s[4:5], 0x30
	s_mul_hi_u32 s9, s10, s2
	s_mul_i32 s8, s10, s2
	s_lshl_b64 s[8:9], s[8:9], 3
	s_mov_b32 s7, 0
	s_waitcnt lgkmcnt(0)
	s_add_u32 s8, s0, s8
	s_addc_u32 s9, s1, s9
	s_lshl_b64 s[0:1], s[6:7], 3
	s_add_u32 s0, s8, s0
	s_addc_u32 s1, s9, s1
	s_cbranch_execz .LBB117_17
	s_branch .LBB117_18
.LBB117_16:
                                        ; implicit-def: $sgpr0_sgpr1
.LBB117_17:
	s_load_dwordx2 s[0:1], s[4:5], 0x38
	s_lshl_b64 s[2:3], s[2:3], 3
	s_waitcnt lgkmcnt(0)
	s_add_u32 s0, s0, s2
	s_addc_u32 s1, s1, s3
.LBB117_18:
	v_mov_b32_e32 v0, 0
	s_waitcnt lgkmcnt(0)
	global_store_dwordx2 v0, v[2:3], s[0:1]
	s_endpgm
	.section	.rodata,"a",@progbits
	.p2align	6, 0x0
	.amdhsa_kernel _ZL24rocblas_dot_kernel_magsqIiLb0ELi512ELi2ELb1E19rocblas_complex_numIfEPKS1_S1_EviT5_lT_liPT6_PT4_
		.amdhsa_group_segment_fixed_size 512
		.amdhsa_private_segment_fixed_size 0
		.amdhsa_kernarg_size 320
		.amdhsa_user_sgpr_count 6
		.amdhsa_user_sgpr_private_segment_buffer 1
		.amdhsa_user_sgpr_dispatch_ptr 0
		.amdhsa_user_sgpr_queue_ptr 0
		.amdhsa_user_sgpr_kernarg_segment_ptr 1
		.amdhsa_user_sgpr_dispatch_id 0
		.amdhsa_user_sgpr_flat_scratch_init 0
		.amdhsa_user_sgpr_kernarg_preload_length 0
		.amdhsa_user_sgpr_kernarg_preload_offset 0
		.amdhsa_user_sgpr_private_segment_size 0
		.amdhsa_uses_dynamic_stack 0
		.amdhsa_system_sgpr_private_segment_wavefront_offset 0
		.amdhsa_system_sgpr_workgroup_id_x 1
		.amdhsa_system_sgpr_workgroup_id_y 0
		.amdhsa_system_sgpr_workgroup_id_z 1
		.amdhsa_system_sgpr_workgroup_info 0
		.amdhsa_system_vgpr_workitem_id 0
		.amdhsa_next_free_vgpr 11
		.amdhsa_next_free_sgpr 17
		.amdhsa_accum_offset 12
		.amdhsa_reserve_vcc 1
		.amdhsa_reserve_flat_scratch 0
		.amdhsa_float_round_mode_32 0
		.amdhsa_float_round_mode_16_64 0
		.amdhsa_float_denorm_mode_32 3
		.amdhsa_float_denorm_mode_16_64 3
		.amdhsa_dx10_clamp 1
		.amdhsa_ieee_mode 1
		.amdhsa_fp16_overflow 0
		.amdhsa_tg_split 0
		.amdhsa_exception_fp_ieee_invalid_op 0
		.amdhsa_exception_fp_denorm_src 0
		.amdhsa_exception_fp_ieee_div_zero 0
		.amdhsa_exception_fp_ieee_overflow 0
		.amdhsa_exception_fp_ieee_underflow 0
		.amdhsa_exception_fp_ieee_inexact 0
		.amdhsa_exception_int_div_zero 0
	.end_amdhsa_kernel
	.section	.text._ZL24rocblas_dot_kernel_magsqIiLb0ELi512ELi2ELb1E19rocblas_complex_numIfEPKS1_S1_EviT5_lT_liPT6_PT4_,"axG",@progbits,_ZL24rocblas_dot_kernel_magsqIiLb0ELi512ELi2ELb1E19rocblas_complex_numIfEPKS1_S1_EviT5_lT_liPT6_PT4_,comdat
.Lfunc_end117:
	.size	_ZL24rocblas_dot_kernel_magsqIiLb0ELi512ELi2ELb1E19rocblas_complex_numIfEPKS1_S1_EviT5_lT_liPT6_PT4_, .Lfunc_end117-_ZL24rocblas_dot_kernel_magsqIiLb0ELi512ELi2ELb1E19rocblas_complex_numIfEPKS1_S1_EviT5_lT_liPT6_PT4_
                                        ; -- End function
	.section	.AMDGPU.csdata,"",@progbits
; Kernel info:
; codeLenInByte = 1064
; NumSgprs: 21
; NumVgprs: 11
; NumAgprs: 0
; TotalNumVgprs: 11
; ScratchSize: 0
; MemoryBound: 0
; FloatMode: 240
; IeeeMode: 1
; LDSByteSize: 512 bytes/workgroup (compile time only)
; SGPRBlocks: 2
; VGPRBlocks: 1
; NumSGPRsForWavesPerEU: 21
; NumVGPRsForWavesPerEU: 11
; AccumOffset: 12
; Occupancy: 8
; WaveLimiterHint : 0
; COMPUTE_PGM_RSRC2:SCRATCH_EN: 0
; COMPUTE_PGM_RSRC2:USER_SGPR: 6
; COMPUTE_PGM_RSRC2:TRAP_HANDLER: 0
; COMPUTE_PGM_RSRC2:TGID_X_EN: 1
; COMPUTE_PGM_RSRC2:TGID_Y_EN: 0
; COMPUTE_PGM_RSRC2:TGID_Z_EN: 1
; COMPUTE_PGM_RSRC2:TIDIG_COMP_CNT: 0
; COMPUTE_PGM_RSRC3_GFX90A:ACCUM_OFFSET: 2
; COMPUTE_PGM_RSRC3_GFX90A:TG_SPLIT: 0
	.section	.text._ZL28rocblas_dot_batched_4_kernelIlLi32ELi4ELb1E19rocblas_complex_numIfES1_PKS1_EviT5_lT_lS4_lS5_liPT4_,"axG",@progbits,_ZL28rocblas_dot_batched_4_kernelIlLi32ELi4ELb1E19rocblas_complex_numIfES1_PKS1_EviT5_lT_lS4_lS5_liPT4_,comdat
	.globl	_ZL28rocblas_dot_batched_4_kernelIlLi32ELi4ELb1E19rocblas_complex_numIfES1_PKS1_EviT5_lT_lS4_lS5_liPT4_ ; -- Begin function _ZL28rocblas_dot_batched_4_kernelIlLi32ELi4ELb1E19rocblas_complex_numIfES1_PKS1_EviT5_lT_lS4_lS5_liPT4_
	.p2align	8
	.type	_ZL28rocblas_dot_batched_4_kernelIlLi32ELi4ELb1E19rocblas_complex_numIfES1_PKS1_EviT5_lT_lS4_lS5_liPT4_,@function
_ZL28rocblas_dot_batched_4_kernelIlLi32ELi4ELb1E19rocblas_complex_numIfES1_PKS1_EviT5_lT_lS4_lS5_liPT4_: ; @_ZL28rocblas_dot_batched_4_kernelIlLi32ELi4ELb1E19rocblas_complex_numIfES1_PKS1_EviT5_lT_lS4_lS5_liPT4_
; %bb.0:
	s_load_dword s0, s[4:5], 0x48
	v_bfe_u32 v1, v0, 10, 10
	v_lshl_add_u32 v2, s6, 2, v1
	s_waitcnt lgkmcnt(0)
	v_cmp_gt_u32_e32 vcc, s0, v2
	s_and_saveexec_b64 s[0:1], vcc
	s_cbranch_execz .LBB118_7
; %bb.1:
	s_load_dword s16, s[4:5], 0x0
	s_load_dwordx2 s[0:1], s[4:5], 0x50
	v_mov_b32_e32 v3, 0
	v_and_b32_e32 v8, 0x3ff, v0
	v_mov_b32_e32 v1, v3
	s_waitcnt lgkmcnt(0)
	v_cmp_gt_i32_e32 vcc, s16, v8
	v_mov_b32_e32 v0, v3
	s_and_saveexec_b64 s[2:3], vcc
	s_cbranch_execz .LBB118_5
; %bb.2:
	s_load_dwordx4 s[20:23], s[4:5], 0x10
	s_load_dwordx2 s[6:7], s[4:5], 0x8
	s_load_dwordx8 s[8:15], s[4:5], 0x20
	s_load_dwordx2 s[18:19], s[4:5], 0x40
	s_waitcnt lgkmcnt(0)
	v_mad_u64_u32 v[0:1], s[4:5], s22, v8, 0
	v_mov_b32_e32 v4, v1
	v_mad_u64_u32 v[4:5], s[4:5], s23, v8, v[4:5]
	v_mov_b32_e32 v1, v4
	;; [unrolled: 2-line block ×4, first 2 shown]
	v_lshlrev_b64 v[0:1], 3, v[0:1]
	v_lshlrev_b64 v[4:5], 3, v[4:5]
	s_lshl_b64 s[4:5], s[20:21], 3
	v_add_co_u32_e32 v0, vcc, v0, v4
	s_add_u32 s4, s6, s4
	v_addc_co_u32_e32 v1, vcc, v1, v5, vcc
	s_addc_u32 s5, s7, s5
	v_mov_b32_e32 v4, s5
	v_add_co_u32_e32 v0, vcc, s4, v0
	v_addc_co_u32_e32 v1, vcc, v4, v1, vcc
	v_add_co_u32_e32 v4, vcc, 4, v0
	v_addc_co_u32_e32 v5, vcc, 0, v1, vcc
	v_mad_u64_u32 v[0:1], s[6:7], s14, v8, 0
	v_mov_b32_e32 v6, v1
	v_mad_u64_u32 v[6:7], s[6:7], s15, v8, v[6:7]
	v_mov_b32_e32 v1, v6
	v_mad_u64_u32 v[6:7], s[6:7], s18, v2, 0
	v_mov_b32_e32 v10, v7
	v_mad_u64_u32 v[10:11], s[6:7], s19, v2, v[10:11]
	v_mov_b32_e32 v7, v10
	s_lshl_b64 s[4:5], s[22:23], 8
	v_lshlrev_b64 v[0:1], 3, v[0:1]
	v_lshlrev_b64 v[6:7], 3, v[6:7]
	s_lshl_b64 s[6:7], s[12:13], 3
	v_add_co_u32_e32 v0, vcc, v0, v6
	s_add_u32 s6, s10, s6
	v_addc_co_u32_e32 v1, vcc, v1, v7, vcc
	s_addc_u32 s7, s11, s7
	v_mov_b32_e32 v7, s7
	v_add_co_u32_e32 v6, vcc, s6, v0
	s_lshl_b64 s[8:9], s[14:15], 8
	v_mov_b32_e32 v0, 0
	v_addc_co_u32_e32 v7, vcc, v7, v1, vcc
	s_mov_b64 s[6:7], 0
	v_mov_b32_e32 v9, s5
	v_mov_b32_e32 v10, s9
	;; [unrolled: 1-line block ×4, first 2 shown]
.LBB118_3:                              ; =>This Inner Loop Header: Depth=1
	global_load_dwordx2 v[12:13], v[4:5], off offset:-4
	global_load_dwordx2 v[14:15], v[6:7], off
	v_add_co_u32_e32 v4, vcc, s4, v4
	v_addc_co_u32_e32 v5, vcc, v5, v9, vcc
	v_add_co_u32_e32 v6, vcc, s8, v6
	v_add_u32_e32 v11, 32, v11
	v_addc_co_u32_e32 v7, vcc, v7, v10, vcc
	v_cmp_le_i32_e32 vcc, s16, v11
	s_or_b64 s[6:7], vcc, s[6:7]
	s_waitcnt vmcnt(0)
	v_pk_mul_f32 v[16:17], v[12:13], v[14:15] op_sel:[1,0]
	v_pk_fma_f32 v[18:19], v[12:13], v[14:15], v[16:17] op_sel:[0,0,1] op_sel_hi:[1,1,0]
	v_pk_fma_f32 v[12:13], v[12:13], v[14:15], v[16:17] op_sel:[0,0,1] op_sel_hi:[0,1,0] neg_lo:[0,0,1] neg_hi:[0,0,1]
	v_mov_b32_e32 v19, v13
	v_pk_add_f32 v[0:1], v[0:1], v[18:19]
	s_andn2_b64 exec, exec, s[6:7]
	s_cbranch_execnz .LBB118_3
; %bb.4:
	s_or_b64 exec, exec, s[6:7]
.LBB118_5:
	s_or_b64 exec, exec, s[2:3]
	v_mbcnt_lo_u32_b32 v4, -1, 0
	v_mbcnt_hi_u32_b32 v6, -1, v4
	v_and_b32_e32 v7, 63, v6
	v_cmp_gt_u32_e32 vcc, 48, v7
	v_cndmask_b32_e64 v4, 0, 1, vcc
	v_lshlrev_b32_e32 v4, 4, v4
	v_add_lshl_u32 v5, v4, v6, 2
	ds_bpermute_b32 v4, v5, v0
	ds_bpermute_b32 v5, v5, v1
	v_cmp_gt_u32_e32 vcc, 56, v7
	v_cndmask_b32_e64 v9, 0, 1, vcc
	v_lshlrev_b32_e32 v9, 3, v9
	v_add_lshl_u32 v9, v9, v6, 2
	s_waitcnt lgkmcnt(0)
	v_pk_add_f32 v[0:1], v[0:1], v[4:5]
	ds_bpermute_b32 v4, v9, v0
	ds_bpermute_b32 v5, v9, v1
	v_cmp_gt_u32_e32 vcc, 60, v7
	v_cndmask_b32_e64 v9, 0, 1, vcc
	v_lshlrev_b32_e32 v9, 2, v9
	v_add_lshl_u32 v9, v9, v6, 2
	s_waitcnt lgkmcnt(0)
	v_pk_add_f32 v[0:1], v[0:1], v[4:5]
	;; [unrolled: 8-line block ×3, first 2 shown]
	ds_bpermute_b32 v4, v9, v0
	ds_bpermute_b32 v5, v9, v1
	v_cmp_ne_u32_e32 vcc, 63, v7
	s_waitcnt lgkmcnt(0)
	s_barrier
	v_pk_add_f32 v[0:1], v[0:1], v[4:5]
	v_addc_co_u32_e32 v4, vcc, 0, v6, vcc
	v_lshlrev_b32_e32 v5, 2, v4
	ds_bpermute_b32 v4, v5, v0
	ds_bpermute_b32 v5, v5, v1
	v_cmp_eq_u32_e32 vcc, 0, v8
	s_and_b64 exec, exec, vcc
	s_cbranch_execz .LBB118_7
; %bb.6:
	v_lshlrev_b64 v[2:3], 3, v[2:3]
	v_mov_b32_e32 v6, s1
	v_add_co_u32_e32 v2, vcc, s0, v2
	v_addc_co_u32_e32 v3, vcc, v6, v3, vcc
	s_waitcnt lgkmcnt(0)
	v_pk_add_f32 v[0:1], v[0:1], v[4:5]
	global_store_dwordx2 v[2:3], v[0:1], off
.LBB118_7:
	s_endpgm
	.section	.rodata,"a",@progbits
	.p2align	6, 0x0
	.amdhsa_kernel _ZL28rocblas_dot_batched_4_kernelIlLi32ELi4ELb1E19rocblas_complex_numIfES1_PKS1_EviT5_lT_lS4_lS5_liPT4_
		.amdhsa_group_segment_fixed_size 0
		.amdhsa_private_segment_fixed_size 0
		.amdhsa_kernarg_size 88
		.amdhsa_user_sgpr_count 6
		.amdhsa_user_sgpr_private_segment_buffer 1
		.amdhsa_user_sgpr_dispatch_ptr 0
		.amdhsa_user_sgpr_queue_ptr 0
		.amdhsa_user_sgpr_kernarg_segment_ptr 1
		.amdhsa_user_sgpr_dispatch_id 0
		.amdhsa_user_sgpr_flat_scratch_init 0
		.amdhsa_user_sgpr_kernarg_preload_length 0
		.amdhsa_user_sgpr_kernarg_preload_offset 0
		.amdhsa_user_sgpr_private_segment_size 0
		.amdhsa_uses_dynamic_stack 0
		.amdhsa_system_sgpr_private_segment_wavefront_offset 0
		.amdhsa_system_sgpr_workgroup_id_x 1
		.amdhsa_system_sgpr_workgroup_id_y 0
		.amdhsa_system_sgpr_workgroup_id_z 0
		.amdhsa_system_sgpr_workgroup_info 0
		.amdhsa_system_vgpr_workitem_id 1
		.amdhsa_next_free_vgpr 20
		.amdhsa_next_free_sgpr 24
		.amdhsa_accum_offset 20
		.amdhsa_reserve_vcc 1
		.amdhsa_reserve_flat_scratch 0
		.amdhsa_float_round_mode_32 0
		.amdhsa_float_round_mode_16_64 0
		.amdhsa_float_denorm_mode_32 3
		.amdhsa_float_denorm_mode_16_64 3
		.amdhsa_dx10_clamp 1
		.amdhsa_ieee_mode 1
		.amdhsa_fp16_overflow 0
		.amdhsa_tg_split 0
		.amdhsa_exception_fp_ieee_invalid_op 0
		.amdhsa_exception_fp_denorm_src 0
		.amdhsa_exception_fp_ieee_div_zero 0
		.amdhsa_exception_fp_ieee_overflow 0
		.amdhsa_exception_fp_ieee_underflow 0
		.amdhsa_exception_fp_ieee_inexact 0
		.amdhsa_exception_int_div_zero 0
	.end_amdhsa_kernel
	.section	.text._ZL28rocblas_dot_batched_4_kernelIlLi32ELi4ELb1E19rocblas_complex_numIfES1_PKS1_EviT5_lT_lS4_lS5_liPT4_,"axG",@progbits,_ZL28rocblas_dot_batched_4_kernelIlLi32ELi4ELb1E19rocblas_complex_numIfES1_PKS1_EviT5_lT_lS4_lS5_liPT4_,comdat
.Lfunc_end118:
	.size	_ZL28rocblas_dot_batched_4_kernelIlLi32ELi4ELb1E19rocblas_complex_numIfES1_PKS1_EviT5_lT_lS4_lS5_liPT4_, .Lfunc_end118-_ZL28rocblas_dot_batched_4_kernelIlLi32ELi4ELb1E19rocblas_complex_numIfES1_PKS1_EviT5_lT_lS4_lS5_liPT4_
                                        ; -- End function
	.section	.AMDGPU.csdata,"",@progbits
; Kernel info:
; codeLenInByte = 776
; NumSgprs: 28
; NumVgprs: 20
; NumAgprs: 0
; TotalNumVgprs: 20
; ScratchSize: 0
; MemoryBound: 0
; FloatMode: 240
; IeeeMode: 1
; LDSByteSize: 0 bytes/workgroup (compile time only)
; SGPRBlocks: 3
; VGPRBlocks: 2
; NumSGPRsForWavesPerEU: 28
; NumVGPRsForWavesPerEU: 20
; AccumOffset: 20
; Occupancy: 8
; WaveLimiterHint : 0
; COMPUTE_PGM_RSRC2:SCRATCH_EN: 0
; COMPUTE_PGM_RSRC2:USER_SGPR: 6
; COMPUTE_PGM_RSRC2:TRAP_HANDLER: 0
; COMPUTE_PGM_RSRC2:TGID_X_EN: 1
; COMPUTE_PGM_RSRC2:TGID_Y_EN: 0
; COMPUTE_PGM_RSRC2:TGID_Z_EN: 0
; COMPUTE_PGM_RSRC2:TIDIG_COMP_CNT: 1
; COMPUTE_PGM_RSRC3_GFX90A:ACCUM_OFFSET: 4
; COMPUTE_PGM_RSRC3_GFX90A:TG_SPLIT: 0
	.section	.text._ZL28rocblas_dot_batched_4_kernelIlLi64ELi4ELb1E19rocblas_complex_numIfES1_PKS1_EviT5_lT_lS4_lS5_liPT4_,"axG",@progbits,_ZL28rocblas_dot_batched_4_kernelIlLi64ELi4ELb1E19rocblas_complex_numIfES1_PKS1_EviT5_lT_lS4_lS5_liPT4_,comdat
	.globl	_ZL28rocblas_dot_batched_4_kernelIlLi64ELi4ELb1E19rocblas_complex_numIfES1_PKS1_EviT5_lT_lS4_lS5_liPT4_ ; -- Begin function _ZL28rocblas_dot_batched_4_kernelIlLi64ELi4ELb1E19rocblas_complex_numIfES1_PKS1_EviT5_lT_lS4_lS5_liPT4_
	.p2align	8
	.type	_ZL28rocblas_dot_batched_4_kernelIlLi64ELi4ELb1E19rocblas_complex_numIfES1_PKS1_EviT5_lT_lS4_lS5_liPT4_,@function
_ZL28rocblas_dot_batched_4_kernelIlLi64ELi4ELb1E19rocblas_complex_numIfES1_PKS1_EviT5_lT_lS4_lS5_liPT4_: ; @_ZL28rocblas_dot_batched_4_kernelIlLi64ELi4ELb1E19rocblas_complex_numIfES1_PKS1_EviT5_lT_lS4_lS5_liPT4_
; %bb.0:
	s_load_dword s0, s[4:5], 0x48
	v_bfe_u32 v1, v0, 10, 10
	v_lshl_add_u32 v2, s6, 2, v1
	s_waitcnt lgkmcnt(0)
	v_cmp_gt_u32_e32 vcc, s0, v2
	s_and_saveexec_b64 s[0:1], vcc
	s_cbranch_execz .LBB119_7
; %bb.1:
	s_load_dword s16, s[4:5], 0x0
	s_load_dwordx2 s[0:1], s[4:5], 0x50
	v_mov_b32_e32 v3, 0
	v_and_b32_e32 v8, 0x3ff, v0
	v_mov_b32_e32 v1, v3
	s_waitcnt lgkmcnt(0)
	v_cmp_gt_i32_e32 vcc, s16, v8
	v_mov_b32_e32 v0, v3
	s_and_saveexec_b64 s[2:3], vcc
	s_cbranch_execz .LBB119_5
; %bb.2:
	s_load_dwordx4 s[20:23], s[4:5], 0x10
	s_load_dwordx2 s[6:7], s[4:5], 0x8
	s_load_dwordx8 s[8:15], s[4:5], 0x20
	s_load_dwordx2 s[18:19], s[4:5], 0x40
	s_waitcnt lgkmcnt(0)
	v_mad_u64_u32 v[0:1], s[4:5], s22, v8, 0
	v_mov_b32_e32 v4, v1
	v_mad_u64_u32 v[4:5], s[4:5], s23, v8, v[4:5]
	v_mov_b32_e32 v1, v4
	;; [unrolled: 2-line block ×4, first 2 shown]
	v_lshlrev_b64 v[0:1], 3, v[0:1]
	v_lshlrev_b64 v[4:5], 3, v[4:5]
	s_lshl_b64 s[4:5], s[20:21], 3
	v_add_co_u32_e32 v0, vcc, v0, v4
	s_add_u32 s4, s6, s4
	v_addc_co_u32_e32 v1, vcc, v1, v5, vcc
	s_addc_u32 s5, s7, s5
	v_mov_b32_e32 v4, s5
	v_add_co_u32_e32 v0, vcc, s4, v0
	v_addc_co_u32_e32 v1, vcc, v4, v1, vcc
	v_add_co_u32_e32 v4, vcc, 4, v0
	v_addc_co_u32_e32 v5, vcc, 0, v1, vcc
	v_mad_u64_u32 v[0:1], s[6:7], s14, v8, 0
	v_mov_b32_e32 v6, v1
	v_mad_u64_u32 v[6:7], s[6:7], s15, v8, v[6:7]
	v_mov_b32_e32 v1, v6
	;; [unrolled: 2-line block ×4, first 2 shown]
	s_lshl_b64 s[4:5], s[22:23], 9
	v_lshlrev_b64 v[0:1], 3, v[0:1]
	v_lshlrev_b64 v[6:7], 3, v[6:7]
	s_lshl_b64 s[6:7], s[12:13], 3
	v_add_co_u32_e32 v0, vcc, v0, v6
	s_add_u32 s6, s10, s6
	v_addc_co_u32_e32 v1, vcc, v1, v7, vcc
	s_addc_u32 s7, s11, s7
	v_mov_b32_e32 v7, s7
	v_add_co_u32_e32 v6, vcc, s6, v0
	s_lshl_b64 s[8:9], s[14:15], 9
	v_mov_b32_e32 v0, 0
	v_addc_co_u32_e32 v7, vcc, v7, v1, vcc
	s_mov_b64 s[6:7], 0
	v_mov_b32_e32 v9, s5
	v_mov_b32_e32 v10, s9
	;; [unrolled: 1-line block ×4, first 2 shown]
.LBB119_3:                              ; =>This Inner Loop Header: Depth=1
	global_load_dwordx2 v[12:13], v[4:5], off offset:-4
	global_load_dwordx2 v[14:15], v[6:7], off
	v_add_co_u32_e32 v4, vcc, s4, v4
	v_addc_co_u32_e32 v5, vcc, v5, v9, vcc
	v_add_co_u32_e32 v6, vcc, s8, v6
	v_add_u32_e32 v11, 64, v11
	v_addc_co_u32_e32 v7, vcc, v7, v10, vcc
	v_cmp_le_i32_e32 vcc, s16, v11
	s_or_b64 s[6:7], vcc, s[6:7]
	s_waitcnt vmcnt(0)
	v_pk_mul_f32 v[16:17], v[12:13], v[14:15] op_sel:[1,0]
	v_pk_fma_f32 v[18:19], v[12:13], v[14:15], v[16:17] op_sel:[0,0,1] op_sel_hi:[1,1,0]
	v_pk_fma_f32 v[12:13], v[12:13], v[14:15], v[16:17] op_sel:[0,0,1] op_sel_hi:[0,1,0] neg_lo:[0,0,1] neg_hi:[0,0,1]
	v_mov_b32_e32 v19, v13
	v_pk_add_f32 v[0:1], v[0:1], v[18:19]
	s_andn2_b64 exec, exec, s[6:7]
	s_cbranch_execnz .LBB119_3
; %bb.4:
	s_or_b64 exec, exec, s[6:7]
.LBB119_5:
	s_or_b64 exec, exec, s[2:3]
	v_mbcnt_lo_u32_b32 v4, -1, 0
	v_mbcnt_hi_u32_b32 v6, -1, v4
	v_and_b32_e32 v7, 63, v6
	v_cmp_gt_u32_e32 vcc, 32, v7
	v_cndmask_b32_e64 v4, 0, 1, vcc
	v_lshlrev_b32_e32 v4, 5, v4
	v_add_lshl_u32 v5, v4, v6, 2
	ds_bpermute_b32 v4, v5, v0
	ds_bpermute_b32 v5, v5, v1
	v_cmp_gt_u32_e32 vcc, 48, v7
	v_cndmask_b32_e64 v9, 0, 1, vcc
	v_lshlrev_b32_e32 v9, 4, v9
	v_add_lshl_u32 v9, v9, v6, 2
	s_waitcnt lgkmcnt(0)
	v_pk_add_f32 v[0:1], v[0:1], v[4:5]
	ds_bpermute_b32 v4, v9, v0
	ds_bpermute_b32 v5, v9, v1
	v_cmp_gt_u32_e32 vcc, 56, v7
	v_cndmask_b32_e64 v9, 0, 1, vcc
	v_lshlrev_b32_e32 v9, 3, v9
	v_add_lshl_u32 v9, v9, v6, 2
	s_waitcnt lgkmcnt(0)
	v_pk_add_f32 v[0:1], v[0:1], v[4:5]
	;; [unrolled: 8-line block ×4, first 2 shown]
	ds_bpermute_b32 v4, v9, v0
	ds_bpermute_b32 v5, v9, v1
	v_cmp_ne_u32_e32 vcc, 63, v7
	s_waitcnt lgkmcnt(0)
	s_barrier
	v_pk_add_f32 v[0:1], v[0:1], v[4:5]
	v_addc_co_u32_e32 v4, vcc, 0, v6, vcc
	v_lshlrev_b32_e32 v5, 2, v4
	ds_bpermute_b32 v4, v5, v0
	ds_bpermute_b32 v5, v5, v1
	v_cmp_eq_u32_e32 vcc, 0, v8
	s_and_b64 exec, exec, vcc
	s_cbranch_execz .LBB119_7
; %bb.6:
	v_lshlrev_b64 v[2:3], 3, v[2:3]
	v_mov_b32_e32 v6, s1
	v_add_co_u32_e32 v2, vcc, s0, v2
	v_addc_co_u32_e32 v3, vcc, v6, v3, vcc
	s_waitcnt lgkmcnt(0)
	v_pk_add_f32 v[0:1], v[0:1], v[4:5]
	global_store_dwordx2 v[2:3], v[0:1], off
.LBB119_7:
	s_endpgm
	.section	.rodata,"a",@progbits
	.p2align	6, 0x0
	.amdhsa_kernel _ZL28rocblas_dot_batched_4_kernelIlLi64ELi4ELb1E19rocblas_complex_numIfES1_PKS1_EviT5_lT_lS4_lS5_liPT4_
		.amdhsa_group_segment_fixed_size 0
		.amdhsa_private_segment_fixed_size 0
		.amdhsa_kernarg_size 88
		.amdhsa_user_sgpr_count 6
		.amdhsa_user_sgpr_private_segment_buffer 1
		.amdhsa_user_sgpr_dispatch_ptr 0
		.amdhsa_user_sgpr_queue_ptr 0
		.amdhsa_user_sgpr_kernarg_segment_ptr 1
		.amdhsa_user_sgpr_dispatch_id 0
		.amdhsa_user_sgpr_flat_scratch_init 0
		.amdhsa_user_sgpr_kernarg_preload_length 0
		.amdhsa_user_sgpr_kernarg_preload_offset 0
		.amdhsa_user_sgpr_private_segment_size 0
		.amdhsa_uses_dynamic_stack 0
		.amdhsa_system_sgpr_private_segment_wavefront_offset 0
		.amdhsa_system_sgpr_workgroup_id_x 1
		.amdhsa_system_sgpr_workgroup_id_y 0
		.amdhsa_system_sgpr_workgroup_id_z 0
		.amdhsa_system_sgpr_workgroup_info 0
		.amdhsa_system_vgpr_workitem_id 1
		.amdhsa_next_free_vgpr 20
		.amdhsa_next_free_sgpr 24
		.amdhsa_accum_offset 20
		.amdhsa_reserve_vcc 1
		.amdhsa_reserve_flat_scratch 0
		.amdhsa_float_round_mode_32 0
		.amdhsa_float_round_mode_16_64 0
		.amdhsa_float_denorm_mode_32 3
		.amdhsa_float_denorm_mode_16_64 3
		.amdhsa_dx10_clamp 1
		.amdhsa_ieee_mode 1
		.amdhsa_fp16_overflow 0
		.amdhsa_tg_split 0
		.amdhsa_exception_fp_ieee_invalid_op 0
		.amdhsa_exception_fp_denorm_src 0
		.amdhsa_exception_fp_ieee_div_zero 0
		.amdhsa_exception_fp_ieee_overflow 0
		.amdhsa_exception_fp_ieee_underflow 0
		.amdhsa_exception_fp_ieee_inexact 0
		.amdhsa_exception_int_div_zero 0
	.end_amdhsa_kernel
	.section	.text._ZL28rocblas_dot_batched_4_kernelIlLi64ELi4ELb1E19rocblas_complex_numIfES1_PKS1_EviT5_lT_lS4_lS5_liPT4_,"axG",@progbits,_ZL28rocblas_dot_batched_4_kernelIlLi64ELi4ELb1E19rocblas_complex_numIfES1_PKS1_EviT5_lT_lS4_lS5_liPT4_,comdat
.Lfunc_end119:
	.size	_ZL28rocblas_dot_batched_4_kernelIlLi64ELi4ELb1E19rocblas_complex_numIfES1_PKS1_EviT5_lT_lS4_lS5_liPT4_, .Lfunc_end119-_ZL28rocblas_dot_batched_4_kernelIlLi64ELi4ELb1E19rocblas_complex_numIfES1_PKS1_EviT5_lT_lS4_lS5_liPT4_
                                        ; -- End function
	.section	.AMDGPU.csdata,"",@progbits
; Kernel info:
; codeLenInByte = 828
; NumSgprs: 28
; NumVgprs: 20
; NumAgprs: 0
; TotalNumVgprs: 20
; ScratchSize: 0
; MemoryBound: 0
; FloatMode: 240
; IeeeMode: 1
; LDSByteSize: 0 bytes/workgroup (compile time only)
; SGPRBlocks: 3
; VGPRBlocks: 2
; NumSGPRsForWavesPerEU: 28
; NumVGPRsForWavesPerEU: 20
; AccumOffset: 20
; Occupancy: 8
; WaveLimiterHint : 0
; COMPUTE_PGM_RSRC2:SCRATCH_EN: 0
; COMPUTE_PGM_RSRC2:USER_SGPR: 6
; COMPUTE_PGM_RSRC2:TRAP_HANDLER: 0
; COMPUTE_PGM_RSRC2:TGID_X_EN: 1
; COMPUTE_PGM_RSRC2:TGID_Y_EN: 0
; COMPUTE_PGM_RSRC2:TGID_Z_EN: 0
; COMPUTE_PGM_RSRC2:TIDIG_COMP_CNT: 1
; COMPUTE_PGM_RSRC3_GFX90A:ACCUM_OFFSET: 4
; COMPUTE_PGM_RSRC3_GFX90A:TG_SPLIT: 0
	.section	.text._ZL18rocblas_dot_kernelIlLb1ELi1024ELi32ELb1E19rocblas_complex_numIfEPKS1_S1_EviT5_lT_lS4_lS5_liPT6_PT4_,"axG",@progbits,_ZL18rocblas_dot_kernelIlLb1ELi1024ELi32ELb1E19rocblas_complex_numIfEPKS1_S1_EviT5_lT_lS4_lS5_liPT6_PT4_,comdat
	.globl	_ZL18rocblas_dot_kernelIlLb1ELi1024ELi32ELb1E19rocblas_complex_numIfEPKS1_S1_EviT5_lT_lS4_lS5_liPT6_PT4_ ; -- Begin function _ZL18rocblas_dot_kernelIlLb1ELi1024ELi32ELb1E19rocblas_complex_numIfEPKS1_S1_EviT5_lT_lS4_lS5_liPT6_PT4_
	.p2align	8
	.type	_ZL18rocblas_dot_kernelIlLb1ELi1024ELi32ELb1E19rocblas_complex_numIfEPKS1_S1_EviT5_lT_lS4_lS5_liPT6_PT4_,@function
_ZL18rocblas_dot_kernelIlLb1ELi1024ELi32ELb1E19rocblas_complex_numIfEPKS1_S1_EviT5_lT_lS4_lS5_liPT6_PT4_: ; @_ZL18rocblas_dot_kernelIlLb1ELi1024ELi32ELb1E19rocblas_complex_numIfEPKS1_S1_EviT5_lT_lS4_lS5_liPT6_PT4_
; %bb.0:
	s_mov_b32 s2, s7
	s_load_dword s18, s[4:5], 0x0
	s_load_dwordx2 s[6:7], s[4:5], 0x58
	v_mov_b32_e32 v3, 0
	s_mov_b32 s3, 0
	v_mov_b32_e32 v2, v3
	s_waitcnt lgkmcnt(0)
	v_cmp_gt_i32_e32 vcc, s18, v0
	s_and_saveexec_b64 s[16:17], vcc
	s_cbranch_execz .LBB120_4
; %bb.1:
	s_load_dword s19, s[4:5], 0x60
	s_load_dwordx2 s[0:1], s[4:5], 0x40
	s_load_dwordx8 s[8:15], s[4:5], 0x20
	s_load_dwordx2 s[24:25], s[4:5], 0x8
	s_load_dwordx4 s[20:23], s[4:5], 0x10
	s_waitcnt lgkmcnt(0)
	s_lshl_b32 s19, s19, 10
	s_mul_i32 s1, s1, s2
	s_mul_i32 s4, s9, s2
	s_mul_hi_u32 s5, s8, s2
	s_add_i32 s5, s5, s4
	s_mul_i32 s4, s8, s2
	v_mad_u64_u32 v[2:3], s[8:9], s22, v0, 0
	v_mov_b32_e32 v4, v3
	v_mad_u64_u32 v[4:5], s[8:9], s23, v0, v[4:5]
	s_lshl_b64 s[4:5], s[4:5], 3
	s_lshl_b64 s[8:9], s[20:21], 3
	s_add_u32 s8, s24, s8
	s_addc_u32 s9, s25, s9
	v_mov_b32_e32 v3, v4
	s_add_u32 s4, s8, s4
	v_lshlrev_b64 v[2:3], 3, v[2:3]
	s_addc_u32 s5, s9, s5
	v_mov_b32_e32 v5, s5
	v_add_co_u32_e32 v4, vcc, s4, v2
	s_ashr_i32 s20, s19, 31
	s_mul_hi_u32 s8, s0, s2
	v_addc_co_u32_e32 v5, vcc, v5, v3, vcc
	s_mul_i32 s4, s22, s20
	s_mul_hi_u32 s5, s22, s19
	s_add_i32 s1, s8, s1
	v_mad_u64_u32 v[2:3], s[8:9], s14, v0, 0
	s_add_i32 s4, s5, s4
	s_mul_i32 s5, s23, s19
	v_mov_b32_e32 v6, v3
	s_add_i32 s5, s4, s5
	s_mul_i32 s4, s22, s19
	s_mul_i32 s0, s0, s2
	v_mad_u64_u32 v[6:7], s[8:9], s15, v0, v[6:7]
	s_lshl_b64 s[4:5], s[4:5], 3
	s_lshl_b64 s[0:1], s[0:1], 3
	;; [unrolled: 1-line block ×3, first 2 shown]
	s_add_u32 s8, s10, s8
	s_addc_u32 s9, s11, s9
	v_mov_b32_e32 v3, v6
	s_add_u32 s0, s8, s0
	v_lshlrev_b64 v[2:3], 3, v[2:3]
	s_addc_u32 s1, s9, s1
	v_mov_b32_e32 v7, s1
	v_add_co_u32_e32 v6, vcc, s0, v2
	s_mul_i32 s0, s14, s20
	s_mul_hi_u32 s1, s14, s19
	s_add_i32 s0, s1, s0
	s_mul_i32 s1, s15, s19
	s_add_i32 s1, s0, s1
	s_mul_i32 s0, s14, s19
	s_lshl_b64 s[10:11], s[0:1], 3
	v_mov_b32_e32 v2, 0
	v_or_b32_e32 v1, s19, v0
	v_addc_co_u32_e32 v7, vcc, v7, v3, vcc
	s_mov_b64 s[8:9], 0
	v_mov_b32_e32 v8, s5
	v_mov_b32_e32 v9, s11
	s_mov_b32 s5, s3
	v_mov_b32_e32 v3, v2
.LBB120_2:                              ; =>This Inner Loop Header: Depth=1
	global_load_dwordx2 v[10:11], v[6:7], off
	global_load_dwordx2 v[12:13], v[4:5], off
	v_add_co_u32_e64 v4, s[0:1], s4, v4
	v_addc_co_u32_e64 v5, s[0:1], v5, v8, s[0:1]
	s_add_i32 s11, s5, 1
	v_add_co_u32_e64 v6, s[0:1], s10, v6
	v_addc_co_u32_e64 v7, s[0:1], v7, v9, s[0:1]
	s_cmp_gt_u32 s5, 30
	v_cmp_le_i32_e32 vcc, s18, v1
	s_cselect_b64 s[0:1], -1, 0
	s_or_b64 s[0:1], s[0:1], vcc
	s_and_b64 s[0:1], exec, s[0:1]
	v_add_u32_e32 v1, s19, v1
	s_mov_b32 s5, s11
	s_or_b64 s[8:9], s[0:1], s[8:9]
	s_waitcnt vmcnt(0)
	v_pk_mul_f32 v[14:15], v[12:13], v[10:11] op_sel:[0,1]
	v_pk_fma_f32 v[16:17], v[12:13], v[10:11], v[14:15] op_sel:[0,0,1] op_sel_hi:[1,1,0]
	v_pk_fma_f32 v[10:11], v[12:13], v[10:11], v[14:15] op_sel:[0,0,1] op_sel_hi:[1,0,0] neg_lo:[1,0,0] neg_hi:[1,0,0]
	v_mov_b32_e32 v17, v11
	v_pk_add_f32 v[2:3], v[2:3], v[16:17]
	s_andn2_b64 exec, exec, s[8:9]
	s_cbranch_execnz .LBB120_2
; %bb.3:
	s_or_b64 exec, exec, s[8:9]
.LBB120_4:
	s_or_b64 exec, exec, s[16:17]
	v_and_b32_e32 v6, 63, v0
	v_cmp_gt_u32_e32 vcc, 64, v0
	v_lshlrev_b32_e32 v1, 3, v6
	s_and_saveexec_b64 s[0:1], vcc
	s_cbranch_execz .LBB120_6
; %bb.5:
	v_mov_b32_e32 v4, 0
	v_mov_b32_e32 v5, v4
	ds_write_b64 v1, v[4:5]
.LBB120_6:
	s_or_b64 exec, exec, s[0:1]
	v_mbcnt_lo_u32_b32 v4, -1, 0
	v_mbcnt_hi_u32_b32 v10, -1, v4
	v_and_b32_e32 v11, 63, v10
	v_cmp_gt_u32_e64 s[0:1], 32, v11
	v_cndmask_b32_e64 v4, 0, 1, s[0:1]
	v_lshlrev_b32_e32 v4, 5, v4
	v_add_lshl_u32 v5, v4, v10, 2
	ds_bpermute_b32 v4, v5, v2
	ds_bpermute_b32 v5, v5, v3
	v_cmp_gt_u32_e64 s[0:1], 48, v11
	v_cndmask_b32_e64 v7, 0, 1, s[0:1]
	v_lshlrev_b32_e32 v7, 4, v7
	v_add_lshl_u32 v7, v7, v10, 2
	s_waitcnt lgkmcnt(0)
	v_pk_add_f32 v[2:3], v[2:3], v[4:5]
	ds_bpermute_b32 v4, v7, v2
	ds_bpermute_b32 v5, v7, v3
	v_cmp_gt_u32_e64 s[0:1], 56, v11
	v_cndmask_b32_e64 v7, 0, 1, s[0:1]
	v_lshlrev_b32_e32 v7, 3, v7
	v_add_lshl_u32 v7, v7, v10, 2
	s_waitcnt lgkmcnt(0)
	v_pk_add_f32 v[2:3], v[2:3], v[4:5]
	;; [unrolled: 8-line block ×4, first 2 shown]
	ds_bpermute_b32 v4, v9, v2
	ds_bpermute_b32 v5, v9, v3
	v_cmp_ne_u32_e64 s[0:1], 63, v11
	s_waitcnt lgkmcnt(0)
	s_barrier
	v_pk_add_f32 v[2:3], v[2:3], v[4:5]
	v_addc_co_u32_e64 v4, s[0:1], 0, v10, s[0:1]
	v_lshlrev_b32_e32 v10, 2, v4
	ds_bpermute_b32 v4, v10, v2
	ds_bpermute_b32 v5, v10, v3
	v_cmp_eq_u32_e64 s[0:1], 0, v6
	s_and_saveexec_b64 s[4:5], s[0:1]
	s_cbranch_execz .LBB120_8
; %bb.7:
	v_lshrrev_b32_e32 v6, 3, v0
	v_and_b32_e32 v6, 0x78, v6
	s_waitcnt lgkmcnt(0)
	v_pk_add_f32 v[2:3], v[2:3], v[4:5]
	ds_write_b64 v6, v[2:3]
.LBB120_8:
	s_or_b64 exec, exec, s[4:5]
	v_cmp_gt_u32_e64 s[0:1], 16, v0
	v_mov_b32_e32 v2, 0
	v_mov_b32_e32 v3, 0
	s_waitcnt lgkmcnt(0)
	s_barrier
	s_and_saveexec_b64 s[4:5], s[0:1]
	s_cbranch_execnz .LBB120_12
; %bb.9:
	s_or_b64 exec, exec, s[4:5]
	s_and_saveexec_b64 s[0:1], vcc
	s_cbranch_execnz .LBB120_13
.LBB120_10:
	s_or_b64 exec, exec, s[0:1]
	v_cmp_eq_u32_e32 vcc, 0, v0
	s_and_saveexec_b64 s[0:1], vcc
	s_cbranch_execnz .LBB120_14
.LBB120_11:
	s_endpgm
.LBB120_12:
	ds_read_b64 v[2:3], v1
	s_or_b64 exec, exec, s[4:5]
	s_and_saveexec_b64 s[0:1], vcc
	s_cbranch_execz .LBB120_10
.LBB120_13:
	s_waitcnt lgkmcnt(0)
	ds_bpermute_b32 v4, v7, v2
	ds_bpermute_b32 v5, v7, v3
	s_waitcnt lgkmcnt(0)
	v_pk_add_f32 v[2:3], v[2:3], v[4:5]
	ds_bpermute_b32 v4, v8, v2
	ds_bpermute_b32 v5, v8, v3
	s_waitcnt lgkmcnt(0)
	v_pk_add_f32 v[2:3], v[2:3], v[4:5]
	;; [unrolled: 4-line block ×4, first 2 shown]
	s_or_b64 exec, exec, s[0:1]
	v_cmp_eq_u32_e32 vcc, 0, v0
	s_and_saveexec_b64 s[0:1], vcc
	s_cbranch_execz .LBB120_11
.LBB120_14:
	s_lshl_b64 s[0:1], s[2:3], 3
	s_add_u32 s0, s6, s0
	s_addc_u32 s1, s7, s1
	v_mov_b32_e32 v0, 0
	s_waitcnt lgkmcnt(0)
	global_store_dwordx2 v0, v[2:3], s[0:1]
	s_endpgm
	.section	.rodata,"a",@progbits
	.p2align	6, 0x0
	.amdhsa_kernel _ZL18rocblas_dot_kernelIlLb1ELi1024ELi32ELb1E19rocblas_complex_numIfEPKS1_S1_EviT5_lT_lS4_lS5_liPT6_PT4_
		.amdhsa_group_segment_fixed_size 512
		.amdhsa_private_segment_fixed_size 0
		.amdhsa_kernarg_size 352
		.amdhsa_user_sgpr_count 6
		.amdhsa_user_sgpr_private_segment_buffer 1
		.amdhsa_user_sgpr_dispatch_ptr 0
		.amdhsa_user_sgpr_queue_ptr 0
		.amdhsa_user_sgpr_kernarg_segment_ptr 1
		.amdhsa_user_sgpr_dispatch_id 0
		.amdhsa_user_sgpr_flat_scratch_init 0
		.amdhsa_user_sgpr_kernarg_preload_length 0
		.amdhsa_user_sgpr_kernarg_preload_offset 0
		.amdhsa_user_sgpr_private_segment_size 0
		.amdhsa_uses_dynamic_stack 0
		.amdhsa_system_sgpr_private_segment_wavefront_offset 0
		.amdhsa_system_sgpr_workgroup_id_x 1
		.amdhsa_system_sgpr_workgroup_id_y 0
		.amdhsa_system_sgpr_workgroup_id_z 1
		.amdhsa_system_sgpr_workgroup_info 0
		.amdhsa_system_vgpr_workitem_id 0
		.amdhsa_next_free_vgpr 18
		.amdhsa_next_free_sgpr 26
		.amdhsa_accum_offset 20
		.amdhsa_reserve_vcc 1
		.amdhsa_reserve_flat_scratch 0
		.amdhsa_float_round_mode_32 0
		.amdhsa_float_round_mode_16_64 0
		.amdhsa_float_denorm_mode_32 3
		.amdhsa_float_denorm_mode_16_64 3
		.amdhsa_dx10_clamp 1
		.amdhsa_ieee_mode 1
		.amdhsa_fp16_overflow 0
		.amdhsa_tg_split 0
		.amdhsa_exception_fp_ieee_invalid_op 0
		.amdhsa_exception_fp_denorm_src 0
		.amdhsa_exception_fp_ieee_div_zero 0
		.amdhsa_exception_fp_ieee_overflow 0
		.amdhsa_exception_fp_ieee_underflow 0
		.amdhsa_exception_fp_ieee_inexact 0
		.amdhsa_exception_int_div_zero 0
	.end_amdhsa_kernel
	.section	.text._ZL18rocblas_dot_kernelIlLb1ELi1024ELi32ELb1E19rocblas_complex_numIfEPKS1_S1_EviT5_lT_lS4_lS5_liPT6_PT4_,"axG",@progbits,_ZL18rocblas_dot_kernelIlLb1ELi1024ELi32ELb1E19rocblas_complex_numIfEPKS1_S1_EviT5_lT_lS4_lS5_liPT6_PT4_,comdat
.Lfunc_end120:
	.size	_ZL18rocblas_dot_kernelIlLb1ELi1024ELi32ELb1E19rocblas_complex_numIfEPKS1_S1_EviT5_lT_lS4_lS5_liPT6_PT4_, .Lfunc_end120-_ZL18rocblas_dot_kernelIlLb1ELi1024ELi32ELb1E19rocblas_complex_numIfEPKS1_S1_EviT5_lT_lS4_lS5_liPT6_PT4_
                                        ; -- End function
	.section	.AMDGPU.csdata,"",@progbits
; Kernel info:
; codeLenInByte = 1172
; NumSgprs: 30
; NumVgprs: 18
; NumAgprs: 0
; TotalNumVgprs: 18
; ScratchSize: 0
; MemoryBound: 0
; FloatMode: 240
; IeeeMode: 1
; LDSByteSize: 512 bytes/workgroup (compile time only)
; SGPRBlocks: 3
; VGPRBlocks: 2
; NumSGPRsForWavesPerEU: 30
; NumVGPRsForWavesPerEU: 18
; AccumOffset: 20
; Occupancy: 8
; WaveLimiterHint : 0
; COMPUTE_PGM_RSRC2:SCRATCH_EN: 0
; COMPUTE_PGM_RSRC2:USER_SGPR: 6
; COMPUTE_PGM_RSRC2:TRAP_HANDLER: 0
; COMPUTE_PGM_RSRC2:TGID_X_EN: 1
; COMPUTE_PGM_RSRC2:TGID_Y_EN: 0
; COMPUTE_PGM_RSRC2:TGID_Z_EN: 1
; COMPUTE_PGM_RSRC2:TIDIG_COMP_CNT: 0
; COMPUTE_PGM_RSRC3_GFX90A:ACCUM_OFFSET: 4
; COMPUTE_PGM_RSRC3_GFX90A:TG_SPLIT: 0
	.section	.text._ZL24rocblas_dot_kernel_magsqIlLb1ELi1024ELi32ELb1E19rocblas_complex_numIfEPKS1_S1_EviT5_lT_liPT6_PT4_,"axG",@progbits,_ZL24rocblas_dot_kernel_magsqIlLb1ELi1024ELi32ELb1E19rocblas_complex_numIfEPKS1_S1_EviT5_lT_liPT6_PT4_,comdat
	.globl	_ZL24rocblas_dot_kernel_magsqIlLb1ELi1024ELi32ELb1E19rocblas_complex_numIfEPKS1_S1_EviT5_lT_liPT6_PT4_ ; -- Begin function _ZL24rocblas_dot_kernel_magsqIlLb1ELi1024ELi32ELb1E19rocblas_complex_numIfEPKS1_S1_EviT5_lT_liPT6_PT4_
	.p2align	8
	.type	_ZL24rocblas_dot_kernel_magsqIlLb1ELi1024ELi32ELb1E19rocblas_complex_numIfEPKS1_S1_EviT5_lT_liPT6_PT4_,@function
_ZL24rocblas_dot_kernel_magsqIlLb1ELi1024ELi32ELb1E19rocblas_complex_numIfEPKS1_S1_EviT5_lT_liPT6_PT4_: ; @_ZL24rocblas_dot_kernel_magsqIlLb1ELi1024ELi32ELb1E19rocblas_complex_numIfEPKS1_S1_EviT5_lT_liPT6_PT4_
; %bb.0:
	s_mov_b32 s2, s7
	s_load_dword s12, s[4:5], 0x0
	s_load_dwordx2 s[6:7], s[4:5], 0x38
	v_mov_b32_e32 v3, 0
	s_mov_b32 s3, 0
	v_mov_b32_e32 v2, v3
	s_waitcnt lgkmcnt(0)
	v_cmp_gt_i32_e32 vcc, s12, v0
	s_and_saveexec_b64 s[8:9], vcc
	s_cbranch_execz .LBB121_4
; %bb.1:
	s_load_dword s13, s[4:5], 0x40
	s_load_dwordx2 s[0:1], s[4:5], 0x20
	s_load_dwordx2 s[10:11], s[4:5], 0x8
	s_load_dwordx4 s[16:19], s[4:5], 0x10
	s_waitcnt lgkmcnt(0)
	s_lshl_b32 s13, s13, 10
	s_mul_i32 s1, s1, s2
	s_mul_hi_u32 s4, s0, s2
	s_add_i32 s1, s4, s1
	v_mad_u64_u32 v[2:3], s[4:5], s18, v0, 0
	v_mov_b32_e32 v4, v3
	s_mul_i32 s0, s0, s2
	v_mad_u64_u32 v[4:5], s[4:5], s19, v0, v[4:5]
	s_lshl_b64 s[0:1], s[0:1], 3
	s_lshl_b64 s[4:5], s[16:17], 3
	s_add_u32 s4, s10, s4
	v_mov_b32_e32 v3, v4
	s_addc_u32 s5, s11, s5
	v_lshlrev_b64 v[2:3], 3, v[2:3]
	s_add_u32 s0, s4, s0
	s_addc_u32 s1, s5, s1
	v_add_co_u32_e32 v4, vcc, s0, v2
	s_ashr_i32 s0, s13, 31
	v_mov_b32_e32 v5, s1
	s_mul_i32 s0, s18, s0
	s_mul_hi_u32 s1, s18, s13
	s_add_i32 s0, s1, s0
	s_mul_i32 s1, s19, s13
	s_add_i32 s1, s0, s1
	s_mul_i32 s0, s18, s13
	s_lshl_b64 s[10:11], s[0:1], 3
	v_mov_b32_e32 v2, 0
	v_or_b32_e32 v1, s13, v0
	v_addc_co_u32_e32 v5, vcc, v5, v3, vcc
	s_mov_b64 s[4:5], 0
	v_mov_b32_e32 v6, s11
	s_mov_b32 s11, s3
	v_mov_b32_e32 v3, v2
.LBB121_2:                              ; =>This Inner Loop Header: Depth=1
	global_load_dwordx2 v[8:9], v[4:5], off
	s_add_i32 s14, s11, 1
	v_add_co_u32_e64 v4, s[0:1], s10, v4
	v_addc_co_u32_e64 v5, s[0:1], v5, v6, s[0:1]
	s_cmp_gt_u32 s11, 30
	v_cmp_le_i32_e32 vcc, s12, v1
	s_cselect_b64 s[0:1], -1, 0
	s_or_b64 s[0:1], s[0:1], vcc
	s_and_b64 s[0:1], exec, s[0:1]
	v_add_u32_e32 v1, s13, v1
	s_mov_b32 s11, s14
	s_or_b64 s[4:5], s[0:1], s[4:5]
	s_waitcnt vmcnt(0)
	v_pk_mul_f32 v[10:11], v[8:9], v[8:9]
	v_pk_mul_f32 v[12:13], v[8:9], v[8:9] op_sel_hi:[0,1]
	v_mov_b32_e32 v10, v11
	v_mov_b32_e32 v11, v13
	v_pk_fma_f32 v[12:13], v[8:9], v[8:9], v[12:13] op_sel_hi:[0,1,1] neg_lo:[0,0,1] neg_hi:[0,0,1]
	v_pk_fma_f32 v[8:9], v[8:9], v[8:9], v[10:11] op_sel_hi:[0,1,1]
	v_mov_b32_e32 v9, v13
	v_pk_add_f32 v[2:3], v[2:3], v[8:9]
	s_andn2_b64 exec, exec, s[4:5]
	s_cbranch_execnz .LBB121_2
; %bb.3:
	s_or_b64 exec, exec, s[4:5]
.LBB121_4:
	s_or_b64 exec, exec, s[8:9]
	v_and_b32_e32 v6, 63, v0
	v_cmp_gt_u32_e32 vcc, 64, v0
	v_lshlrev_b32_e32 v1, 3, v6
	s_and_saveexec_b64 s[0:1], vcc
	s_cbranch_execz .LBB121_6
; %bb.5:
	v_mov_b32_e32 v4, 0
	v_mov_b32_e32 v5, v4
	ds_write_b64 v1, v[4:5]
.LBB121_6:
	s_or_b64 exec, exec, s[0:1]
	v_mbcnt_lo_u32_b32 v4, -1, 0
	v_mbcnt_hi_u32_b32 v10, -1, v4
	v_and_b32_e32 v11, 63, v10
	v_cmp_gt_u32_e64 s[0:1], 32, v11
	v_cndmask_b32_e64 v4, 0, 1, s[0:1]
	v_lshlrev_b32_e32 v4, 5, v4
	v_add_lshl_u32 v5, v4, v10, 2
	ds_bpermute_b32 v4, v5, v2
	ds_bpermute_b32 v5, v5, v3
	v_cmp_gt_u32_e64 s[0:1], 48, v11
	v_cndmask_b32_e64 v7, 0, 1, s[0:1]
	v_lshlrev_b32_e32 v7, 4, v7
	v_add_lshl_u32 v7, v7, v10, 2
	s_waitcnt lgkmcnt(0)
	v_pk_add_f32 v[2:3], v[2:3], v[4:5]
	ds_bpermute_b32 v4, v7, v2
	ds_bpermute_b32 v5, v7, v3
	v_cmp_gt_u32_e64 s[0:1], 56, v11
	v_cndmask_b32_e64 v7, 0, 1, s[0:1]
	v_lshlrev_b32_e32 v7, 3, v7
	v_add_lshl_u32 v7, v7, v10, 2
	s_waitcnt lgkmcnt(0)
	v_pk_add_f32 v[2:3], v[2:3], v[4:5]
	ds_bpermute_b32 v4, v7, v2
	ds_bpermute_b32 v5, v7, v3
	v_cmp_gt_u32_e64 s[0:1], 60, v11
	v_cndmask_b32_e64 v8, 0, 1, s[0:1]
	v_lshlrev_b32_e32 v8, 2, v8
	v_add_lshl_u32 v8, v8, v10, 2
	s_waitcnt lgkmcnt(0)
	v_pk_add_f32 v[2:3], v[2:3], v[4:5]
	ds_bpermute_b32 v4, v8, v2
	ds_bpermute_b32 v5, v8, v3
	v_cmp_gt_u32_e64 s[0:1], 62, v11
	v_cndmask_b32_e64 v9, 0, 1, s[0:1]
	v_lshlrev_b32_e32 v9, 1, v9
	v_add_lshl_u32 v9, v9, v10, 2
	s_waitcnt lgkmcnt(0)
	v_pk_add_f32 v[2:3], v[2:3], v[4:5]
	ds_bpermute_b32 v4, v9, v2
	ds_bpermute_b32 v5, v9, v3
	v_cmp_ne_u32_e64 s[0:1], 63, v11
	s_waitcnt lgkmcnt(0)
	s_barrier
	v_pk_add_f32 v[2:3], v[2:3], v[4:5]
	v_addc_co_u32_e64 v4, s[0:1], 0, v10, s[0:1]
	v_lshlrev_b32_e32 v10, 2, v4
	ds_bpermute_b32 v4, v10, v2
	ds_bpermute_b32 v5, v10, v3
	v_cmp_eq_u32_e64 s[0:1], 0, v6
	s_and_saveexec_b64 s[4:5], s[0:1]
	s_cbranch_execz .LBB121_8
; %bb.7:
	v_lshrrev_b32_e32 v6, 3, v0
	v_and_b32_e32 v6, 0x78, v6
	s_waitcnt lgkmcnt(0)
	v_pk_add_f32 v[2:3], v[2:3], v[4:5]
	ds_write_b64 v6, v[2:3]
.LBB121_8:
	s_or_b64 exec, exec, s[4:5]
	v_cmp_gt_u32_e64 s[0:1], 16, v0
	v_mov_b32_e32 v2, 0
	v_mov_b32_e32 v3, 0
	s_waitcnt lgkmcnt(0)
	s_barrier
	s_and_saveexec_b64 s[4:5], s[0:1]
	s_cbranch_execnz .LBB121_12
; %bb.9:
	s_or_b64 exec, exec, s[4:5]
	s_and_saveexec_b64 s[0:1], vcc
	s_cbranch_execnz .LBB121_13
.LBB121_10:
	s_or_b64 exec, exec, s[0:1]
	v_cmp_eq_u32_e32 vcc, 0, v0
	s_and_saveexec_b64 s[0:1], vcc
	s_cbranch_execnz .LBB121_14
.LBB121_11:
	s_endpgm
.LBB121_12:
	ds_read_b64 v[2:3], v1
	s_or_b64 exec, exec, s[4:5]
	s_and_saveexec_b64 s[0:1], vcc
	s_cbranch_execz .LBB121_10
.LBB121_13:
	s_waitcnt lgkmcnt(0)
	ds_bpermute_b32 v4, v7, v2
	ds_bpermute_b32 v5, v7, v3
	s_waitcnt lgkmcnt(0)
	v_pk_add_f32 v[2:3], v[2:3], v[4:5]
	ds_bpermute_b32 v4, v8, v2
	ds_bpermute_b32 v5, v8, v3
	s_waitcnt lgkmcnt(0)
	v_pk_add_f32 v[2:3], v[2:3], v[4:5]
	;; [unrolled: 4-line block ×4, first 2 shown]
	s_or_b64 exec, exec, s[0:1]
	v_cmp_eq_u32_e32 vcc, 0, v0
	s_and_saveexec_b64 s[0:1], vcc
	s_cbranch_execz .LBB121_11
.LBB121_14:
	s_lshl_b64 s[0:1], s[2:3], 3
	s_add_u32 s0, s6, s0
	s_addc_u32 s1, s7, s1
	v_mov_b32_e32 v0, 0
	s_waitcnt lgkmcnt(0)
	global_store_dwordx2 v0, v[2:3], s[0:1]
	s_endpgm
	.section	.rodata,"a",@progbits
	.p2align	6, 0x0
	.amdhsa_kernel _ZL24rocblas_dot_kernel_magsqIlLb1ELi1024ELi32ELb1E19rocblas_complex_numIfEPKS1_S1_EviT5_lT_liPT6_PT4_
		.amdhsa_group_segment_fixed_size 512
		.amdhsa_private_segment_fixed_size 0
		.amdhsa_kernarg_size 320
		.amdhsa_user_sgpr_count 6
		.amdhsa_user_sgpr_private_segment_buffer 1
		.amdhsa_user_sgpr_dispatch_ptr 0
		.amdhsa_user_sgpr_queue_ptr 0
		.amdhsa_user_sgpr_kernarg_segment_ptr 1
		.amdhsa_user_sgpr_dispatch_id 0
		.amdhsa_user_sgpr_flat_scratch_init 0
		.amdhsa_user_sgpr_kernarg_preload_length 0
		.amdhsa_user_sgpr_kernarg_preload_offset 0
		.amdhsa_user_sgpr_private_segment_size 0
		.amdhsa_uses_dynamic_stack 0
		.amdhsa_system_sgpr_private_segment_wavefront_offset 0
		.amdhsa_system_sgpr_workgroup_id_x 1
		.amdhsa_system_sgpr_workgroup_id_y 0
		.amdhsa_system_sgpr_workgroup_id_z 1
		.amdhsa_system_sgpr_workgroup_info 0
		.amdhsa_system_vgpr_workitem_id 0
		.amdhsa_next_free_vgpr 14
		.amdhsa_next_free_sgpr 20
		.amdhsa_accum_offset 16
		.amdhsa_reserve_vcc 1
		.amdhsa_reserve_flat_scratch 0
		.amdhsa_float_round_mode_32 0
		.amdhsa_float_round_mode_16_64 0
		.amdhsa_float_denorm_mode_32 3
		.amdhsa_float_denorm_mode_16_64 3
		.amdhsa_dx10_clamp 1
		.amdhsa_ieee_mode 1
		.amdhsa_fp16_overflow 0
		.amdhsa_tg_split 0
		.amdhsa_exception_fp_ieee_invalid_op 0
		.amdhsa_exception_fp_denorm_src 0
		.amdhsa_exception_fp_ieee_div_zero 0
		.amdhsa_exception_fp_ieee_overflow 0
		.amdhsa_exception_fp_ieee_underflow 0
		.amdhsa_exception_fp_ieee_inexact 0
		.amdhsa_exception_int_div_zero 0
	.end_amdhsa_kernel
	.section	.text._ZL24rocblas_dot_kernel_magsqIlLb1ELi1024ELi32ELb1E19rocblas_complex_numIfEPKS1_S1_EviT5_lT_liPT6_PT4_,"axG",@progbits,_ZL24rocblas_dot_kernel_magsqIlLb1ELi1024ELi32ELb1E19rocblas_complex_numIfEPKS1_S1_EviT5_lT_liPT6_PT4_,comdat
.Lfunc_end121:
	.size	_ZL24rocblas_dot_kernel_magsqIlLb1ELi1024ELi32ELb1E19rocblas_complex_numIfEPKS1_S1_EviT5_lT_liPT6_PT4_, .Lfunc_end121-_ZL24rocblas_dot_kernel_magsqIlLb1ELi1024ELi32ELb1E19rocblas_complex_numIfEPKS1_S1_EviT5_lT_liPT6_PT4_
                                        ; -- End function
	.section	.AMDGPU.csdata,"",@progbits
; Kernel info:
; codeLenInByte = 1040
; NumSgprs: 24
; NumVgprs: 14
; NumAgprs: 0
; TotalNumVgprs: 14
; ScratchSize: 0
; MemoryBound: 0
; FloatMode: 240
; IeeeMode: 1
; LDSByteSize: 512 bytes/workgroup (compile time only)
; SGPRBlocks: 2
; VGPRBlocks: 1
; NumSGPRsForWavesPerEU: 24
; NumVGPRsForWavesPerEU: 14
; AccumOffset: 16
; Occupancy: 8
; WaveLimiterHint : 0
; COMPUTE_PGM_RSRC2:SCRATCH_EN: 0
; COMPUTE_PGM_RSRC2:USER_SGPR: 6
; COMPUTE_PGM_RSRC2:TRAP_HANDLER: 0
; COMPUTE_PGM_RSRC2:TGID_X_EN: 1
; COMPUTE_PGM_RSRC2:TGID_Y_EN: 0
; COMPUTE_PGM_RSRC2:TGID_Z_EN: 1
; COMPUTE_PGM_RSRC2:TIDIG_COMP_CNT: 0
; COMPUTE_PGM_RSRC3_GFX90A:ACCUM_OFFSET: 3
; COMPUTE_PGM_RSRC3_GFX90A:TG_SPLIT: 0
	.section	.text._ZL18rocblas_dot_kernelIlLb0ELi512ELi2ELb1E19rocblas_complex_numIfEPKS1_S1_EviT5_lT_lS4_lS5_liPT6_PT4_,"axG",@progbits,_ZL18rocblas_dot_kernelIlLb0ELi512ELi2ELb1E19rocblas_complex_numIfEPKS1_S1_EviT5_lT_lS4_lS5_liPT6_PT4_,comdat
	.globl	_ZL18rocblas_dot_kernelIlLb0ELi512ELi2ELb1E19rocblas_complex_numIfEPKS1_S1_EviT5_lT_lS4_lS5_liPT6_PT4_ ; -- Begin function _ZL18rocblas_dot_kernelIlLb0ELi512ELi2ELb1E19rocblas_complex_numIfEPKS1_S1_EviT5_lT_lS4_lS5_liPT6_PT4_
	.p2align	8
	.type	_ZL18rocblas_dot_kernelIlLb0ELi512ELi2ELb1E19rocblas_complex_numIfEPKS1_S1_EviT5_lT_lS4_lS5_liPT6_PT4_,@function
_ZL18rocblas_dot_kernelIlLb0ELi512ELi2ELb1E19rocblas_complex_numIfEPKS1_S1_EviT5_lT_lS4_lS5_liPT6_PT4_: ; @_ZL18rocblas_dot_kernelIlLb0ELi512ELi2ELb1E19rocblas_complex_numIfEPKS1_S1_EviT5_lT_lS4_lS5_liPT6_PT4_
; %bb.0:
	s_mov_b32 s16, s7
	s_load_dword s7, s[4:5], 0x0
	s_load_dword s20, s[4:5], 0x60
	v_lshl_or_b32 v1, s6, 9, v0
	v_mov_b32_e32 v2, 0
	s_mov_b32 s17, 0
	s_waitcnt lgkmcnt(0)
	v_cmp_gt_i32_e32 vcc, s7, v1
	v_mov_b32_e32 v3, v2
	s_and_saveexec_b64 s[18:19], vcc
	s_cbranch_execz .LBB122_4
; %bb.1:
	s_load_dwordx8 s[8:15], s[4:5], 0x20
	s_load_dwordx2 s[22:23], s[4:5], 0x8
	s_load_dwordx4 s[0:3], s[4:5], 0x10
	s_load_dwordx2 s[24:25], s[4:5], 0x40
	v_ashrrev_i32_e32 v4, 31, v1
	s_waitcnt lgkmcnt(0)
	s_mul_i32 s9, s16, s9
	s_mul_hi_u32 s21, s16, s8
	s_add_i32 s9, s21, s9
	s_mul_i32 s8, s16, s8
	s_lshl_b64 s[8:9], s[8:9], 3
	s_add_u32 s8, s22, s8
	s_addc_u32 s21, s23, s9
	s_lshl_b64 s[0:1], s[0:1], 3
	s_add_u32 s9, s8, s0
	s_addc_u32 s21, s21, s1
	s_mul_i32 s0, s16, s25
	s_mul_hi_u32 s1, s16, s24
	s_add_i32 s1, s1, s0
	s_mul_i32 s0, s16, s24
	s_lshl_b64 s[0:1], s[0:1], 3
	s_add_u32 s8, s10, s0
	s_addc_u32 s10, s11, s1
	s_lshl_b64 s[0:1], s[12:13], 3
	s_add_u32 s8, s8, s0
	s_addc_u32 s10, s10, s1
	v_mul_lo_u32 v5, v1, s15
	v_mul_lo_u32 v6, v4, s14
	v_mad_u64_u32 v[2:3], s[0:1], v1, s14, 0
	v_add3_u32 v3, v3, v5, v6
	v_lshlrev_b64 v[2:3], 3, v[2:3]
	v_mov_b32_e32 v5, s10
	v_add_co_u32_e32 v2, vcc, s8, v2
	v_addc_co_u32_e32 v3, vcc, v5, v3, vcc
	v_mul_lo_u32 v6, v1, s3
	v_mul_lo_u32 v7, v4, s2
	v_mad_u64_u32 v[4:5], s[0:1], v1, s2, 0
	v_add3_u32 v5, v5, v6, v7
	v_lshlrev_b64 v[4:5], 3, v[4:5]
	v_mov_b32_e32 v1, s21
	v_add_co_u32_e32 v4, vcc, s9, v4
	v_addc_co_u32_e32 v5, vcc, v1, v5, vcc
	global_load_dwordx2 v[6:7], v[4:5], off
	global_load_dwordx2 v[8:9], v[2:3], off
	s_add_i32 s0, s6, s20
	v_lshl_or_b32 v1, s0, 9, v0
	v_cmp_gt_i32_e32 vcc, s7, v1
	s_waitcnt vmcnt(0)
	v_pk_mul_f32 v[2:3], v[6:7], v[8:9] op_sel:[0,1]
	v_pk_fma_f32 v[4:5], v[6:7], v[8:9], v[2:3] op_sel:[0,0,1] op_sel_hi:[1,1,0]
	v_pk_fma_f32 v[2:3], v[6:7], v[8:9], v[2:3] op_sel:[0,0,1] op_sel_hi:[1,0,0] neg_lo:[1,0,0] neg_hi:[1,0,0]
	v_mov_b32_e32 v5, v3
	v_pk_add_f32 v[2:3], v[4:5], 0 op_sel_hi:[1,0]
	s_and_saveexec_b64 s[0:1], vcc
	s_cbranch_execz .LBB122_3
; %bb.2:
	v_ashrrev_i32_e32 v6, 31, v1
	v_mul_lo_u32 v7, v1, s3
	v_mul_lo_u32 v8, v6, s2
	v_mad_u64_u32 v[4:5], s[2:3], v1, s2, 0
	v_add3_u32 v5, v5, v7, v8
	v_lshlrev_b64 v[4:5], 3, v[4:5]
	v_mov_b32_e32 v7, s21
	v_add_co_u32_e32 v4, vcc, s9, v4
	v_addc_co_u32_e32 v5, vcc, v7, v5, vcc
	v_mul_lo_u32 v8, v1, s15
	v_mul_lo_u32 v9, v6, s14
	v_mad_u64_u32 v[6:7], s[2:3], v1, s14, 0
	v_add3_u32 v7, v7, v8, v9
	v_lshlrev_b64 v[6:7], 3, v[6:7]
	v_mov_b32_e32 v1, s10
	v_add_co_u32_e32 v6, vcc, s8, v6
	v_addc_co_u32_e32 v7, vcc, v1, v7, vcc
	global_load_dwordx2 v[4:5], v[4:5], off
	s_nop 0
	global_load_dwordx2 v[6:7], v[6:7], off
	s_waitcnt vmcnt(0)
	v_pk_mul_f32 v[8:9], v[4:5], v[6:7] op_sel:[0,1]
	v_pk_fma_f32 v[10:11], v[4:5], v[6:7], v[8:9] op_sel:[0,0,1] op_sel_hi:[1,1,0]
	v_pk_fma_f32 v[4:5], v[4:5], v[6:7], v[8:9] op_sel:[0,0,1] op_sel_hi:[1,0,0] neg_lo:[1,0,0] neg_hi:[1,0,0]
	v_mov_b32_e32 v11, v5
	v_pk_add_f32 v[2:3], v[2:3], v[10:11]
.LBB122_3:
	s_or_b64 exec, exec, s[0:1]
.LBB122_4:
	s_or_b64 exec, exec, s[18:19]
	v_and_b32_e32 v6, 63, v0
	v_cmp_gt_u32_e32 vcc, 64, v0
	v_lshlrev_b32_e32 v1, 3, v6
	s_and_saveexec_b64 s[0:1], vcc
	s_cbranch_execz .LBB122_6
; %bb.5:
	v_mov_b32_e32 v4, 0
	v_mov_b32_e32 v5, v4
	ds_write_b64 v1, v[4:5]
.LBB122_6:
	s_or_b64 exec, exec, s[0:1]
	v_mbcnt_lo_u32_b32 v4, -1, 0
	v_mbcnt_hi_u32_b32 v9, -1, v4
	v_and_b32_e32 v10, 63, v9
	v_cmp_gt_u32_e64 s[0:1], 32, v10
	v_cndmask_b32_e64 v4, 0, 1, s[0:1]
	v_lshlrev_b32_e32 v4, 5, v4
	v_add_lshl_u32 v5, v4, v9, 2
	ds_bpermute_b32 v4, v5, v2
	ds_bpermute_b32 v5, v5, v3
	v_cmp_gt_u32_e64 s[0:1], 48, v10
	v_cndmask_b32_e64 v7, 0, 1, s[0:1]
	v_lshlrev_b32_e32 v7, 4, v7
	v_add_lshl_u32 v7, v7, v9, 2
	s_waitcnt lgkmcnt(0)
	v_pk_add_f32 v[2:3], v[2:3], v[4:5]
	ds_bpermute_b32 v4, v7, v2
	ds_bpermute_b32 v5, v7, v3
	v_cmp_gt_u32_e64 s[0:1], 56, v10
	v_cndmask_b32_e64 v7, 0, 1, s[0:1]
	v_lshlrev_b32_e32 v7, 3, v7
	v_add_lshl_u32 v7, v7, v9, 2
	s_waitcnt lgkmcnt(0)
	v_pk_add_f32 v[2:3], v[2:3], v[4:5]
	;; [unrolled: 8-line block ×4, first 2 shown]
	ds_bpermute_b32 v4, v8, v2
	ds_bpermute_b32 v5, v8, v3
	v_cmp_ne_u32_e64 s[0:1], 63, v10
	s_waitcnt lgkmcnt(0)
	s_barrier
	v_pk_add_f32 v[2:3], v[2:3], v[4:5]
	v_addc_co_u32_e64 v4, s[0:1], 0, v9, s[0:1]
	v_lshlrev_b32_e32 v9, 2, v4
	ds_bpermute_b32 v4, v9, v2
	ds_bpermute_b32 v5, v9, v3
	v_cmp_eq_u32_e64 s[0:1], 0, v6
	s_and_saveexec_b64 s[2:3], s[0:1]
	s_cbranch_execz .LBB122_8
; %bb.7:
	v_lshrrev_b32_e32 v6, 3, v0
	v_and_b32_e32 v6, 56, v6
	s_waitcnt lgkmcnt(0)
	v_pk_add_f32 v[2:3], v[2:3], v[4:5]
	ds_write_b64 v6, v[2:3]
.LBB122_8:
	s_or_b64 exec, exec, s[2:3]
	v_cmp_gt_u32_e64 s[0:1], 8, v0
	v_mov_b32_e32 v2, 0
	v_mov_b32_e32 v3, 0
	s_waitcnt lgkmcnt(0)
	s_barrier
	s_and_saveexec_b64 s[2:3], s[0:1]
	s_cbranch_execnz .LBB122_12
; %bb.9:
	s_or_b64 exec, exec, s[2:3]
	s_and_saveexec_b64 s[0:1], vcc
	s_cbranch_execnz .LBB122_13
.LBB122_10:
	s_or_b64 exec, exec, s[0:1]
	v_cmp_eq_u32_e32 vcc, 0, v0
	s_and_saveexec_b64 s[0:1], vcc
	s_cbranch_execnz .LBB122_14
.LBB122_11:
	s_endpgm
.LBB122_12:
	ds_read_b64 v[2:3], v1
	s_or_b64 exec, exec, s[2:3]
	s_and_saveexec_b64 s[0:1], vcc
	s_cbranch_execz .LBB122_10
.LBB122_13:
	s_waitcnt lgkmcnt(0)
	ds_bpermute_b32 v4, v7, v2
	ds_bpermute_b32 v5, v7, v3
	s_waitcnt lgkmcnt(0)
	v_pk_add_f32 v[2:3], v[2:3], v[4:5]
	ds_bpermute_b32 v4, v8, v2
	ds_bpermute_b32 v5, v8, v3
	s_waitcnt lgkmcnt(0)
	v_pk_add_f32 v[2:3], v[2:3], v[4:5]
	;; [unrolled: 4-line block ×3, first 2 shown]
	s_or_b64 exec, exec, s[0:1]
	v_cmp_eq_u32_e32 vcc, 0, v0
	s_and_saveexec_b64 s[0:1], vcc
	s_cbranch_execz .LBB122_11
.LBB122_14:
	s_cmp_lg_u32 s20, 1
	s_cbranch_scc0 .LBB122_16
; %bb.15:
	s_load_dwordx2 s[0:1], s[4:5], 0x50
	s_mul_hi_u32 s3, s20, s16
	s_mul_i32 s2, s20, s16
	s_lshl_b64 s[2:3], s[2:3], 3
	s_mov_b32 s7, 0
	s_waitcnt lgkmcnt(0)
	s_add_u32 s2, s0, s2
	s_addc_u32 s3, s1, s3
	s_lshl_b64 s[0:1], s[6:7], 3
	s_add_u32 s0, s2, s0
	s_addc_u32 s1, s3, s1
	s_cbranch_execz .LBB122_17
	s_branch .LBB122_18
.LBB122_16:
                                        ; implicit-def: $sgpr0_sgpr1
.LBB122_17:
	s_load_dwordx2 s[0:1], s[4:5], 0x58
	s_lshl_b64 s[2:3], s[16:17], 3
	s_waitcnt lgkmcnt(0)
	s_add_u32 s0, s0, s2
	s_addc_u32 s1, s1, s3
.LBB122_18:
	v_mov_b32_e32 v0, 0
	s_waitcnt lgkmcnt(0)
	global_store_dwordx2 v0, v[2:3], s[0:1]
	s_endpgm
	.section	.rodata,"a",@progbits
	.p2align	6, 0x0
	.amdhsa_kernel _ZL18rocblas_dot_kernelIlLb0ELi512ELi2ELb1E19rocblas_complex_numIfEPKS1_S1_EviT5_lT_lS4_lS5_liPT6_PT4_
		.amdhsa_group_segment_fixed_size 512
		.amdhsa_private_segment_fixed_size 0
		.amdhsa_kernarg_size 352
		.amdhsa_user_sgpr_count 6
		.amdhsa_user_sgpr_private_segment_buffer 1
		.amdhsa_user_sgpr_dispatch_ptr 0
		.amdhsa_user_sgpr_queue_ptr 0
		.amdhsa_user_sgpr_kernarg_segment_ptr 1
		.amdhsa_user_sgpr_dispatch_id 0
		.amdhsa_user_sgpr_flat_scratch_init 0
		.amdhsa_user_sgpr_kernarg_preload_length 0
		.amdhsa_user_sgpr_kernarg_preload_offset 0
		.amdhsa_user_sgpr_private_segment_size 0
		.amdhsa_uses_dynamic_stack 0
		.amdhsa_system_sgpr_private_segment_wavefront_offset 0
		.amdhsa_system_sgpr_workgroup_id_x 1
		.amdhsa_system_sgpr_workgroup_id_y 0
		.amdhsa_system_sgpr_workgroup_id_z 1
		.amdhsa_system_sgpr_workgroup_info 0
		.amdhsa_system_vgpr_workitem_id 0
		.amdhsa_next_free_vgpr 12
		.amdhsa_next_free_sgpr 26
		.amdhsa_accum_offset 12
		.amdhsa_reserve_vcc 1
		.amdhsa_reserve_flat_scratch 0
		.amdhsa_float_round_mode_32 0
		.amdhsa_float_round_mode_16_64 0
		.amdhsa_float_denorm_mode_32 3
		.amdhsa_float_denorm_mode_16_64 3
		.amdhsa_dx10_clamp 1
		.amdhsa_ieee_mode 1
		.amdhsa_fp16_overflow 0
		.amdhsa_tg_split 0
		.amdhsa_exception_fp_ieee_invalid_op 0
		.amdhsa_exception_fp_denorm_src 0
		.amdhsa_exception_fp_ieee_div_zero 0
		.amdhsa_exception_fp_ieee_overflow 0
		.amdhsa_exception_fp_ieee_underflow 0
		.amdhsa_exception_fp_ieee_inexact 0
		.amdhsa_exception_int_div_zero 0
	.end_amdhsa_kernel
	.section	.text._ZL18rocblas_dot_kernelIlLb0ELi512ELi2ELb1E19rocblas_complex_numIfEPKS1_S1_EviT5_lT_lS4_lS5_liPT6_PT4_,"axG",@progbits,_ZL18rocblas_dot_kernelIlLb0ELi512ELi2ELb1E19rocblas_complex_numIfEPKS1_S1_EviT5_lT_lS4_lS5_liPT6_PT4_,comdat
.Lfunc_end122:
	.size	_ZL18rocblas_dot_kernelIlLb0ELi512ELi2ELb1E19rocblas_complex_numIfEPKS1_S1_EviT5_lT_lS4_lS5_liPT6_PT4_, .Lfunc_end122-_ZL18rocblas_dot_kernelIlLb0ELi512ELi2ELb1E19rocblas_complex_numIfEPKS1_S1_EviT5_lT_lS4_lS5_liPT6_PT4_
                                        ; -- End function
	.section	.AMDGPU.csdata,"",@progbits
; Kernel info:
; codeLenInByte = 1260
; NumSgprs: 30
; NumVgprs: 12
; NumAgprs: 0
; TotalNumVgprs: 12
; ScratchSize: 0
; MemoryBound: 0
; FloatMode: 240
; IeeeMode: 1
; LDSByteSize: 512 bytes/workgroup (compile time only)
; SGPRBlocks: 3
; VGPRBlocks: 1
; NumSGPRsForWavesPerEU: 30
; NumVGPRsForWavesPerEU: 12
; AccumOffset: 12
; Occupancy: 8
; WaveLimiterHint : 0
; COMPUTE_PGM_RSRC2:SCRATCH_EN: 0
; COMPUTE_PGM_RSRC2:USER_SGPR: 6
; COMPUTE_PGM_RSRC2:TRAP_HANDLER: 0
; COMPUTE_PGM_RSRC2:TGID_X_EN: 1
; COMPUTE_PGM_RSRC2:TGID_Y_EN: 0
; COMPUTE_PGM_RSRC2:TGID_Z_EN: 1
; COMPUTE_PGM_RSRC2:TIDIG_COMP_CNT: 0
; COMPUTE_PGM_RSRC3_GFX90A:ACCUM_OFFSET: 2
; COMPUTE_PGM_RSRC3_GFX90A:TG_SPLIT: 0
	.section	.text._ZL24rocblas_dot_kernel_magsqIlLb0ELi512ELi2ELb1E19rocblas_complex_numIfEPKS1_S1_EviT5_lT_liPT6_PT4_,"axG",@progbits,_ZL24rocblas_dot_kernel_magsqIlLb0ELi512ELi2ELb1E19rocblas_complex_numIfEPKS1_S1_EviT5_lT_liPT6_PT4_,comdat
	.globl	_ZL24rocblas_dot_kernel_magsqIlLb0ELi512ELi2ELb1E19rocblas_complex_numIfEPKS1_S1_EviT5_lT_liPT6_PT4_ ; -- Begin function _ZL24rocblas_dot_kernel_magsqIlLb0ELi512ELi2ELb1E19rocblas_complex_numIfEPKS1_S1_EviT5_lT_liPT6_PT4_
	.p2align	8
	.type	_ZL24rocblas_dot_kernel_magsqIlLb0ELi512ELi2ELb1E19rocblas_complex_numIfEPKS1_S1_EviT5_lT_liPT6_PT4_,@function
_ZL24rocblas_dot_kernel_magsqIlLb0ELi512ELi2ELb1E19rocblas_complex_numIfEPKS1_S1_EviT5_lT_liPT6_PT4_: ; @_ZL24rocblas_dot_kernel_magsqIlLb0ELi512ELi2ELb1E19rocblas_complex_numIfEPKS1_S1_EviT5_lT_liPT6_PT4_
; %bb.0:
	s_mov_b32 s8, s7
	s_load_dword s7, s[4:5], 0x0
	s_load_dword s12, s[4:5], 0x40
	v_lshl_or_b32 v1, s6, 9, v0
	v_mov_b32_e32 v2, 0
	s_mov_b32 s9, 0
	s_waitcnt lgkmcnt(0)
	v_cmp_gt_i32_e32 vcc, s7, v1
	v_mov_b32_e32 v3, v2
	s_and_saveexec_b64 s[10:11], vcc
	s_cbranch_execz .LBB123_4
; %bb.1:
	s_load_dwordx2 s[14:15], s[4:5], 0x20
	s_load_dwordx2 s[16:17], s[4:5], 0x8
	s_load_dwordx4 s[0:3], s[4:5], 0x10
	v_ashrrev_i32_e32 v2, 31, v1
	s_waitcnt lgkmcnt(0)
	s_mul_i32 s13, s8, s15
	s_mul_hi_u32 s15, s8, s14
	s_mul_i32 s14, s8, s14
	s_add_i32 s15, s15, s13
	s_lshl_b64 s[14:15], s[14:15], 3
	s_add_u32 s13, s16, s14
	s_addc_u32 s14, s17, s15
	s_lshl_b64 s[0:1], s[0:1], 3
	s_add_u32 s13, s13, s0
	s_addc_u32 s14, s14, s1
	v_mul_lo_u32 v4, v1, s3
	v_mul_lo_u32 v5, v2, s2
	v_mad_u64_u32 v[2:3], s[0:1], v1, s2, 0
	v_add3_u32 v3, v3, v4, v5
	v_lshlrev_b64 v[2:3], 3, v[2:3]
	v_mov_b32_e32 v1, s14
	v_add_co_u32_e32 v2, vcc, s13, v2
	v_addc_co_u32_e32 v3, vcc, v1, v3, vcc
	global_load_dwordx2 v[2:3], v[2:3], off
	s_add_i32 s0, s6, s12
	v_lshl_or_b32 v1, s0, 9, v0
	v_cmp_gt_i32_e32 vcc, s7, v1
	s_waitcnt vmcnt(0)
	v_pk_mul_f32 v[4:5], v[2:3], v[2:3]
	v_pk_mul_f32 v[6:7], v[2:3], v[2:3] op_sel_hi:[0,1]
	v_mov_b32_e32 v4, v5
	v_mov_b32_e32 v5, v7
	v_pk_fma_f32 v[6:7], v[2:3], v[2:3], v[6:7] op_sel_hi:[0,1,1] neg_lo:[0,0,1] neg_hi:[0,0,1]
	v_pk_fma_f32 v[2:3], v[2:3], v[2:3], v[4:5] op_sel_hi:[0,1,1]
	v_mov_b32_e32 v3, v7
	v_pk_add_f32 v[2:3], v[2:3], 0 op_sel_hi:[1,0]
	s_and_saveexec_b64 s[0:1], vcc
	s_cbranch_execz .LBB123_3
; %bb.2:
	v_ashrrev_i32_e32 v4, 31, v1
	v_mul_lo_u32 v6, v1, s3
	v_mul_lo_u32 v7, v4, s2
	v_mad_u64_u32 v[4:5], s[2:3], v1, s2, 0
	v_add3_u32 v5, v5, v6, v7
	v_lshlrev_b64 v[4:5], 3, v[4:5]
	v_mov_b32_e32 v1, s14
	v_add_co_u32_e32 v4, vcc, s13, v4
	v_addc_co_u32_e32 v5, vcc, v1, v5, vcc
	global_load_dwordx2 v[4:5], v[4:5], off
	s_waitcnt vmcnt(0)
	v_pk_mul_f32 v[6:7], v[4:5], v[4:5] op_sel_hi:[0,1]
	v_pk_mul_f32 v[8:9], v[4:5], v[4:5]
	v_mov_b32_e32 v8, v9
	v_mov_b32_e32 v9, v7
	v_pk_fma_f32 v[8:9], v[4:5], v[4:5], v[8:9] op_sel_hi:[0,1,1]
	v_pk_fma_f32 v[4:5], v[4:5], v[4:5], v[6:7] op_sel_hi:[0,1,1] neg_lo:[0,0,1] neg_hi:[0,0,1]
	v_mov_b32_e32 v9, v5
	v_pk_add_f32 v[2:3], v[2:3], v[8:9]
.LBB123_3:
	s_or_b64 exec, exec, s[0:1]
.LBB123_4:
	s_or_b64 exec, exec, s[10:11]
	v_and_b32_e32 v6, 63, v0
	v_cmp_gt_u32_e32 vcc, 64, v0
	v_lshlrev_b32_e32 v1, 3, v6
	s_and_saveexec_b64 s[0:1], vcc
	s_cbranch_execz .LBB123_6
; %bb.5:
	v_mov_b32_e32 v4, 0
	v_mov_b32_e32 v5, v4
	ds_write_b64 v1, v[4:5]
.LBB123_6:
	s_or_b64 exec, exec, s[0:1]
	v_mbcnt_lo_u32_b32 v4, -1, 0
	v_mbcnt_hi_u32_b32 v9, -1, v4
	v_and_b32_e32 v10, 63, v9
	v_cmp_gt_u32_e64 s[0:1], 32, v10
	v_cndmask_b32_e64 v4, 0, 1, s[0:1]
	v_lshlrev_b32_e32 v4, 5, v4
	v_add_lshl_u32 v5, v4, v9, 2
	ds_bpermute_b32 v4, v5, v2
	ds_bpermute_b32 v5, v5, v3
	v_cmp_gt_u32_e64 s[0:1], 48, v10
	v_cndmask_b32_e64 v7, 0, 1, s[0:1]
	v_lshlrev_b32_e32 v7, 4, v7
	v_add_lshl_u32 v7, v7, v9, 2
	s_waitcnt lgkmcnt(0)
	v_pk_add_f32 v[2:3], v[2:3], v[4:5]
	ds_bpermute_b32 v4, v7, v2
	ds_bpermute_b32 v5, v7, v3
	v_cmp_gt_u32_e64 s[0:1], 56, v10
	v_cndmask_b32_e64 v7, 0, 1, s[0:1]
	v_lshlrev_b32_e32 v7, 3, v7
	v_add_lshl_u32 v7, v7, v9, 2
	s_waitcnt lgkmcnt(0)
	v_pk_add_f32 v[2:3], v[2:3], v[4:5]
	;; [unrolled: 8-line block ×4, first 2 shown]
	ds_bpermute_b32 v4, v8, v2
	ds_bpermute_b32 v5, v8, v3
	v_cmp_ne_u32_e64 s[0:1], 63, v10
	s_waitcnt lgkmcnt(0)
	s_barrier
	v_pk_add_f32 v[2:3], v[2:3], v[4:5]
	v_addc_co_u32_e64 v4, s[0:1], 0, v9, s[0:1]
	v_lshlrev_b32_e32 v9, 2, v4
	ds_bpermute_b32 v4, v9, v2
	ds_bpermute_b32 v5, v9, v3
	v_cmp_eq_u32_e64 s[0:1], 0, v6
	s_and_saveexec_b64 s[2:3], s[0:1]
	s_cbranch_execz .LBB123_8
; %bb.7:
	v_lshrrev_b32_e32 v6, 3, v0
	v_and_b32_e32 v6, 56, v6
	s_waitcnt lgkmcnt(0)
	v_pk_add_f32 v[2:3], v[2:3], v[4:5]
	ds_write_b64 v6, v[2:3]
.LBB123_8:
	s_or_b64 exec, exec, s[2:3]
	v_cmp_gt_u32_e64 s[0:1], 8, v0
	v_mov_b32_e32 v2, 0
	v_mov_b32_e32 v3, 0
	s_waitcnt lgkmcnt(0)
	s_barrier
	s_and_saveexec_b64 s[2:3], s[0:1]
	s_cbranch_execnz .LBB123_12
; %bb.9:
	s_or_b64 exec, exec, s[2:3]
	s_and_saveexec_b64 s[0:1], vcc
	s_cbranch_execnz .LBB123_13
.LBB123_10:
	s_or_b64 exec, exec, s[0:1]
	v_cmp_eq_u32_e32 vcc, 0, v0
	s_and_saveexec_b64 s[0:1], vcc
	s_cbranch_execnz .LBB123_14
.LBB123_11:
	s_endpgm
.LBB123_12:
	ds_read_b64 v[2:3], v1
	s_or_b64 exec, exec, s[2:3]
	s_and_saveexec_b64 s[0:1], vcc
	s_cbranch_execz .LBB123_10
.LBB123_13:
	s_waitcnt lgkmcnt(0)
	ds_bpermute_b32 v4, v7, v2
	ds_bpermute_b32 v5, v7, v3
	s_waitcnt lgkmcnt(0)
	v_pk_add_f32 v[2:3], v[2:3], v[4:5]
	ds_bpermute_b32 v4, v8, v2
	ds_bpermute_b32 v5, v8, v3
	s_waitcnt lgkmcnt(0)
	v_pk_add_f32 v[2:3], v[2:3], v[4:5]
	;; [unrolled: 4-line block ×3, first 2 shown]
	s_or_b64 exec, exec, s[0:1]
	v_cmp_eq_u32_e32 vcc, 0, v0
	s_and_saveexec_b64 s[0:1], vcc
	s_cbranch_execz .LBB123_11
.LBB123_14:
	s_cmp_lg_u32 s12, 1
	s_cbranch_scc0 .LBB123_16
; %bb.15:
	s_load_dwordx2 s[0:1], s[4:5], 0x30
	s_mul_hi_u32 s3, s12, s8
	s_mul_i32 s2, s12, s8
	s_lshl_b64 s[2:3], s[2:3], 3
	s_mov_b32 s7, 0
	s_waitcnt lgkmcnt(0)
	s_add_u32 s2, s0, s2
	s_addc_u32 s3, s1, s3
	s_lshl_b64 s[0:1], s[6:7], 3
	s_add_u32 s0, s2, s0
	s_addc_u32 s1, s3, s1
	s_cbranch_execz .LBB123_17
	s_branch .LBB123_18
.LBB123_16:
                                        ; implicit-def: $sgpr0_sgpr1
.LBB123_17:
	s_load_dwordx2 s[0:1], s[4:5], 0x38
	s_lshl_b64 s[2:3], s[8:9], 3
	s_waitcnt lgkmcnt(0)
	s_add_u32 s0, s0, s2
	s_addc_u32 s1, s1, s3
.LBB123_18:
	v_mov_b32_e32 v0, 0
	s_waitcnt lgkmcnt(0)
	global_store_dwordx2 v0, v[2:3], s[0:1]
	s_endpgm
	.section	.rodata,"a",@progbits
	.p2align	6, 0x0
	.amdhsa_kernel _ZL24rocblas_dot_kernel_magsqIlLb0ELi512ELi2ELb1E19rocblas_complex_numIfEPKS1_S1_EviT5_lT_liPT6_PT4_
		.amdhsa_group_segment_fixed_size 512
		.amdhsa_private_segment_fixed_size 0
		.amdhsa_kernarg_size 320
		.amdhsa_user_sgpr_count 6
		.amdhsa_user_sgpr_private_segment_buffer 1
		.amdhsa_user_sgpr_dispatch_ptr 0
		.amdhsa_user_sgpr_queue_ptr 0
		.amdhsa_user_sgpr_kernarg_segment_ptr 1
		.amdhsa_user_sgpr_dispatch_id 0
		.amdhsa_user_sgpr_flat_scratch_init 0
		.amdhsa_user_sgpr_kernarg_preload_length 0
		.amdhsa_user_sgpr_kernarg_preload_offset 0
		.amdhsa_user_sgpr_private_segment_size 0
		.amdhsa_uses_dynamic_stack 0
		.amdhsa_system_sgpr_private_segment_wavefront_offset 0
		.amdhsa_system_sgpr_workgroup_id_x 1
		.amdhsa_system_sgpr_workgroup_id_y 0
		.amdhsa_system_sgpr_workgroup_id_z 1
		.amdhsa_system_sgpr_workgroup_info 0
		.amdhsa_system_vgpr_workitem_id 0
		.amdhsa_next_free_vgpr 11
		.amdhsa_next_free_sgpr 18
		.amdhsa_accum_offset 12
		.amdhsa_reserve_vcc 1
		.amdhsa_reserve_flat_scratch 0
		.amdhsa_float_round_mode_32 0
		.amdhsa_float_round_mode_16_64 0
		.amdhsa_float_denorm_mode_32 3
		.amdhsa_float_denorm_mode_16_64 3
		.amdhsa_dx10_clamp 1
		.amdhsa_ieee_mode 1
		.amdhsa_fp16_overflow 0
		.amdhsa_tg_split 0
		.amdhsa_exception_fp_ieee_invalid_op 0
		.amdhsa_exception_fp_denorm_src 0
		.amdhsa_exception_fp_ieee_div_zero 0
		.amdhsa_exception_fp_ieee_overflow 0
		.amdhsa_exception_fp_ieee_underflow 0
		.amdhsa_exception_fp_ieee_inexact 0
		.amdhsa_exception_int_div_zero 0
	.end_amdhsa_kernel
	.section	.text._ZL24rocblas_dot_kernel_magsqIlLb0ELi512ELi2ELb1E19rocblas_complex_numIfEPKS1_S1_EviT5_lT_liPT6_PT4_,"axG",@progbits,_ZL24rocblas_dot_kernel_magsqIlLb0ELi512ELi2ELb1E19rocblas_complex_numIfEPKS1_S1_EviT5_lT_liPT6_PT4_,comdat
.Lfunc_end123:
	.size	_ZL24rocblas_dot_kernel_magsqIlLb0ELi512ELi2ELb1E19rocblas_complex_numIfEPKS1_S1_EviT5_lT_liPT6_PT4_, .Lfunc_end123-_ZL24rocblas_dot_kernel_magsqIlLb0ELi512ELi2ELb1E19rocblas_complex_numIfEPKS1_S1_EviT5_lT_liPT6_PT4_
                                        ; -- End function
	.section	.AMDGPU.csdata,"",@progbits
; Kernel info:
; codeLenInByte = 1120
; NumSgprs: 22
; NumVgprs: 11
; NumAgprs: 0
; TotalNumVgprs: 11
; ScratchSize: 0
; MemoryBound: 0
; FloatMode: 240
; IeeeMode: 1
; LDSByteSize: 512 bytes/workgroup (compile time only)
; SGPRBlocks: 2
; VGPRBlocks: 1
; NumSGPRsForWavesPerEU: 22
; NumVGPRsForWavesPerEU: 11
; AccumOffset: 12
; Occupancy: 8
; WaveLimiterHint : 0
; COMPUTE_PGM_RSRC2:SCRATCH_EN: 0
; COMPUTE_PGM_RSRC2:USER_SGPR: 6
; COMPUTE_PGM_RSRC2:TRAP_HANDLER: 0
; COMPUTE_PGM_RSRC2:TGID_X_EN: 1
; COMPUTE_PGM_RSRC2:TGID_Y_EN: 0
; COMPUTE_PGM_RSRC2:TGID_Z_EN: 1
; COMPUTE_PGM_RSRC2:TIDIG_COMP_CNT: 0
; COMPUTE_PGM_RSRC3_GFX90A:ACCUM_OFFSET: 2
; COMPUTE_PGM_RSRC3_GFX90A:TG_SPLIT: 0
	.section	.text._ZL28rocblas_dot_batched_4_kernelIiLi32ELi4ELb1E19rocblas_complex_numIdES1_PKS1_EviT5_lT_lS4_lS5_liPT4_,"axG",@progbits,_ZL28rocblas_dot_batched_4_kernelIiLi32ELi4ELb1E19rocblas_complex_numIdES1_PKS1_EviT5_lT_lS4_lS5_liPT4_,comdat
	.globl	_ZL28rocblas_dot_batched_4_kernelIiLi32ELi4ELb1E19rocblas_complex_numIdES1_PKS1_EviT5_lT_lS4_lS5_liPT4_ ; -- Begin function _ZL28rocblas_dot_batched_4_kernelIiLi32ELi4ELb1E19rocblas_complex_numIdES1_PKS1_EviT5_lT_lS4_lS5_liPT4_
	.p2align	8
	.type	_ZL28rocblas_dot_batched_4_kernelIiLi32ELi4ELb1E19rocblas_complex_numIdES1_PKS1_EviT5_lT_lS4_lS5_liPT4_,@function
_ZL28rocblas_dot_batched_4_kernelIiLi32ELi4ELb1E19rocblas_complex_numIdES1_PKS1_EviT5_lT_lS4_lS5_liPT4_: ; @_ZL28rocblas_dot_batched_4_kernelIiLi32ELi4ELb1E19rocblas_complex_numIdES1_PKS1_EviT5_lT_lS4_lS5_liPT4_
; %bb.0:
	s_load_dword s0, s[4:5], 0x48
	v_bfe_u32 v1, v0, 10, 10
	v_lshl_add_u32 v2, s6, 2, v1
	s_waitcnt lgkmcnt(0)
	v_cmp_gt_u32_e32 vcc, s0, v2
	s_and_saveexec_b64 s[0:1], vcc
	s_cbranch_execz .LBB124_7
; %bb.1:
	s_load_dword s10, s[4:5], 0x0
	s_load_dwordx2 s[6:7], s[4:5], 0x50
	v_and_b32_e32 v10, 0x3ff, v0
	v_pk_mov_b32 v[0:1], 0, 0
	v_mov_b32_e32 v3, 0
	s_waitcnt lgkmcnt(0)
	v_cmp_gt_i32_e32 vcc, s10, v10
	v_pk_mov_b32 v[4:5], v[0:1], v[0:1] op_sel:[0,1]
	s_and_saveexec_b64 s[8:9], vcc
	s_cbranch_execz .LBB124_5
; %bb.2:
	s_load_dwordx4 s[0:3], s[4:5], 0x8
	s_load_dword s16, s[4:5], 0x18
	s_load_dword s18, s[4:5], 0x38
	s_load_dwordx4 s[12:15], s[4:5], 0x20
	s_load_dwordx2 s[20:21], s[4:5], 0x30
	s_load_dwordx2 s[22:23], s[4:5], 0x40
	s_waitcnt lgkmcnt(0)
	s_ashr_i32 s17, s16, 31
	v_mad_i64_i32 v[0:1], s[4:5], s18, v10, 0
	s_ashr_i32 s19, s18, 31
	v_mad_u64_u32 v[4:5], s[4:5], s22, v2, 0
	v_mov_b32_e32 v6, v5
	v_mad_u64_u32 v[6:7], s[4:5], s23, v2, v[6:7]
	v_mov_b32_e32 v5, v6
	v_lshlrev_b64 v[0:1], 4, v[0:1]
	v_lshlrev_b64 v[4:5], 4, v[4:5]
	s_lshl_b64 s[4:5], s[20:21], 4
	v_add_co_u32_e32 v0, vcc, v0, v4
	s_add_u32 s4, s14, s4
	v_addc_co_u32_e32 v1, vcc, v1, v5, vcc
	s_addc_u32 s5, s15, s5
	v_mov_b32_e32 v4, s5
	v_add_co_u32_e32 v0, vcc, s4, v0
	v_addc_co_u32_e32 v1, vcc, v4, v1, vcc
	v_mad_u64_u32 v[4:5], s[14:15], s12, v2, 0
	v_mov_b32_e32 v8, v5
	v_add_co_u32_e32 v6, vcc, 8, v0
	v_mad_u64_u32 v[8:9], s[12:13], s13, v2, v[8:9]
	v_addc_co_u32_e32 v7, vcc, 0, v1, vcc
	v_mad_i64_i32 v[0:1], s[14:15], s16, v10, 0
	v_mov_b32_e32 v5, v8
	s_lshl_b64 s[4:5], s[18:19], 9
	v_lshlrev_b64 v[0:1], 4, v[0:1]
	v_lshlrev_b64 v[4:5], 4, v[4:5]
	s_lshl_b64 s[2:3], s[2:3], 4
	v_add_co_u32_e32 v0, vcc, v0, v4
	s_add_u32 s0, s0, s2
	v_addc_co_u32_e32 v1, vcc, v1, v5, vcc
	s_addc_u32 s1, s1, s3
	v_mov_b32_e32 v4, s1
	v_add_co_u32_e32 v0, vcc, s0, v0
	v_addc_co_u32_e32 v1, vcc, v4, v1, vcc
	v_add_co_u32_e32 v8, vcc, 8, v0
	v_addc_co_u32_e32 v9, vcc, 0, v1, vcc
	s_lshl_b64 s[2:3], s[16:17], 9
	v_pk_mov_b32 v[0:1], 0, 0
	s_mov_b64 s[0:1], 0
	v_mov_b32_e32 v11, s5
	v_mov_b32_e32 v12, s3
	;; [unrolled: 1-line block ×3, first 2 shown]
	v_pk_mov_b32 v[4:5], v[0:1], v[0:1] op_sel:[0,1]
.LBB124_3:                              ; =>This Inner Loop Header: Depth=1
	global_load_dwordx4 v[14:17], v[8:9], off offset:-8
	global_load_dwordx4 v[18:21], v[6:7], off offset:-8
	v_add_co_u32_e32 v6, vcc, s4, v6
	v_addc_co_u32_e32 v7, vcc, v7, v11, vcc
	v_add_co_u32_e32 v8, vcc, s2, v8
	v_add_u32_e32 v13, 32, v13
	v_addc_co_u32_e32 v9, vcc, v9, v12, vcc
	v_cmp_le_i32_e32 vcc, s10, v13
	s_or_b64 s[0:1], vcc, s[0:1]
	s_waitcnt vmcnt(0)
	v_mul_f64 v[22:23], v[16:17], v[20:21]
	v_mul_f64 v[16:17], v[16:17], v[18:19]
	v_fmac_f64_e32 v[22:23], v[14:15], v[18:19]
	v_fma_f64 v[14:15], v[14:15], v[20:21], -v[16:17]
	v_add_f64 v[0:1], v[0:1], v[22:23]
	v_add_f64 v[4:5], v[4:5], v[14:15]
	s_andn2_b64 exec, exec, s[0:1]
	s_cbranch_execnz .LBB124_3
; %bb.4:
	s_or_b64 exec, exec, s[0:1]
.LBB124_5:
	s_or_b64 exec, exec, s[8:9]
	v_mbcnt_lo_u32_b32 v6, -1, 0
	v_mbcnt_hi_u32_b32 v11, -1, v6
	v_and_b32_e32 v12, 63, v11
	v_cmp_gt_u32_e32 vcc, 48, v12
	v_cndmask_b32_e64 v6, 0, 1, vcc
	v_lshlrev_b32_e32 v6, 4, v6
	v_add_lshl_u32 v9, v6, v11, 2
	ds_bpermute_b32 v6, v9, v0
	ds_bpermute_b32 v7, v9, v1
	ds_bpermute_b32 v8, v9, v4
	ds_bpermute_b32 v9, v9, v5
	v_cmp_gt_u32_e32 vcc, 56, v12
	s_waitcnt lgkmcnt(0)
	v_add_f64 v[0:1], v[0:1], v[6:7]
	v_cndmask_b32_e64 v6, 0, 1, vcc
	v_lshlrev_b32_e32 v6, 3, v6
	v_add_f64 v[4:5], v[4:5], v[8:9]
	v_add_lshl_u32 v9, v6, v11, 2
	ds_bpermute_b32 v6, v9, v0
	ds_bpermute_b32 v7, v9, v1
	;; [unrolled: 1-line block ×4, first 2 shown]
	v_cmp_gt_u32_e32 vcc, 60, v12
	s_barrier
	s_waitcnt lgkmcnt(2)
	v_add_f64 v[0:1], v[0:1], v[6:7]
	v_cndmask_b32_e64 v6, 0, 1, vcc
	v_lshlrev_b32_e32 v6, 2, v6
	s_waitcnt lgkmcnt(0)
	v_add_f64 v[4:5], v[4:5], v[8:9]
	v_add_lshl_u32 v9, v6, v11, 2
	ds_bpermute_b32 v6, v9, v0
	ds_bpermute_b32 v7, v9, v1
	ds_bpermute_b32 v8, v9, v4
	ds_bpermute_b32 v9, v9, v5
	v_cmp_gt_u32_e32 vcc, 62, v12
	s_waitcnt lgkmcnt(0)
	v_add_f64 v[0:1], v[0:1], v[6:7]
	v_cndmask_b32_e64 v6, 0, 1, vcc
	v_lshlrev_b32_e32 v6, 1, v6
	v_add_f64 v[4:5], v[4:5], v[8:9]
	v_add_lshl_u32 v9, v6, v11, 2
	ds_bpermute_b32 v6, v9, v0
	ds_bpermute_b32 v7, v9, v1
	;; [unrolled: 1-line block ×4, first 2 shown]
	v_cmp_ne_u32_e32 vcc, 63, v12
	s_waitcnt lgkmcnt(2)
	v_add_f64 v[0:1], v[0:1], v[6:7]
	s_waitcnt lgkmcnt(0)
	v_add_f64 v[6:7], v[4:5], v[8:9]
	v_addc_co_u32_e32 v4, vcc, 0, v11, vcc
	v_lshlrev_b32_e32 v9, 2, v4
	ds_bpermute_b32 v4, v9, v0
	ds_bpermute_b32 v5, v9, v1
	;; [unrolled: 1-line block ×4, first 2 shown]
	v_cmp_eq_u32_e32 vcc, 0, v10
	s_and_b64 exec, exec, vcc
	s_cbranch_execz .LBB124_7
; %bb.6:
	v_lshlrev_b64 v[2:3], 4, v[2:3]
	v_mov_b32_e32 v11, s7
	v_add_co_u32_e32 v10, vcc, s6, v2
	v_addc_co_u32_e32 v11, vcc, v11, v3, vcc
	s_waitcnt lgkmcnt(0)
	v_add_f64 v[2:3], v[6:7], v[8:9]
	v_add_f64 v[0:1], v[0:1], v[4:5]
	global_store_dwordx4 v[10:11], v[0:3], off
.LBB124_7:
	s_endpgm
	.section	.rodata,"a",@progbits
	.p2align	6, 0x0
	.amdhsa_kernel _ZL28rocblas_dot_batched_4_kernelIiLi32ELi4ELb1E19rocblas_complex_numIdES1_PKS1_EviT5_lT_lS4_lS5_liPT4_
		.amdhsa_group_segment_fixed_size 0
		.amdhsa_private_segment_fixed_size 0
		.amdhsa_kernarg_size 88
		.amdhsa_user_sgpr_count 6
		.amdhsa_user_sgpr_private_segment_buffer 1
		.amdhsa_user_sgpr_dispatch_ptr 0
		.amdhsa_user_sgpr_queue_ptr 0
		.amdhsa_user_sgpr_kernarg_segment_ptr 1
		.amdhsa_user_sgpr_dispatch_id 0
		.amdhsa_user_sgpr_flat_scratch_init 0
		.amdhsa_user_sgpr_kernarg_preload_length 0
		.amdhsa_user_sgpr_kernarg_preload_offset 0
		.amdhsa_user_sgpr_private_segment_size 0
		.amdhsa_uses_dynamic_stack 0
		.amdhsa_system_sgpr_private_segment_wavefront_offset 0
		.amdhsa_system_sgpr_workgroup_id_x 1
		.amdhsa_system_sgpr_workgroup_id_y 0
		.amdhsa_system_sgpr_workgroup_id_z 0
		.amdhsa_system_sgpr_workgroup_info 0
		.amdhsa_system_vgpr_workitem_id 1
		.amdhsa_next_free_vgpr 24
		.amdhsa_next_free_sgpr 24
		.amdhsa_accum_offset 24
		.amdhsa_reserve_vcc 1
		.amdhsa_reserve_flat_scratch 0
		.amdhsa_float_round_mode_32 0
		.amdhsa_float_round_mode_16_64 0
		.amdhsa_float_denorm_mode_32 3
		.amdhsa_float_denorm_mode_16_64 3
		.amdhsa_dx10_clamp 1
		.amdhsa_ieee_mode 1
		.amdhsa_fp16_overflow 0
		.amdhsa_tg_split 0
		.amdhsa_exception_fp_ieee_invalid_op 0
		.amdhsa_exception_fp_denorm_src 0
		.amdhsa_exception_fp_ieee_div_zero 0
		.amdhsa_exception_fp_ieee_overflow 0
		.amdhsa_exception_fp_ieee_underflow 0
		.amdhsa_exception_fp_ieee_inexact 0
		.amdhsa_exception_int_div_zero 0
	.end_amdhsa_kernel
	.section	.text._ZL28rocblas_dot_batched_4_kernelIiLi32ELi4ELb1E19rocblas_complex_numIdES1_PKS1_EviT5_lT_lS4_lS5_liPT4_,"axG",@progbits,_ZL28rocblas_dot_batched_4_kernelIiLi32ELi4ELb1E19rocblas_complex_numIdES1_PKS1_EviT5_lT_lS4_lS5_liPT4_,comdat
.Lfunc_end124:
	.size	_ZL28rocblas_dot_batched_4_kernelIiLi32ELi4ELb1E19rocblas_complex_numIdES1_PKS1_EviT5_lT_lS4_lS5_liPT4_, .Lfunc_end124-_ZL28rocblas_dot_batched_4_kernelIiLi32ELi4ELb1E19rocblas_complex_numIdES1_PKS1_EviT5_lT_lS4_lS5_liPT4_
                                        ; -- End function
	.section	.AMDGPU.csdata,"",@progbits
; Kernel info:
; codeLenInByte = 928
; NumSgprs: 28
; NumVgprs: 24
; NumAgprs: 0
; TotalNumVgprs: 24
; ScratchSize: 0
; MemoryBound: 0
; FloatMode: 240
; IeeeMode: 1
; LDSByteSize: 0 bytes/workgroup (compile time only)
; SGPRBlocks: 3
; VGPRBlocks: 2
; NumSGPRsForWavesPerEU: 28
; NumVGPRsForWavesPerEU: 24
; AccumOffset: 24
; Occupancy: 8
; WaveLimiterHint : 0
; COMPUTE_PGM_RSRC2:SCRATCH_EN: 0
; COMPUTE_PGM_RSRC2:USER_SGPR: 6
; COMPUTE_PGM_RSRC2:TRAP_HANDLER: 0
; COMPUTE_PGM_RSRC2:TGID_X_EN: 1
; COMPUTE_PGM_RSRC2:TGID_Y_EN: 0
; COMPUTE_PGM_RSRC2:TGID_Z_EN: 0
; COMPUTE_PGM_RSRC2:TIDIG_COMP_CNT: 1
; COMPUTE_PGM_RSRC3_GFX90A:ACCUM_OFFSET: 5
; COMPUTE_PGM_RSRC3_GFX90A:TG_SPLIT: 0
	.section	.text._ZL28rocblas_dot_batched_4_kernelIiLi64ELi4ELb1E19rocblas_complex_numIdES1_PKS1_EviT5_lT_lS4_lS5_liPT4_,"axG",@progbits,_ZL28rocblas_dot_batched_4_kernelIiLi64ELi4ELb1E19rocblas_complex_numIdES1_PKS1_EviT5_lT_lS4_lS5_liPT4_,comdat
	.globl	_ZL28rocblas_dot_batched_4_kernelIiLi64ELi4ELb1E19rocblas_complex_numIdES1_PKS1_EviT5_lT_lS4_lS5_liPT4_ ; -- Begin function _ZL28rocblas_dot_batched_4_kernelIiLi64ELi4ELb1E19rocblas_complex_numIdES1_PKS1_EviT5_lT_lS4_lS5_liPT4_
	.p2align	8
	.type	_ZL28rocblas_dot_batched_4_kernelIiLi64ELi4ELb1E19rocblas_complex_numIdES1_PKS1_EviT5_lT_lS4_lS5_liPT4_,@function
_ZL28rocblas_dot_batched_4_kernelIiLi64ELi4ELb1E19rocblas_complex_numIdES1_PKS1_EviT5_lT_lS4_lS5_liPT4_: ; @_ZL28rocblas_dot_batched_4_kernelIiLi64ELi4ELb1E19rocblas_complex_numIdES1_PKS1_EviT5_lT_lS4_lS5_liPT4_
; %bb.0:
	s_load_dword s0, s[4:5], 0x48
	v_bfe_u32 v1, v0, 10, 10
	v_lshl_add_u32 v2, s6, 2, v1
	s_waitcnt lgkmcnt(0)
	v_cmp_gt_u32_e32 vcc, s0, v2
	s_and_saveexec_b64 s[0:1], vcc
	s_cbranch_execz .LBB125_7
; %bb.1:
	s_load_dword s10, s[4:5], 0x0
	s_load_dwordx2 s[6:7], s[4:5], 0x50
	v_and_b32_e32 v10, 0x3ff, v0
	v_pk_mov_b32 v[0:1], 0, 0
	v_mov_b32_e32 v3, 0
	s_waitcnt lgkmcnt(0)
	v_cmp_gt_i32_e32 vcc, s10, v10
	v_pk_mov_b32 v[4:5], v[0:1], v[0:1] op_sel:[0,1]
	s_and_saveexec_b64 s[8:9], vcc
	s_cbranch_execz .LBB125_5
; %bb.2:
	s_load_dwordx4 s[0:3], s[4:5], 0x8
	s_load_dword s16, s[4:5], 0x18
	s_load_dword s18, s[4:5], 0x38
	s_load_dwordx4 s[12:15], s[4:5], 0x20
	s_load_dwordx2 s[20:21], s[4:5], 0x30
	s_load_dwordx2 s[22:23], s[4:5], 0x40
	s_waitcnt lgkmcnt(0)
	s_ashr_i32 s17, s16, 31
	v_mad_i64_i32 v[0:1], s[4:5], s18, v10, 0
	s_ashr_i32 s19, s18, 31
	v_mad_u64_u32 v[4:5], s[4:5], s22, v2, 0
	v_mov_b32_e32 v6, v5
	v_mad_u64_u32 v[6:7], s[4:5], s23, v2, v[6:7]
	v_mov_b32_e32 v5, v6
	v_lshlrev_b64 v[0:1], 4, v[0:1]
	v_lshlrev_b64 v[4:5], 4, v[4:5]
	s_lshl_b64 s[4:5], s[20:21], 4
	v_add_co_u32_e32 v0, vcc, v0, v4
	s_add_u32 s4, s14, s4
	v_addc_co_u32_e32 v1, vcc, v1, v5, vcc
	s_addc_u32 s5, s15, s5
	v_mov_b32_e32 v4, s5
	v_add_co_u32_e32 v0, vcc, s4, v0
	v_addc_co_u32_e32 v1, vcc, v4, v1, vcc
	v_mad_u64_u32 v[4:5], s[14:15], s12, v2, 0
	v_mov_b32_e32 v8, v5
	v_add_co_u32_e32 v6, vcc, 8, v0
	v_mad_u64_u32 v[8:9], s[12:13], s13, v2, v[8:9]
	v_addc_co_u32_e32 v7, vcc, 0, v1, vcc
	v_mad_i64_i32 v[0:1], s[14:15], s16, v10, 0
	v_mov_b32_e32 v5, v8
	s_lshl_b64 s[4:5], s[18:19], 10
	v_lshlrev_b64 v[0:1], 4, v[0:1]
	v_lshlrev_b64 v[4:5], 4, v[4:5]
	s_lshl_b64 s[2:3], s[2:3], 4
	v_add_co_u32_e32 v0, vcc, v0, v4
	s_add_u32 s0, s0, s2
	v_addc_co_u32_e32 v1, vcc, v1, v5, vcc
	s_addc_u32 s1, s1, s3
	v_mov_b32_e32 v4, s1
	v_add_co_u32_e32 v0, vcc, s0, v0
	v_addc_co_u32_e32 v1, vcc, v4, v1, vcc
	v_add_co_u32_e32 v8, vcc, 8, v0
	v_addc_co_u32_e32 v9, vcc, 0, v1, vcc
	s_lshl_b64 s[2:3], s[16:17], 10
	v_pk_mov_b32 v[0:1], 0, 0
	s_mov_b64 s[0:1], 0
	v_mov_b32_e32 v11, s5
	v_mov_b32_e32 v12, s3
	;; [unrolled: 1-line block ×3, first 2 shown]
	v_pk_mov_b32 v[4:5], v[0:1], v[0:1] op_sel:[0,1]
.LBB125_3:                              ; =>This Inner Loop Header: Depth=1
	global_load_dwordx4 v[14:17], v[8:9], off offset:-8
	global_load_dwordx4 v[18:21], v[6:7], off offset:-8
	v_add_co_u32_e32 v6, vcc, s4, v6
	v_addc_co_u32_e32 v7, vcc, v7, v11, vcc
	v_add_co_u32_e32 v8, vcc, s2, v8
	v_add_u32_e32 v13, 64, v13
	v_addc_co_u32_e32 v9, vcc, v9, v12, vcc
	v_cmp_le_i32_e32 vcc, s10, v13
	s_or_b64 s[0:1], vcc, s[0:1]
	s_waitcnt vmcnt(0)
	v_mul_f64 v[22:23], v[16:17], v[20:21]
	v_mul_f64 v[16:17], v[16:17], v[18:19]
	v_fmac_f64_e32 v[22:23], v[14:15], v[18:19]
	v_fma_f64 v[14:15], v[14:15], v[20:21], -v[16:17]
	v_add_f64 v[0:1], v[0:1], v[22:23]
	v_add_f64 v[4:5], v[4:5], v[14:15]
	s_andn2_b64 exec, exec, s[0:1]
	s_cbranch_execnz .LBB125_3
; %bb.4:
	s_or_b64 exec, exec, s[0:1]
.LBB125_5:
	s_or_b64 exec, exec, s[8:9]
	v_mbcnt_lo_u32_b32 v6, -1, 0
	v_mbcnt_hi_u32_b32 v11, -1, v6
	v_and_b32_e32 v12, 63, v11
	v_cmp_gt_u32_e32 vcc, 32, v12
	v_cndmask_b32_e64 v6, 0, 1, vcc
	v_lshlrev_b32_e32 v6, 5, v6
	v_add_lshl_u32 v9, v6, v11, 2
	ds_bpermute_b32 v6, v9, v0
	ds_bpermute_b32 v7, v9, v1
	;; [unrolled: 1-line block ×4, first 2 shown]
	v_cmp_gt_u32_e32 vcc, 48, v12
	s_waitcnt lgkmcnt(0)
	v_add_f64 v[0:1], v[0:1], v[6:7]
	v_cndmask_b32_e64 v6, 0, 1, vcc
	v_lshlrev_b32_e32 v6, 4, v6
	v_add_f64 v[4:5], v[4:5], v[8:9]
	v_add_lshl_u32 v9, v6, v11, 2
	ds_bpermute_b32 v6, v9, v0
	ds_bpermute_b32 v7, v9, v1
	;; [unrolled: 1-line block ×4, first 2 shown]
	v_cmp_gt_u32_e32 vcc, 56, v12
	s_barrier
	s_waitcnt lgkmcnt(2)
	v_add_f64 v[0:1], v[0:1], v[6:7]
	v_cndmask_b32_e64 v6, 0, 1, vcc
	v_lshlrev_b32_e32 v6, 3, v6
	s_waitcnt lgkmcnt(0)
	v_add_f64 v[4:5], v[4:5], v[8:9]
	v_add_lshl_u32 v9, v6, v11, 2
	ds_bpermute_b32 v6, v9, v0
	ds_bpermute_b32 v7, v9, v1
	;; [unrolled: 1-line block ×4, first 2 shown]
	v_cmp_gt_u32_e32 vcc, 60, v12
	s_waitcnt lgkmcnt(0)
	v_add_f64 v[0:1], v[0:1], v[6:7]
	v_cndmask_b32_e64 v6, 0, 1, vcc
	v_lshlrev_b32_e32 v6, 2, v6
	v_add_f64 v[4:5], v[4:5], v[8:9]
	v_add_lshl_u32 v9, v6, v11, 2
	ds_bpermute_b32 v6, v9, v0
	ds_bpermute_b32 v7, v9, v1
	;; [unrolled: 1-line block ×4, first 2 shown]
	v_cmp_gt_u32_e32 vcc, 62, v12
	s_waitcnt lgkmcnt(2)
	v_add_f64 v[0:1], v[0:1], v[6:7]
	v_cndmask_b32_e64 v6, 0, 1, vcc
	v_lshlrev_b32_e32 v6, 1, v6
	s_waitcnt lgkmcnt(0)
	v_add_f64 v[4:5], v[4:5], v[8:9]
	v_add_lshl_u32 v9, v6, v11, 2
	ds_bpermute_b32 v6, v9, v0
	ds_bpermute_b32 v7, v9, v1
	ds_bpermute_b32 v8, v9, v4
	ds_bpermute_b32 v9, v9, v5
	v_cmp_ne_u32_e32 vcc, 63, v12
	s_waitcnt lgkmcnt(2)
	v_add_f64 v[0:1], v[0:1], v[6:7]
	s_waitcnt lgkmcnt(0)
	v_add_f64 v[6:7], v[4:5], v[8:9]
	v_addc_co_u32_e32 v4, vcc, 0, v11, vcc
	v_lshlrev_b32_e32 v9, 2, v4
	ds_bpermute_b32 v4, v9, v0
	ds_bpermute_b32 v5, v9, v1
	;; [unrolled: 1-line block ×4, first 2 shown]
	v_cmp_eq_u32_e32 vcc, 0, v10
	s_and_b64 exec, exec, vcc
	s_cbranch_execz .LBB125_7
; %bb.6:
	v_lshlrev_b64 v[2:3], 4, v[2:3]
	v_mov_b32_e32 v11, s7
	v_add_co_u32_e32 v10, vcc, s6, v2
	v_addc_co_u32_e32 v11, vcc, v11, v3, vcc
	s_waitcnt lgkmcnt(0)
	v_add_f64 v[2:3], v[6:7], v[8:9]
	v_add_f64 v[0:1], v[0:1], v[4:5]
	global_store_dwordx4 v[10:11], v[0:3], off
.LBB125_7:
	s_endpgm
	.section	.rodata,"a",@progbits
	.p2align	6, 0x0
	.amdhsa_kernel _ZL28rocblas_dot_batched_4_kernelIiLi64ELi4ELb1E19rocblas_complex_numIdES1_PKS1_EviT5_lT_lS4_lS5_liPT4_
		.amdhsa_group_segment_fixed_size 0
		.amdhsa_private_segment_fixed_size 0
		.amdhsa_kernarg_size 88
		.amdhsa_user_sgpr_count 6
		.amdhsa_user_sgpr_private_segment_buffer 1
		.amdhsa_user_sgpr_dispatch_ptr 0
		.amdhsa_user_sgpr_queue_ptr 0
		.amdhsa_user_sgpr_kernarg_segment_ptr 1
		.amdhsa_user_sgpr_dispatch_id 0
		.amdhsa_user_sgpr_flat_scratch_init 0
		.amdhsa_user_sgpr_kernarg_preload_length 0
		.amdhsa_user_sgpr_kernarg_preload_offset 0
		.amdhsa_user_sgpr_private_segment_size 0
		.amdhsa_uses_dynamic_stack 0
		.amdhsa_system_sgpr_private_segment_wavefront_offset 0
		.amdhsa_system_sgpr_workgroup_id_x 1
		.amdhsa_system_sgpr_workgroup_id_y 0
		.amdhsa_system_sgpr_workgroup_id_z 0
		.amdhsa_system_sgpr_workgroup_info 0
		.amdhsa_system_vgpr_workitem_id 1
		.amdhsa_next_free_vgpr 24
		.amdhsa_next_free_sgpr 24
		.amdhsa_accum_offset 24
		.amdhsa_reserve_vcc 1
		.amdhsa_reserve_flat_scratch 0
		.amdhsa_float_round_mode_32 0
		.amdhsa_float_round_mode_16_64 0
		.amdhsa_float_denorm_mode_32 3
		.amdhsa_float_denorm_mode_16_64 3
		.amdhsa_dx10_clamp 1
		.amdhsa_ieee_mode 1
		.amdhsa_fp16_overflow 0
		.amdhsa_tg_split 0
		.amdhsa_exception_fp_ieee_invalid_op 0
		.amdhsa_exception_fp_denorm_src 0
		.amdhsa_exception_fp_ieee_div_zero 0
		.amdhsa_exception_fp_ieee_overflow 0
		.amdhsa_exception_fp_ieee_underflow 0
		.amdhsa_exception_fp_ieee_inexact 0
		.amdhsa_exception_int_div_zero 0
	.end_amdhsa_kernel
	.section	.text._ZL28rocblas_dot_batched_4_kernelIiLi64ELi4ELb1E19rocblas_complex_numIdES1_PKS1_EviT5_lT_lS4_lS5_liPT4_,"axG",@progbits,_ZL28rocblas_dot_batched_4_kernelIiLi64ELi4ELb1E19rocblas_complex_numIdES1_PKS1_EviT5_lT_lS4_lS5_liPT4_,comdat
.Lfunc_end125:
	.size	_ZL28rocblas_dot_batched_4_kernelIiLi64ELi4ELb1E19rocblas_complex_numIdES1_PKS1_EviT5_lT_lS4_lS5_liPT4_, .Lfunc_end125-_ZL28rocblas_dot_batched_4_kernelIiLi64ELi4ELb1E19rocblas_complex_numIdES1_PKS1_EviT5_lT_lS4_lS5_liPT4_
                                        ; -- End function
	.section	.AMDGPU.csdata,"",@progbits
; Kernel info:
; codeLenInByte = 1008
; NumSgprs: 28
; NumVgprs: 24
; NumAgprs: 0
; TotalNumVgprs: 24
; ScratchSize: 0
; MemoryBound: 0
; FloatMode: 240
; IeeeMode: 1
; LDSByteSize: 0 bytes/workgroup (compile time only)
; SGPRBlocks: 3
; VGPRBlocks: 2
; NumSGPRsForWavesPerEU: 28
; NumVGPRsForWavesPerEU: 24
; AccumOffset: 24
; Occupancy: 8
; WaveLimiterHint : 0
; COMPUTE_PGM_RSRC2:SCRATCH_EN: 0
; COMPUTE_PGM_RSRC2:USER_SGPR: 6
; COMPUTE_PGM_RSRC2:TRAP_HANDLER: 0
; COMPUTE_PGM_RSRC2:TGID_X_EN: 1
; COMPUTE_PGM_RSRC2:TGID_Y_EN: 0
; COMPUTE_PGM_RSRC2:TGID_Z_EN: 0
; COMPUTE_PGM_RSRC2:TIDIG_COMP_CNT: 1
; COMPUTE_PGM_RSRC3_GFX90A:ACCUM_OFFSET: 5
; COMPUTE_PGM_RSRC3_GFX90A:TG_SPLIT: 0
	.section	.text._ZL26rocblas_dot_kernel_inc1by2ILb1ELi1024ELi32ELb1E19rocblas_complex_numIdEPKS1_S1_EviT4_llS4_lliPT5_PT3_,"axG",@progbits,_ZL26rocblas_dot_kernel_inc1by2ILb1ELi1024ELi32ELb1E19rocblas_complex_numIdEPKS1_S1_EviT4_llS4_lliPT5_PT3_,comdat
	.globl	_ZL26rocblas_dot_kernel_inc1by2ILb1ELi1024ELi32ELb1E19rocblas_complex_numIdEPKS1_S1_EviT4_llS4_lliPT5_PT3_ ; -- Begin function _ZL26rocblas_dot_kernel_inc1by2ILb1ELi1024ELi32ELb1E19rocblas_complex_numIdEPKS1_S1_EviT4_llS4_lliPT5_PT3_
	.p2align	8
	.type	_ZL26rocblas_dot_kernel_inc1by2ILb1ELi1024ELi32ELb1E19rocblas_complex_numIdEPKS1_S1_EviT4_llS4_lliPT5_PT3_,@function
_ZL26rocblas_dot_kernel_inc1by2ILb1ELi1024ELi32ELb1E19rocblas_complex_numIdEPKS1_S1_EviT4_llS4_lliPT5_PT3_: ; @_ZL26rocblas_dot_kernel_inc1by2ILb1ELi1024ELi32ELb1E19rocblas_complex_numIdEPKS1_S1_EviT4_llS4_lliPT5_PT3_
; %bb.0:
	s_mov_b32 s2, s7
	s_load_dword s10, s[4:5], 0x0
	s_load_dwordx2 s[6:7], s[4:5], 0x48
	v_pk_mov_b32 v[2:3], 0, 0
	s_mov_b32 s3, 0
	v_pk_mov_b32 v[4:5], v[2:3], v[2:3] op_sel:[0,1]
	s_waitcnt lgkmcnt(0)
	v_cmp_gt_i32_e32 vcc, s10, v0
	s_and_saveexec_b64 s[8:9], vcc
	s_cbranch_execz .LBB126_4
; %bb.1:
	s_load_dwordx4 s[12:15], s[4:5], 0x28
	s_load_dwordx2 s[0:1], s[4:5], 0x20
	s_load_dwordx2 s[20:21], s[4:5], 0x8
	s_load_dwordx4 s[16:19], s[4:5], 0x10
	v_lshlrev_b32_e32 v2, 4, v0
	s_waitcnt lgkmcnt(0)
	s_mul_i32 s4, s15, s2
	s_mul_hi_u32 s5, s14, s2
	s_add_i32 s5, s5, s4
	s_mul_i32 s4, s14, s2
	s_lshl_b64 s[4:5], s[4:5], 4
	s_lshl_b64 s[12:13], s[12:13], 4
	s_add_u32 s4, s4, s12
	s_addc_u32 s5, s5, s13
	s_add_u32 s0, s0, s4
	s_addc_u32 s1, s1, s5
	v_mov_b32_e32 v3, s1
	v_add_co_u32_e32 v4, vcc, s0, v2
	s_mul_i32 s0, s19, s2
	s_mul_hi_u32 s1, s18, s2
	s_add_i32 s1, s1, s0
	s_mul_i32 s0, s18, s2
	s_lshl_b64 s[0:1], s[0:1], 4
	s_lshl_b64 s[4:5], s[16:17], 4
	s_add_u32 s0, s0, s4
	v_addc_co_u32_e32 v3, vcc, 0, v3, vcc
	s_addc_u32 s1, s1, s5
	v_add_co_u32_e32 v6, vcc, 8, v4
	s_add_u32 s0, s20, s0
	v_addc_co_u32_e32 v7, vcc, 0, v3, vcc
	s_addc_u32 s1, s21, s1
	v_mov_b32_e32 v3, s1
	v_add_co_u32_e32 v2, vcc, s0, v2
	v_addc_co_u32_e32 v3, vcc, 0, v3, vcc
	v_add_co_u32_e32 v8, vcc, 8, v2
	v_addc_co_u32_e32 v9, vcc, 0, v3, vcc
	v_pk_mov_b32 v[2:3], 0, 0
	v_or_b32_e32 v1, 0x400, v0
	s_mov_b64 s[4:5], 0
	s_mov_b32 s11, s3
	v_pk_mov_b32 v[4:5], v[2:3], v[2:3] op_sel:[0,1]
.LBB126_2:                              ; =>This Inner Loop Header: Depth=1
	global_load_dwordx4 v[10:13], v[6:7], off offset:-8
	global_load_dwordx4 v[14:17], v[8:9], off offset:-8
	s_add_i32 s12, s11, 1
	s_cmp_gt_u32 s11, 30
	v_cmp_le_i32_e64 s[0:1], s10, v1
	v_add_co_u32_e32 v6, vcc, 0x4000, v6
	s_mov_b32 s11, s12
	s_cselect_b64 s[12:13], -1, 0
	v_addc_co_u32_e32 v7, vcc, 0, v7, vcc
	s_or_b64 s[0:1], s[12:13], s[0:1]
	v_add_co_u32_e32 v8, vcc, 0x4000, v8
	s_and_b64 s[0:1], exec, s[0:1]
	v_add_u32_e32 v1, 0x400, v1
	v_addc_co_u32_e32 v9, vcc, 0, v9, vcc
	s_or_b64 s[4:5], s[0:1], s[4:5]
	s_waitcnt vmcnt(0)
	v_mul_f64 v[18:19], v[12:13], v[16:17]
	v_mul_f64 v[16:17], v[10:11], v[16:17]
	v_fmac_f64_e32 v[18:19], v[10:11], v[14:15]
	v_fma_f64 v[10:11], v[12:13], v[14:15], -v[16:17]
	v_add_f64 v[4:5], v[4:5], v[18:19]
	v_add_f64 v[2:3], v[2:3], v[10:11]
	s_andn2_b64 exec, exec, s[4:5]
	s_cbranch_execnz .LBB126_2
; %bb.3:
	s_or_b64 exec, exec, s[4:5]
.LBB126_4:
	s_or_b64 exec, exec, s[8:9]
	v_and_b32_e32 v13, 63, v0
	v_cmp_gt_u32_e32 vcc, 64, v0
	v_lshlrev_b32_e32 v1, 4, v13
	s_and_saveexec_b64 s[0:1], vcc
	s_cbranch_execz .LBB126_6
; %bb.5:
	v_mov_b32_e32 v6, 0
	v_mov_b32_e32 v7, v6
	;; [unrolled: 1-line block ×4, first 2 shown]
	ds_write_b128 v1, v[6:9]
.LBB126_6:
	s_or_b64 exec, exec, s[0:1]
	v_mbcnt_lo_u32_b32 v6, -1, 0
	v_mbcnt_hi_u32_b32 v14, -1, v6
	v_and_b32_e32 v15, 63, v14
	v_cmp_gt_u32_e64 s[0:1], 32, v15
	v_cndmask_b32_e64 v6, 0, 1, s[0:1]
	v_lshlrev_b32_e32 v6, 5, v6
	v_add_lshl_u32 v9, v6, v14, 2
	ds_bpermute_b32 v6, v9, v4
	ds_bpermute_b32 v7, v9, v5
	;; [unrolled: 1-line block ×4, first 2 shown]
	v_cmp_gt_u32_e64 s[0:1], 48, v15
	s_waitcnt lgkmcnt(0)
	v_add_f64 v[4:5], v[4:5], v[6:7]
	v_cndmask_b32_e64 v6, 0, 1, s[0:1]
	v_lshlrev_b32_e32 v6, 4, v6
	v_add_f64 v[2:3], v[2:3], v[8:9]
	v_add_lshl_u32 v9, v6, v14, 2
	ds_bpermute_b32 v6, v9, v4
	ds_bpermute_b32 v7, v9, v5
	ds_bpermute_b32 v8, v9, v2
	ds_bpermute_b32 v9, v9, v3
	v_cmp_gt_u32_e64 s[0:1], 56, v15
	s_barrier
	s_waitcnt lgkmcnt(2)
	v_add_f64 v[4:5], v[4:5], v[6:7]
	v_cndmask_b32_e64 v6, 0, 1, s[0:1]
	v_lshlrev_b32_e32 v6, 3, v6
	v_add_lshl_u32 v10, v6, v14, 2
	ds_bpermute_b32 v6, v10, v4
	ds_bpermute_b32 v7, v10, v5
	s_waitcnt lgkmcnt(2)
	v_add_f64 v[2:3], v[2:3], v[8:9]
	ds_bpermute_b32 v8, v10, v2
	ds_bpermute_b32 v9, v10, v3
	v_cmp_gt_u32_e64 s[0:1], 60, v15
	s_waitcnt lgkmcnt(2)
	v_add_f64 v[4:5], v[4:5], v[6:7]
	v_cndmask_b32_e64 v6, 0, 1, s[0:1]
	v_lshlrev_b32_e32 v6, 2, v6
	s_waitcnt lgkmcnt(0)
	v_add_f64 v[2:3], v[2:3], v[8:9]
	v_add_lshl_u32 v11, v6, v14, 2
	ds_bpermute_b32 v6, v11, v4
	ds_bpermute_b32 v7, v11, v5
	;; [unrolled: 1-line block ×4, first 2 shown]
	v_cmp_gt_u32_e64 s[0:1], 62, v15
	s_waitcnt lgkmcnt(0)
	v_add_f64 v[4:5], v[4:5], v[6:7]
	v_add_f64 v[6:7], v[2:3], v[8:9]
	v_cndmask_b32_e64 v2, 0, 1, s[0:1]
	v_lshlrev_b32_e32 v2, 1, v2
	v_add_lshl_u32 v12, v2, v14, 2
	ds_bpermute_b32 v2, v12, v4
	ds_bpermute_b32 v3, v12, v5
	;; [unrolled: 1-line block ×4, first 2 shown]
	v_cmp_ne_u32_e64 s[0:1], 63, v15
	s_waitcnt lgkmcnt(2)
	v_add_f64 v[2:3], v[4:5], v[2:3]
	v_addc_co_u32_e64 v4, s[0:1], 0, v14, s[0:1]
	s_waitcnt lgkmcnt(0)
	v_add_f64 v[6:7], v[6:7], v[8:9]
	v_lshlrev_b32_e32 v14, 2, v4
	ds_bpermute_b32 v4, v14, v2
	ds_bpermute_b32 v5, v14, v3
	;; [unrolled: 1-line block ×4, first 2 shown]
	v_cmp_eq_u32_e64 s[0:1], 0, v13
	s_and_saveexec_b64 s[4:5], s[0:1]
	s_cbranch_execz .LBB126_8
; %bb.7:
	v_lshrrev_b32_e32 v13, 2, v0
	v_and_b32_e32 v13, 0xf0, v13
	s_waitcnt lgkmcnt(0)
	v_add_f64 v[6:7], v[6:7], v[8:9]
	v_add_f64 v[4:5], v[2:3], v[4:5]
	ds_write_b128 v13, v[4:7]
.LBB126_8:
	s_or_b64 exec, exec, s[4:5]
	s_waitcnt lgkmcnt(2)
	v_pk_mov_b32 v[4:5], 0, 0
	v_cmp_gt_u32_e64 s[0:1], 16, v0
	v_pk_mov_b32 v[2:3], v[4:5], v[4:5] op_sel:[0,1]
	s_waitcnt lgkmcnt(0)
	s_barrier
	s_and_saveexec_b64 s[4:5], s[0:1]
	s_cbranch_execnz .LBB126_12
; %bb.9:
	s_or_b64 exec, exec, s[4:5]
	s_and_saveexec_b64 s[0:1], vcc
	s_cbranch_execnz .LBB126_13
.LBB126_10:
	s_or_b64 exec, exec, s[0:1]
	v_cmp_eq_u32_e32 vcc, 0, v0
	s_and_saveexec_b64 s[0:1], vcc
	s_cbranch_execnz .LBB126_14
.LBB126_11:
	s_endpgm
.LBB126_12:
	ds_read_b128 v[2:5], v1
	s_or_b64 exec, exec, s[4:5]
	s_and_saveexec_b64 s[0:1], vcc
	s_cbranch_execz .LBB126_10
.LBB126_13:
	s_waitcnt lgkmcnt(0)
	ds_bpermute_b32 v6, v10, v2
	ds_bpermute_b32 v7, v10, v3
	;; [unrolled: 1-line block ×4, first 2 shown]
	s_waitcnt lgkmcnt(2)
	v_add_f64 v[2:3], v[2:3], v[6:7]
	ds_bpermute_b32 v6, v11, v2
	s_waitcnt lgkmcnt(1)
	v_add_f64 v[4:5], v[4:5], v[8:9]
	ds_bpermute_b32 v7, v11, v3
	ds_bpermute_b32 v8, v11, v4
	ds_bpermute_b32 v9, v11, v5
	s_waitcnt lgkmcnt(2)
	v_add_f64 v[2:3], v[2:3], v[6:7]
	ds_bpermute_b32 v6, v12, v2
	s_waitcnt lgkmcnt(1)
	v_add_f64 v[4:5], v[4:5], v[8:9]
	ds_bpermute_b32 v7, v12, v3
	ds_bpermute_b32 v8, v12, v4
	ds_bpermute_b32 v9, v12, v5
	;; [unrolled: 8-line block ×3, first 2 shown]
	s_waitcnt lgkmcnt(2)
	v_add_f64 v[2:3], v[2:3], v[6:7]
	s_waitcnt lgkmcnt(0)
	v_add_f64 v[4:5], v[4:5], v[8:9]
	s_or_b64 exec, exec, s[0:1]
	v_cmp_eq_u32_e32 vcc, 0, v0
	s_and_saveexec_b64 s[0:1], vcc
	s_cbranch_execz .LBB126_11
.LBB126_14:
	s_lshl_b64 s[0:1], s[2:3], 4
	s_add_u32 s0, s6, s0
	s_addc_u32 s1, s7, s1
	v_mov_b32_e32 v0, 0
	s_waitcnt lgkmcnt(0)
	global_store_dwordx4 v0, v[2:5], s[0:1]
	s_endpgm
	.section	.rodata,"a",@progbits
	.p2align	6, 0x0
	.amdhsa_kernel _ZL26rocblas_dot_kernel_inc1by2ILb1ELi1024ELi32ELb1E19rocblas_complex_numIdEPKS1_S1_EviT4_llS4_lliPT5_PT3_
		.amdhsa_group_segment_fixed_size 1024
		.amdhsa_private_segment_fixed_size 0
		.amdhsa_kernarg_size 80
		.amdhsa_user_sgpr_count 6
		.amdhsa_user_sgpr_private_segment_buffer 1
		.amdhsa_user_sgpr_dispatch_ptr 0
		.amdhsa_user_sgpr_queue_ptr 0
		.amdhsa_user_sgpr_kernarg_segment_ptr 1
		.amdhsa_user_sgpr_dispatch_id 0
		.amdhsa_user_sgpr_flat_scratch_init 0
		.amdhsa_user_sgpr_kernarg_preload_length 0
		.amdhsa_user_sgpr_kernarg_preload_offset 0
		.amdhsa_user_sgpr_private_segment_size 0
		.amdhsa_uses_dynamic_stack 0
		.amdhsa_system_sgpr_private_segment_wavefront_offset 0
		.amdhsa_system_sgpr_workgroup_id_x 1
		.amdhsa_system_sgpr_workgroup_id_y 0
		.amdhsa_system_sgpr_workgroup_id_z 1
		.amdhsa_system_sgpr_workgroup_info 0
		.amdhsa_system_vgpr_workitem_id 0
		.amdhsa_next_free_vgpr 20
		.amdhsa_next_free_sgpr 22
		.amdhsa_accum_offset 20
		.amdhsa_reserve_vcc 1
		.amdhsa_reserve_flat_scratch 0
		.amdhsa_float_round_mode_32 0
		.amdhsa_float_round_mode_16_64 0
		.amdhsa_float_denorm_mode_32 3
		.amdhsa_float_denorm_mode_16_64 3
		.amdhsa_dx10_clamp 1
		.amdhsa_ieee_mode 1
		.amdhsa_fp16_overflow 0
		.amdhsa_tg_split 0
		.amdhsa_exception_fp_ieee_invalid_op 0
		.amdhsa_exception_fp_denorm_src 0
		.amdhsa_exception_fp_ieee_div_zero 0
		.amdhsa_exception_fp_ieee_overflow 0
		.amdhsa_exception_fp_ieee_underflow 0
		.amdhsa_exception_fp_ieee_inexact 0
		.amdhsa_exception_int_div_zero 0
	.end_amdhsa_kernel
	.section	.text._ZL26rocblas_dot_kernel_inc1by2ILb1ELi1024ELi32ELb1E19rocblas_complex_numIdEPKS1_S1_EviT4_llS4_lliPT5_PT3_,"axG",@progbits,_ZL26rocblas_dot_kernel_inc1by2ILb1ELi1024ELi32ELb1E19rocblas_complex_numIdEPKS1_S1_EviT4_llS4_lliPT5_PT3_,comdat
.Lfunc_end126:
	.size	_ZL26rocblas_dot_kernel_inc1by2ILb1ELi1024ELi32ELb1E19rocblas_complex_numIdEPKS1_S1_EviT4_llS4_lliPT5_PT3_, .Lfunc_end126-_ZL26rocblas_dot_kernel_inc1by2ILb1ELi1024ELi32ELb1E19rocblas_complex_numIdEPKS1_S1_EviT4_llS4_lliPT5_PT3_
                                        ; -- End function
	.section	.AMDGPU.csdata,"",@progbits
; Kernel info:
; codeLenInByte = 1364
; NumSgprs: 26
; NumVgprs: 20
; NumAgprs: 0
; TotalNumVgprs: 20
; ScratchSize: 0
; MemoryBound: 0
; FloatMode: 240
; IeeeMode: 1
; LDSByteSize: 1024 bytes/workgroup (compile time only)
; SGPRBlocks: 3
; VGPRBlocks: 2
; NumSGPRsForWavesPerEU: 26
; NumVGPRsForWavesPerEU: 20
; AccumOffset: 20
; Occupancy: 8
; WaveLimiterHint : 0
; COMPUTE_PGM_RSRC2:SCRATCH_EN: 0
; COMPUTE_PGM_RSRC2:USER_SGPR: 6
; COMPUTE_PGM_RSRC2:TRAP_HANDLER: 0
; COMPUTE_PGM_RSRC2:TGID_X_EN: 1
; COMPUTE_PGM_RSRC2:TGID_Y_EN: 0
; COMPUTE_PGM_RSRC2:TGID_Z_EN: 1
; COMPUTE_PGM_RSRC2:TIDIG_COMP_CNT: 0
; COMPUTE_PGM_RSRC3_GFX90A:ACCUM_OFFSET: 4
; COMPUTE_PGM_RSRC3_GFX90A:TG_SPLIT: 0
	.section	.text._ZL18rocblas_dot_kernelIiLb1ELi1024ELi32ELb1E19rocblas_complex_numIdEPKS1_S1_EviT5_lT_lS4_lS5_liPT6_PT4_,"axG",@progbits,_ZL18rocblas_dot_kernelIiLb1ELi1024ELi32ELb1E19rocblas_complex_numIdEPKS1_S1_EviT5_lT_lS4_lS5_liPT6_PT4_,comdat
	.globl	_ZL18rocblas_dot_kernelIiLb1ELi1024ELi32ELb1E19rocblas_complex_numIdEPKS1_S1_EviT5_lT_lS4_lS5_liPT6_PT4_ ; -- Begin function _ZL18rocblas_dot_kernelIiLb1ELi1024ELi32ELb1E19rocblas_complex_numIdEPKS1_S1_EviT5_lT_lS4_lS5_liPT6_PT4_
	.p2align	8
	.type	_ZL18rocblas_dot_kernelIiLb1ELi1024ELi32ELb1E19rocblas_complex_numIdEPKS1_S1_EviT5_lT_lS4_lS5_liPT6_PT4_,@function
_ZL18rocblas_dot_kernelIiLb1ELi1024ELi32ELb1E19rocblas_complex_numIdEPKS1_S1_EviT5_lT_lS4_lS5_liPT6_PT4_: ; @_ZL18rocblas_dot_kernelIiLb1ELi1024ELi32ELb1E19rocblas_complex_numIdEPKS1_S1_EviT5_lT_lS4_lS5_liPT6_PT4_
; %bb.0:
	s_load_dword s14, s[4:5], 0x0
	s_load_dwordx2 s[8:9], s[4:5], 0x58
	v_pk_mov_b32 v[2:3], 0, 0
	s_mov_b32 s6, s7
	s_mov_b32 s7, 0
	s_waitcnt lgkmcnt(0)
	v_cmp_gt_i32_e32 vcc, s14, v0
	v_pk_mov_b32 v[4:5], v[2:3], v[2:3] op_sel:[0,1]
	s_and_saveexec_b64 s[10:11], vcc
	s_cbranch_execz .LBB127_4
; %bb.1:
	s_load_dword s22, s[4:5], 0x38
	s_load_dwordx2 s[12:13], s[4:5], 0x40
	s_load_dword s15, s[4:5], 0x60
	s_load_dwordx4 s[0:3], s[4:5], 0x20
	s_load_dwordx4 s[16:19], s[4:5], 0x8
	s_load_dword s23, s[4:5], 0x18
	s_load_dwordx2 s[20:21], s[4:5], 0x30
	s_waitcnt lgkmcnt(0)
	s_lshl_b32 s15, s15, 10
	s_mul_i32 s1, s1, s6
	s_mul_hi_u32 s4, s0, s6
	s_add_i32 s1, s4, s1
	s_mul_i32 s0, s0, s6
	v_mad_i64_i32 v[2:3], s[4:5], s23, v0, 0
	s_lshl_b64 s[0:1], s[0:1], 4
	s_lshl_b64 s[4:5], s[18:19], 4
	s_add_u32 s4, s16, s4
	s_addc_u32 s5, s17, s5
	s_add_u32 s0, s4, s0
	v_lshlrev_b64 v[2:3], 4, v[2:3]
	s_addc_u32 s1, s5, s1
	v_mov_b32_e32 v4, s1
	v_add_co_u32_e32 v2, vcc, s0, v2
	v_addc_co_u32_e32 v3, vcc, v4, v3, vcc
	s_mul_hi_i32 s1, s23, s15
	s_mul_i32 s0, s23, s15
	v_add_co_u32_e32 v6, vcc, 8, v2
	s_lshl_b64 s[4:5], s[0:1], 4
	s_mul_i32 s0, s13, s6
	s_mul_hi_u32 s1, s12, s6
	v_addc_co_u32_e32 v7, vcc, 0, v3, vcc
	s_add_i32 s1, s1, s0
	s_mul_i32 s0, s12, s6
	v_mad_i64_i32 v[2:3], s[12:13], s22, v0, 0
	s_lshl_b64 s[0:1], s[0:1], 4
	s_lshl_b64 s[12:13], s[20:21], 4
	s_add_u32 s2, s2, s12
	s_addc_u32 s3, s3, s13
	s_add_u32 s0, s2, s0
	v_lshlrev_b64 v[2:3], 4, v[2:3]
	s_addc_u32 s1, s3, s1
	v_mov_b32_e32 v4, s1
	v_add_co_u32_e32 v2, vcc, s0, v2
	v_addc_co_u32_e32 v3, vcc, v4, v3, vcc
	v_add_co_u32_e32 v8, vcc, 8, v2
	s_mul_hi_i32 s1, s22, s15
	s_mul_i32 s0, s22, s15
	v_addc_co_u32_e32 v9, vcc, 0, v3, vcc
	s_lshl_b64 s[12:13], s[0:1], 4
	v_pk_mov_b32 v[2:3], 0, 0
	v_or_b32_e32 v1, s15, v0
	s_mov_b64 s[2:3], 0
	v_mov_b32_e32 v10, s5
	v_mov_b32_e32 v11, s13
	s_mov_b32 s5, s7
	v_pk_mov_b32 v[4:5], v[2:3], v[2:3] op_sel:[0,1]
.LBB127_2:                              ; =>This Inner Loop Header: Depth=1
	global_load_dwordx4 v[12:15], v[8:9], off offset:-8
	global_load_dwordx4 v[16:19], v[6:7], off offset:-8
	v_add_co_u32_e64 v6, s[0:1], s4, v6
	v_addc_co_u32_e64 v7, s[0:1], v7, v10, s[0:1]
	s_add_i32 s13, s5, 1
	v_add_co_u32_e64 v8, s[0:1], s12, v8
	v_addc_co_u32_e64 v9, s[0:1], v9, v11, s[0:1]
	s_cmp_gt_u32 s5, 30
	v_cmp_le_i32_e32 vcc, s14, v1
	s_cselect_b64 s[0:1], -1, 0
	s_or_b64 s[0:1], s[0:1], vcc
	s_and_b64 s[0:1], exec, s[0:1]
	v_add_u32_e32 v1, s15, v1
	s_mov_b32 s5, s13
	s_or_b64 s[2:3], s[0:1], s[2:3]
	s_waitcnt vmcnt(0)
	v_mul_f64 v[20:21], v[14:15], v[18:19]
	v_mul_f64 v[18:19], v[12:13], v[18:19]
	v_fmac_f64_e32 v[20:21], v[12:13], v[16:17]
	v_fma_f64 v[12:13], v[14:15], v[16:17], -v[18:19]
	v_add_f64 v[4:5], v[4:5], v[20:21]
	v_add_f64 v[2:3], v[2:3], v[12:13]
	s_andn2_b64 exec, exec, s[2:3]
	s_cbranch_execnz .LBB127_2
; %bb.3:
	s_or_b64 exec, exec, s[2:3]
.LBB127_4:
	s_or_b64 exec, exec, s[10:11]
	v_and_b32_e32 v13, 63, v0
	v_cmp_gt_u32_e32 vcc, 64, v0
	v_lshlrev_b32_e32 v1, 4, v13
	s_and_saveexec_b64 s[0:1], vcc
	s_cbranch_execz .LBB127_6
; %bb.5:
	v_mov_b32_e32 v6, 0
	v_mov_b32_e32 v7, v6
	;; [unrolled: 1-line block ×4, first 2 shown]
	ds_write_b128 v1, v[6:9]
.LBB127_6:
	s_or_b64 exec, exec, s[0:1]
	v_mbcnt_lo_u32_b32 v6, -1, 0
	v_mbcnt_hi_u32_b32 v14, -1, v6
	v_and_b32_e32 v15, 63, v14
	v_cmp_gt_u32_e64 s[0:1], 32, v15
	v_cndmask_b32_e64 v6, 0, 1, s[0:1]
	v_lshlrev_b32_e32 v6, 5, v6
	v_add_lshl_u32 v9, v6, v14, 2
	ds_bpermute_b32 v6, v9, v4
	ds_bpermute_b32 v7, v9, v5
	;; [unrolled: 1-line block ×4, first 2 shown]
	v_cmp_gt_u32_e64 s[0:1], 48, v15
	s_waitcnt lgkmcnt(0)
	v_add_f64 v[4:5], v[4:5], v[6:7]
	v_cndmask_b32_e64 v6, 0, 1, s[0:1]
	v_lshlrev_b32_e32 v6, 4, v6
	v_add_f64 v[2:3], v[2:3], v[8:9]
	v_add_lshl_u32 v9, v6, v14, 2
	ds_bpermute_b32 v6, v9, v4
	ds_bpermute_b32 v7, v9, v5
	;; [unrolled: 1-line block ×4, first 2 shown]
	v_cmp_gt_u32_e64 s[0:1], 56, v15
	s_barrier
	s_waitcnt lgkmcnt(2)
	v_add_f64 v[4:5], v[4:5], v[6:7]
	v_cndmask_b32_e64 v6, 0, 1, s[0:1]
	v_lshlrev_b32_e32 v6, 3, v6
	v_add_lshl_u32 v10, v6, v14, 2
	ds_bpermute_b32 v6, v10, v4
	ds_bpermute_b32 v7, v10, v5
	s_waitcnt lgkmcnt(2)
	v_add_f64 v[2:3], v[2:3], v[8:9]
	ds_bpermute_b32 v8, v10, v2
	ds_bpermute_b32 v9, v10, v3
	v_cmp_gt_u32_e64 s[0:1], 60, v15
	s_waitcnt lgkmcnt(2)
	v_add_f64 v[4:5], v[4:5], v[6:7]
	v_cndmask_b32_e64 v6, 0, 1, s[0:1]
	v_lshlrev_b32_e32 v6, 2, v6
	s_waitcnt lgkmcnt(0)
	v_add_f64 v[2:3], v[2:3], v[8:9]
	v_add_lshl_u32 v11, v6, v14, 2
	ds_bpermute_b32 v6, v11, v4
	ds_bpermute_b32 v7, v11, v5
	ds_bpermute_b32 v8, v11, v2
	ds_bpermute_b32 v9, v11, v3
	v_cmp_gt_u32_e64 s[0:1], 62, v15
	s_waitcnt lgkmcnt(0)
	v_add_f64 v[4:5], v[4:5], v[6:7]
	v_add_f64 v[6:7], v[2:3], v[8:9]
	v_cndmask_b32_e64 v2, 0, 1, s[0:1]
	v_lshlrev_b32_e32 v2, 1, v2
	v_add_lshl_u32 v12, v2, v14, 2
	ds_bpermute_b32 v2, v12, v4
	ds_bpermute_b32 v3, v12, v5
	;; [unrolled: 1-line block ×4, first 2 shown]
	v_cmp_ne_u32_e64 s[0:1], 63, v15
	s_waitcnt lgkmcnt(2)
	v_add_f64 v[2:3], v[4:5], v[2:3]
	v_addc_co_u32_e64 v4, s[0:1], 0, v14, s[0:1]
	s_waitcnt lgkmcnt(0)
	v_add_f64 v[6:7], v[6:7], v[8:9]
	v_lshlrev_b32_e32 v14, 2, v4
	ds_bpermute_b32 v4, v14, v2
	ds_bpermute_b32 v5, v14, v3
	;; [unrolled: 1-line block ×4, first 2 shown]
	v_cmp_eq_u32_e64 s[0:1], 0, v13
	s_and_saveexec_b64 s[2:3], s[0:1]
	s_cbranch_execz .LBB127_8
; %bb.7:
	v_lshrrev_b32_e32 v13, 2, v0
	v_and_b32_e32 v13, 0xf0, v13
	s_waitcnt lgkmcnt(0)
	v_add_f64 v[6:7], v[6:7], v[8:9]
	v_add_f64 v[4:5], v[2:3], v[4:5]
	ds_write_b128 v13, v[4:7]
.LBB127_8:
	s_or_b64 exec, exec, s[2:3]
	s_waitcnt lgkmcnt(2)
	v_pk_mov_b32 v[4:5], 0, 0
	v_cmp_gt_u32_e64 s[0:1], 16, v0
	v_pk_mov_b32 v[2:3], v[4:5], v[4:5] op_sel:[0,1]
	s_waitcnt lgkmcnt(0)
	s_barrier
	s_and_saveexec_b64 s[2:3], s[0:1]
	s_cbranch_execnz .LBB127_12
; %bb.9:
	s_or_b64 exec, exec, s[2:3]
	s_and_saveexec_b64 s[0:1], vcc
	s_cbranch_execnz .LBB127_13
.LBB127_10:
	s_or_b64 exec, exec, s[0:1]
	v_cmp_eq_u32_e32 vcc, 0, v0
	s_and_saveexec_b64 s[0:1], vcc
	s_cbranch_execnz .LBB127_14
.LBB127_11:
	s_endpgm
.LBB127_12:
	ds_read_b128 v[2:5], v1
	s_or_b64 exec, exec, s[2:3]
	s_and_saveexec_b64 s[0:1], vcc
	s_cbranch_execz .LBB127_10
.LBB127_13:
	s_waitcnt lgkmcnt(0)
	ds_bpermute_b32 v6, v10, v2
	ds_bpermute_b32 v7, v10, v3
	;; [unrolled: 1-line block ×4, first 2 shown]
	s_waitcnt lgkmcnt(2)
	v_add_f64 v[2:3], v[2:3], v[6:7]
	ds_bpermute_b32 v6, v11, v2
	s_waitcnt lgkmcnt(1)
	v_add_f64 v[4:5], v[4:5], v[8:9]
	ds_bpermute_b32 v7, v11, v3
	ds_bpermute_b32 v8, v11, v4
	ds_bpermute_b32 v9, v11, v5
	s_waitcnt lgkmcnt(2)
	v_add_f64 v[2:3], v[2:3], v[6:7]
	ds_bpermute_b32 v6, v12, v2
	s_waitcnt lgkmcnt(1)
	v_add_f64 v[4:5], v[4:5], v[8:9]
	ds_bpermute_b32 v7, v12, v3
	ds_bpermute_b32 v8, v12, v4
	ds_bpermute_b32 v9, v12, v5
	;; [unrolled: 8-line block ×3, first 2 shown]
	s_waitcnt lgkmcnt(2)
	v_add_f64 v[2:3], v[2:3], v[6:7]
	s_waitcnt lgkmcnt(0)
	v_add_f64 v[4:5], v[4:5], v[8:9]
	s_or_b64 exec, exec, s[0:1]
	v_cmp_eq_u32_e32 vcc, 0, v0
	s_and_saveexec_b64 s[0:1], vcc
	s_cbranch_execz .LBB127_11
.LBB127_14:
	s_lshl_b64 s[0:1], s[6:7], 4
	s_add_u32 s0, s8, s0
	s_addc_u32 s1, s9, s1
	v_mov_b32_e32 v0, 0
	s_waitcnt lgkmcnt(0)
	global_store_dwordx4 v0, v[2:5], s[0:1]
	s_endpgm
	.section	.rodata,"a",@progbits
	.p2align	6, 0x0
	.amdhsa_kernel _ZL18rocblas_dot_kernelIiLb1ELi1024ELi32ELb1E19rocblas_complex_numIdEPKS1_S1_EviT5_lT_lS4_lS5_liPT6_PT4_
		.amdhsa_group_segment_fixed_size 1024
		.amdhsa_private_segment_fixed_size 0
		.amdhsa_kernarg_size 352
		.amdhsa_user_sgpr_count 6
		.amdhsa_user_sgpr_private_segment_buffer 1
		.amdhsa_user_sgpr_dispatch_ptr 0
		.amdhsa_user_sgpr_queue_ptr 0
		.amdhsa_user_sgpr_kernarg_segment_ptr 1
		.amdhsa_user_sgpr_dispatch_id 0
		.amdhsa_user_sgpr_flat_scratch_init 0
		.amdhsa_user_sgpr_kernarg_preload_length 0
		.amdhsa_user_sgpr_kernarg_preload_offset 0
		.amdhsa_user_sgpr_private_segment_size 0
		.amdhsa_uses_dynamic_stack 0
		.amdhsa_system_sgpr_private_segment_wavefront_offset 0
		.amdhsa_system_sgpr_workgroup_id_x 1
		.amdhsa_system_sgpr_workgroup_id_y 0
		.amdhsa_system_sgpr_workgroup_id_z 1
		.amdhsa_system_sgpr_workgroup_info 0
		.amdhsa_system_vgpr_workitem_id 0
		.amdhsa_next_free_vgpr 22
		.amdhsa_next_free_sgpr 24
		.amdhsa_accum_offset 24
		.amdhsa_reserve_vcc 1
		.amdhsa_reserve_flat_scratch 0
		.amdhsa_float_round_mode_32 0
		.amdhsa_float_round_mode_16_64 0
		.amdhsa_float_denorm_mode_32 3
		.amdhsa_float_denorm_mode_16_64 3
		.amdhsa_dx10_clamp 1
		.amdhsa_ieee_mode 1
		.amdhsa_fp16_overflow 0
		.amdhsa_tg_split 0
		.amdhsa_exception_fp_ieee_invalid_op 0
		.amdhsa_exception_fp_denorm_src 0
		.amdhsa_exception_fp_ieee_div_zero 0
		.amdhsa_exception_fp_ieee_overflow 0
		.amdhsa_exception_fp_ieee_underflow 0
		.amdhsa_exception_fp_ieee_inexact 0
		.amdhsa_exception_int_div_zero 0
	.end_amdhsa_kernel
	.section	.text._ZL18rocblas_dot_kernelIiLb1ELi1024ELi32ELb1E19rocblas_complex_numIdEPKS1_S1_EviT5_lT_lS4_lS5_liPT6_PT4_,"axG",@progbits,_ZL18rocblas_dot_kernelIiLb1ELi1024ELi32ELb1E19rocblas_complex_numIdEPKS1_S1_EviT5_lT_lS4_lS5_liPT6_PT4_,comdat
.Lfunc_end127:
	.size	_ZL18rocblas_dot_kernelIiLb1ELi1024ELi32ELb1E19rocblas_complex_numIdEPKS1_S1_EviT5_lT_lS4_lS5_liPT6_PT4_, .Lfunc_end127-_ZL18rocblas_dot_kernelIiLb1ELi1024ELi32ELb1E19rocblas_complex_numIdEPKS1_S1_EviT5_lT_lS4_lS5_liPT6_PT4_
                                        ; -- End function
	.section	.AMDGPU.csdata,"",@progbits
; Kernel info:
; codeLenInByte = 1448
; NumSgprs: 28
; NumVgprs: 22
; NumAgprs: 0
; TotalNumVgprs: 22
; ScratchSize: 0
; MemoryBound: 0
; FloatMode: 240
; IeeeMode: 1
; LDSByteSize: 1024 bytes/workgroup (compile time only)
; SGPRBlocks: 3
; VGPRBlocks: 2
; NumSGPRsForWavesPerEU: 28
; NumVGPRsForWavesPerEU: 22
; AccumOffset: 24
; Occupancy: 8
; WaveLimiterHint : 0
; COMPUTE_PGM_RSRC2:SCRATCH_EN: 0
; COMPUTE_PGM_RSRC2:USER_SGPR: 6
; COMPUTE_PGM_RSRC2:TRAP_HANDLER: 0
; COMPUTE_PGM_RSRC2:TGID_X_EN: 1
; COMPUTE_PGM_RSRC2:TGID_Y_EN: 0
; COMPUTE_PGM_RSRC2:TGID_Z_EN: 1
; COMPUTE_PGM_RSRC2:TIDIG_COMP_CNT: 0
; COMPUTE_PGM_RSRC3_GFX90A:ACCUM_OFFSET: 5
; COMPUTE_PGM_RSRC3_GFX90A:TG_SPLIT: 0
	.section	.text._ZL24rocblas_dot_kernel_magsqIiLb1ELi1024ELi32ELb1E19rocblas_complex_numIdEPKS1_S1_EviT5_lT_liPT6_PT4_,"axG",@progbits,_ZL24rocblas_dot_kernel_magsqIiLb1ELi1024ELi32ELb1E19rocblas_complex_numIdEPKS1_S1_EviT5_lT_liPT6_PT4_,comdat
	.globl	_ZL24rocblas_dot_kernel_magsqIiLb1ELi1024ELi32ELb1E19rocblas_complex_numIdEPKS1_S1_EviT5_lT_liPT6_PT4_ ; -- Begin function _ZL24rocblas_dot_kernel_magsqIiLb1ELi1024ELi32ELb1E19rocblas_complex_numIdEPKS1_S1_EviT5_lT_liPT6_PT4_
	.p2align	8
	.type	_ZL24rocblas_dot_kernel_magsqIiLb1ELi1024ELi32ELb1E19rocblas_complex_numIdEPKS1_S1_EviT5_lT_liPT6_PT4_,@function
_ZL24rocblas_dot_kernel_magsqIiLb1ELi1024ELi32ELb1E19rocblas_complex_numIdEPKS1_S1_EviT5_lT_liPT6_PT4_: ; @_ZL24rocblas_dot_kernel_magsqIiLb1ELi1024ELi32ELb1E19rocblas_complex_numIdEPKS1_S1_EviT5_lT_liPT6_PT4_
; %bb.0:
	s_mov_b32 s2, s7
	s_load_dword s12, s[4:5], 0x0
	s_load_dwordx2 s[6:7], s[4:5], 0x38
	v_pk_mov_b32 v[2:3], 0, 0
	s_mov_b32 s3, 0
	v_pk_mov_b32 v[4:5], v[2:3], v[2:3] op_sel:[0,1]
	s_waitcnt lgkmcnt(0)
	v_cmp_gt_i32_e32 vcc, s12, v0
	s_and_saveexec_b64 s[8:9], vcc
	s_cbranch_execz .LBB128_4
; %bb.1:
	s_load_dword s10, s[4:5], 0x40
	s_load_dwordx2 s[0:1], s[4:5], 0x20
	s_load_dwordx4 s[16:19], s[4:5], 0x8
	s_load_dword s11, s[4:5], 0x18
	s_waitcnt lgkmcnt(0)
	s_lshl_b32 s13, s10, 10
	s_mul_i32 s1, s1, s2
	s_mul_hi_u32 s4, s0, s2
	s_add_i32 s1, s4, s1
	s_mul_i32 s0, s0, s2
	v_mad_i64_i32 v[2:3], s[4:5], s11, v0, 0
	s_lshl_b64 s[0:1], s[0:1], 4
	s_lshl_b64 s[4:5], s[18:19], 4
	s_add_u32 s4, s16, s4
	s_addc_u32 s5, s17, s5
	s_add_u32 s0, s4, s0
	v_lshlrev_b64 v[2:3], 4, v[2:3]
	s_addc_u32 s1, s5, s1
	v_mov_b32_e32 v4, s1
	v_add_co_u32_e32 v6, vcc, s0, v2
	s_mul_hi_i32 s1, s11, s13
	s_mul_i32 s0, s11, s13
	v_addc_co_u32_e32 v7, vcc, v4, v3, vcc
	s_lshl_b64 s[10:11], s[0:1], 4
	v_pk_mov_b32 v[2:3], 0, 0
	v_or_b32_e32 v1, s13, v0
	s_mov_b64 s[4:5], 0
	v_mov_b32_e32 v8, s11
	s_mov_b32 s11, s3
	v_pk_mov_b32 v[4:5], v[2:3], v[2:3] op_sel:[0,1]
.LBB128_2:                              ; =>This Inner Loop Header: Depth=1
	global_load_dwordx4 v[10:13], v[6:7], off
	s_add_i32 s14, s11, 1
	v_add_co_u32_e64 v6, s[0:1], s10, v6
	v_addc_co_u32_e64 v7, s[0:1], v7, v8, s[0:1]
	s_cmp_gt_u32 s11, 30
	v_cmp_le_i32_e32 vcc, s12, v1
	s_cselect_b64 s[0:1], -1, 0
	s_or_b64 s[0:1], s[0:1], vcc
	s_and_b64 s[0:1], exec, s[0:1]
	v_add_u32_e32 v1, s13, v1
	s_mov_b32 s11, s14
	s_or_b64 s[4:5], s[0:1], s[4:5]
	s_waitcnt vmcnt(0)
	v_mul_f64 v[14:15], v[12:13], v[12:13]
	v_mul_f64 v[16:17], v[10:11], v[12:13]
	v_fmac_f64_e32 v[14:15], v[10:11], v[10:11]
	v_fma_f64 v[10:11], v[10:11], v[12:13], -v[16:17]
	v_add_f64 v[4:5], v[4:5], v[14:15]
	v_add_f64 v[2:3], v[2:3], v[10:11]
	s_andn2_b64 exec, exec, s[4:5]
	s_cbranch_execnz .LBB128_2
; %bb.3:
	s_or_b64 exec, exec, s[4:5]
.LBB128_4:
	s_or_b64 exec, exec, s[8:9]
	v_and_b32_e32 v13, 63, v0
	v_cmp_gt_u32_e32 vcc, 64, v0
	v_lshlrev_b32_e32 v1, 4, v13
	s_and_saveexec_b64 s[0:1], vcc
	s_cbranch_execz .LBB128_6
; %bb.5:
	v_mov_b32_e32 v6, 0
	v_mov_b32_e32 v7, v6
	v_mov_b32_e32 v8, v6
	v_mov_b32_e32 v9, v6
	ds_write_b128 v1, v[6:9]
.LBB128_6:
	s_or_b64 exec, exec, s[0:1]
	v_mbcnt_lo_u32_b32 v6, -1, 0
	v_mbcnt_hi_u32_b32 v14, -1, v6
	v_and_b32_e32 v15, 63, v14
	v_cmp_gt_u32_e64 s[0:1], 32, v15
	v_cndmask_b32_e64 v6, 0, 1, s[0:1]
	v_lshlrev_b32_e32 v6, 5, v6
	v_add_lshl_u32 v9, v6, v14, 2
	ds_bpermute_b32 v6, v9, v4
	ds_bpermute_b32 v7, v9, v5
	;; [unrolled: 1-line block ×4, first 2 shown]
	v_cmp_gt_u32_e64 s[0:1], 48, v15
	s_waitcnt lgkmcnt(0)
	v_add_f64 v[4:5], v[4:5], v[6:7]
	v_cndmask_b32_e64 v6, 0, 1, s[0:1]
	v_lshlrev_b32_e32 v6, 4, v6
	v_add_f64 v[2:3], v[2:3], v[8:9]
	v_add_lshl_u32 v9, v6, v14, 2
	ds_bpermute_b32 v6, v9, v4
	ds_bpermute_b32 v7, v9, v5
	;; [unrolled: 1-line block ×4, first 2 shown]
	v_cmp_gt_u32_e64 s[0:1], 56, v15
	s_barrier
	s_waitcnt lgkmcnt(2)
	v_add_f64 v[4:5], v[4:5], v[6:7]
	v_cndmask_b32_e64 v6, 0, 1, s[0:1]
	v_lshlrev_b32_e32 v6, 3, v6
	v_add_lshl_u32 v10, v6, v14, 2
	ds_bpermute_b32 v6, v10, v4
	ds_bpermute_b32 v7, v10, v5
	s_waitcnt lgkmcnt(2)
	v_add_f64 v[2:3], v[2:3], v[8:9]
	ds_bpermute_b32 v8, v10, v2
	ds_bpermute_b32 v9, v10, v3
	v_cmp_gt_u32_e64 s[0:1], 60, v15
	s_waitcnt lgkmcnt(2)
	v_add_f64 v[4:5], v[4:5], v[6:7]
	v_cndmask_b32_e64 v6, 0, 1, s[0:1]
	v_lshlrev_b32_e32 v6, 2, v6
	s_waitcnt lgkmcnt(0)
	v_add_f64 v[2:3], v[2:3], v[8:9]
	v_add_lshl_u32 v11, v6, v14, 2
	ds_bpermute_b32 v6, v11, v4
	ds_bpermute_b32 v7, v11, v5
	;; [unrolled: 1-line block ×4, first 2 shown]
	v_cmp_gt_u32_e64 s[0:1], 62, v15
	s_waitcnt lgkmcnt(0)
	v_add_f64 v[4:5], v[4:5], v[6:7]
	v_add_f64 v[6:7], v[2:3], v[8:9]
	v_cndmask_b32_e64 v2, 0, 1, s[0:1]
	v_lshlrev_b32_e32 v2, 1, v2
	v_add_lshl_u32 v12, v2, v14, 2
	ds_bpermute_b32 v2, v12, v4
	ds_bpermute_b32 v3, v12, v5
	;; [unrolled: 1-line block ×4, first 2 shown]
	v_cmp_ne_u32_e64 s[0:1], 63, v15
	s_waitcnt lgkmcnt(2)
	v_add_f64 v[2:3], v[4:5], v[2:3]
	v_addc_co_u32_e64 v4, s[0:1], 0, v14, s[0:1]
	s_waitcnt lgkmcnt(0)
	v_add_f64 v[6:7], v[6:7], v[8:9]
	v_lshlrev_b32_e32 v14, 2, v4
	ds_bpermute_b32 v4, v14, v2
	ds_bpermute_b32 v5, v14, v3
	;; [unrolled: 1-line block ×4, first 2 shown]
	v_cmp_eq_u32_e64 s[0:1], 0, v13
	s_and_saveexec_b64 s[4:5], s[0:1]
	s_cbranch_execz .LBB128_8
; %bb.7:
	v_lshrrev_b32_e32 v13, 2, v0
	v_and_b32_e32 v13, 0xf0, v13
	s_waitcnt lgkmcnt(0)
	v_add_f64 v[6:7], v[6:7], v[8:9]
	v_add_f64 v[4:5], v[2:3], v[4:5]
	ds_write_b128 v13, v[4:7]
.LBB128_8:
	s_or_b64 exec, exec, s[4:5]
	s_waitcnt lgkmcnt(2)
	v_pk_mov_b32 v[4:5], 0, 0
	v_cmp_gt_u32_e64 s[0:1], 16, v0
	v_pk_mov_b32 v[2:3], v[4:5], v[4:5] op_sel:[0,1]
	s_waitcnt lgkmcnt(0)
	s_barrier
	s_and_saveexec_b64 s[4:5], s[0:1]
	s_cbranch_execnz .LBB128_12
; %bb.9:
	s_or_b64 exec, exec, s[4:5]
	s_and_saveexec_b64 s[0:1], vcc
	s_cbranch_execnz .LBB128_13
.LBB128_10:
	s_or_b64 exec, exec, s[0:1]
	v_cmp_eq_u32_e32 vcc, 0, v0
	s_and_saveexec_b64 s[0:1], vcc
	s_cbranch_execnz .LBB128_14
.LBB128_11:
	s_endpgm
.LBB128_12:
	ds_read_b128 v[2:5], v1
	s_or_b64 exec, exec, s[4:5]
	s_and_saveexec_b64 s[0:1], vcc
	s_cbranch_execz .LBB128_10
.LBB128_13:
	s_waitcnt lgkmcnt(0)
	ds_bpermute_b32 v6, v10, v2
	ds_bpermute_b32 v7, v10, v3
	;; [unrolled: 1-line block ×4, first 2 shown]
	s_waitcnt lgkmcnt(2)
	v_add_f64 v[2:3], v[2:3], v[6:7]
	ds_bpermute_b32 v6, v11, v2
	s_waitcnt lgkmcnt(1)
	v_add_f64 v[4:5], v[4:5], v[8:9]
	ds_bpermute_b32 v7, v11, v3
	ds_bpermute_b32 v8, v11, v4
	ds_bpermute_b32 v9, v11, v5
	s_waitcnt lgkmcnt(2)
	v_add_f64 v[2:3], v[2:3], v[6:7]
	ds_bpermute_b32 v6, v12, v2
	s_waitcnt lgkmcnt(1)
	v_add_f64 v[4:5], v[4:5], v[8:9]
	ds_bpermute_b32 v7, v12, v3
	ds_bpermute_b32 v8, v12, v4
	ds_bpermute_b32 v9, v12, v5
	;; [unrolled: 8-line block ×3, first 2 shown]
	s_waitcnt lgkmcnt(2)
	v_add_f64 v[2:3], v[2:3], v[6:7]
	s_waitcnt lgkmcnt(0)
	v_add_f64 v[4:5], v[4:5], v[8:9]
	s_or_b64 exec, exec, s[0:1]
	v_cmp_eq_u32_e32 vcc, 0, v0
	s_and_saveexec_b64 s[0:1], vcc
	s_cbranch_execz .LBB128_11
.LBB128_14:
	s_lshl_b64 s[0:1], s[2:3], 4
	s_add_u32 s0, s6, s0
	s_addc_u32 s1, s7, s1
	v_mov_b32_e32 v0, 0
	s_waitcnt lgkmcnt(0)
	global_store_dwordx4 v0, v[2:5], s[0:1]
	s_endpgm
	.section	.rodata,"a",@progbits
	.p2align	6, 0x0
	.amdhsa_kernel _ZL24rocblas_dot_kernel_magsqIiLb1ELi1024ELi32ELb1E19rocblas_complex_numIdEPKS1_S1_EviT5_lT_liPT6_PT4_
		.amdhsa_group_segment_fixed_size 1024
		.amdhsa_private_segment_fixed_size 0
		.amdhsa_kernarg_size 320
		.amdhsa_user_sgpr_count 6
		.amdhsa_user_sgpr_private_segment_buffer 1
		.amdhsa_user_sgpr_dispatch_ptr 0
		.amdhsa_user_sgpr_queue_ptr 0
		.amdhsa_user_sgpr_kernarg_segment_ptr 1
		.amdhsa_user_sgpr_dispatch_id 0
		.amdhsa_user_sgpr_flat_scratch_init 0
		.amdhsa_user_sgpr_kernarg_preload_length 0
		.amdhsa_user_sgpr_kernarg_preload_offset 0
		.amdhsa_user_sgpr_private_segment_size 0
		.amdhsa_uses_dynamic_stack 0
		.amdhsa_system_sgpr_private_segment_wavefront_offset 0
		.amdhsa_system_sgpr_workgroup_id_x 1
		.amdhsa_system_sgpr_workgroup_id_y 0
		.amdhsa_system_sgpr_workgroup_id_z 1
		.amdhsa_system_sgpr_workgroup_info 0
		.amdhsa_system_vgpr_workitem_id 0
		.amdhsa_next_free_vgpr 18
		.amdhsa_next_free_sgpr 20
		.amdhsa_accum_offset 20
		.amdhsa_reserve_vcc 1
		.amdhsa_reserve_flat_scratch 0
		.amdhsa_float_round_mode_32 0
		.amdhsa_float_round_mode_16_64 0
		.amdhsa_float_denorm_mode_32 3
		.amdhsa_float_denorm_mode_16_64 3
		.amdhsa_dx10_clamp 1
		.amdhsa_ieee_mode 1
		.amdhsa_fp16_overflow 0
		.amdhsa_tg_split 0
		.amdhsa_exception_fp_ieee_invalid_op 0
		.amdhsa_exception_fp_denorm_src 0
		.amdhsa_exception_fp_ieee_div_zero 0
		.amdhsa_exception_fp_ieee_overflow 0
		.amdhsa_exception_fp_ieee_underflow 0
		.amdhsa_exception_fp_ieee_inexact 0
		.amdhsa_exception_int_div_zero 0
	.end_amdhsa_kernel
	.section	.text._ZL24rocblas_dot_kernel_magsqIiLb1ELi1024ELi32ELb1E19rocblas_complex_numIdEPKS1_S1_EviT5_lT_liPT6_PT4_,"axG",@progbits,_ZL24rocblas_dot_kernel_magsqIiLb1ELi1024ELi32ELb1E19rocblas_complex_numIdEPKS1_S1_EviT5_lT_liPT6_PT4_,comdat
.Lfunc_end128:
	.size	_ZL24rocblas_dot_kernel_magsqIiLb1ELi1024ELi32ELb1E19rocblas_complex_numIdEPKS1_S1_EviT5_lT_liPT6_PT4_, .Lfunc_end128-_ZL24rocblas_dot_kernel_magsqIiLb1ELi1024ELi32ELb1E19rocblas_complex_numIdEPKS1_S1_EviT5_lT_liPT6_PT4_
                                        ; -- End function
	.section	.AMDGPU.csdata,"",@progbits
; Kernel info:
; codeLenInByte = 1300
; NumSgprs: 24
; NumVgprs: 18
; NumAgprs: 0
; TotalNumVgprs: 18
; ScratchSize: 0
; MemoryBound: 0
; FloatMode: 240
; IeeeMode: 1
; LDSByteSize: 1024 bytes/workgroup (compile time only)
; SGPRBlocks: 2
; VGPRBlocks: 2
; NumSGPRsForWavesPerEU: 24
; NumVGPRsForWavesPerEU: 18
; AccumOffset: 20
; Occupancy: 8
; WaveLimiterHint : 0
; COMPUTE_PGM_RSRC2:SCRATCH_EN: 0
; COMPUTE_PGM_RSRC2:USER_SGPR: 6
; COMPUTE_PGM_RSRC2:TRAP_HANDLER: 0
; COMPUTE_PGM_RSRC2:TGID_X_EN: 1
; COMPUTE_PGM_RSRC2:TGID_Y_EN: 0
; COMPUTE_PGM_RSRC2:TGID_Z_EN: 1
; COMPUTE_PGM_RSRC2:TIDIG_COMP_CNT: 0
; COMPUTE_PGM_RSRC3_GFX90A:ACCUM_OFFSET: 4
; COMPUTE_PGM_RSRC3_GFX90A:TG_SPLIT: 0
	.section	.text._ZL23rocblas_dot_kernel_inc1ILb0ELi512ELi2ELb1E19rocblas_complex_numIdEPKS1_S1_EviT4_llS4_lliPT5_PT3_,"axG",@progbits,_ZL23rocblas_dot_kernel_inc1ILb0ELi512ELi2ELb1E19rocblas_complex_numIdEPKS1_S1_EviT4_llS4_lliPT5_PT3_,comdat
	.globl	_ZL23rocblas_dot_kernel_inc1ILb0ELi512ELi2ELb1E19rocblas_complex_numIdEPKS1_S1_EviT4_llS4_lliPT5_PT3_ ; -- Begin function _ZL23rocblas_dot_kernel_inc1ILb0ELi512ELi2ELb1E19rocblas_complex_numIdEPKS1_S1_EviT4_llS4_lliPT5_PT3_
	.p2align	8
	.type	_ZL23rocblas_dot_kernel_inc1ILb0ELi512ELi2ELb1E19rocblas_complex_numIdEPKS1_S1_EviT4_llS4_lliPT5_PT3_,@function
_ZL23rocblas_dot_kernel_inc1ILb0ELi512ELi2ELb1E19rocblas_complex_numIdEPKS1_S1_EviT4_llS4_lliPT5_PT3_: ; @_ZL23rocblas_dot_kernel_inc1ILb0ELi512ELi2ELb1E19rocblas_complex_numIdEPKS1_S1_EviT4_llS4_lliPT5_PT3_
; %bb.0:
	s_mov_b32 s2, s7
	s_load_dword s7, s[4:5], 0x0
	s_load_dword s10, s[4:5], 0x50
	v_lshl_or_b32 v6, s6, 9, v0
	v_pk_mov_b32 v[4:5], 0, 0
	s_mov_b32 s3, 0
	s_waitcnt lgkmcnt(0)
	v_cmp_gt_i32_e32 vcc, s7, v6
	v_pk_mov_b32 v[2:3], v[4:5], v[4:5] op_sel:[0,1]
	s_and_saveexec_b64 s[0:1], vcc
	s_cbranch_execz .LBB129_4
; %bb.1:
	s_load_dwordx4 s[12:15], s[4:5], 0x10
	s_load_dwordx2 s[8:9], s[4:5], 0x8
	s_load_dwordx2 s[20:21], s[4:5], 0x20
	s_load_dwordx4 s[16:19], s[4:5], 0x28
	v_ashrrev_i32_e32 v7, 31, v6
	s_waitcnt lgkmcnt(0)
	s_mul_i32 s11, s2, s15
	s_mul_hi_u32 s15, s2, s14
	s_add_i32 s15, s15, s11
	s_mul_i32 s14, s2, s14
	s_lshl_b64 s[14:15], s[14:15], 4
	s_add_u32 s11, s8, s14
	s_addc_u32 s14, s9, s15
	s_lshl_b64 s[8:9], s[12:13], 4
	s_add_u32 s11, s11, s8
	s_addc_u32 s12, s14, s9
	s_mul_i32 s8, s2, s19
	s_mul_hi_u32 s9, s2, s18
	s_add_i32 s9, s9, s8
	s_mul_i32 s8, s2, s18
	s_lshl_b64 s[8:9], s[8:9], 4
	s_add_u32 s13, s20, s8
	s_addc_u32 s14, s21, s9
	s_lshl_b64 s[8:9], s[16:17], 4
	s_add_u32 s13, s13, s8
	s_addc_u32 s14, s14, s9
	v_lshlrev_b64 v[2:3], 4, v[6:7]
	v_mov_b32_e32 v1, s14
	v_add_co_u32_e32 v6, vcc, s13, v2
	v_addc_co_u32_e32 v7, vcc, v1, v3, vcc
	v_mov_b32_e32 v1, s12
	v_add_co_u32_e32 v12, vcc, s11, v2
	v_addc_co_u32_e32 v13, vcc, v1, v3, vcc
	global_load_dwordx4 v[2:5], v[12:13], off
	global_load_dwordx4 v[8:11], v[6:7], off
	s_add_i32 s8, s6, s10
	v_lshl_or_b32 v6, s8, 9, v0
	v_cmp_gt_i32_e32 vcc, s7, v6
	s_waitcnt vmcnt(0)
	v_mul_f64 v[12:13], v[10:11], v[4:5]
	v_mul_f64 v[4:5], v[8:9], v[4:5]
	v_fmac_f64_e32 v[12:13], v[8:9], v[2:3]
	v_fma_f64 v[2:3], v[10:11], v[2:3], -v[4:5]
	v_add_f64 v[4:5], v[12:13], 0
	v_add_f64 v[2:3], v[2:3], 0
	s_and_saveexec_b64 s[8:9], vcc
	s_cbranch_execz .LBB129_3
; %bb.2:
	v_ashrrev_i32_e32 v7, 31, v6
	v_lshlrev_b64 v[10:11], 4, v[6:7]
	v_mov_b32_e32 v1, s14
	v_add_co_u32_e32 v6, vcc, s13, v10
	v_addc_co_u32_e32 v7, vcc, v1, v11, vcc
	v_mov_b32_e32 v1, s12
	v_add_co_u32_e32 v10, vcc, s11, v10
	v_addc_co_u32_e32 v11, vcc, v1, v11, vcc
	global_load_dwordx4 v[6:9], v[6:7], off
	s_nop 0
	global_load_dwordx4 v[10:13], v[10:11], off
	s_waitcnt vmcnt(0)
	v_mul_f64 v[14:15], v[6:7], v[12:13]
	v_mul_f64 v[12:13], v[8:9], v[12:13]
	v_fma_f64 v[8:9], v[8:9], v[10:11], -v[14:15]
	v_fmac_f64_e32 v[12:13], v[6:7], v[10:11]
	v_add_f64 v[2:3], v[2:3], v[8:9]
	v_add_f64 v[4:5], v[4:5], v[12:13]
.LBB129_3:
	s_or_b64 exec, exec, s[8:9]
.LBB129_4:
	s_or_b64 exec, exec, s[0:1]
	v_and_b32_e32 v10, 63, v0
	v_cmp_gt_u32_e32 vcc, 64, v0
	v_lshlrev_b32_e32 v1, 4, v10
	s_and_saveexec_b64 s[0:1], vcc
	s_cbranch_execz .LBB129_6
; %bb.5:
	v_mov_b32_e32 v6, 0
	v_mov_b32_e32 v7, v6
	;; [unrolled: 1-line block ×4, first 2 shown]
	ds_write_b128 v1, v[6:9]
.LBB129_6:
	s_or_b64 exec, exec, s[0:1]
	v_mbcnt_lo_u32_b32 v6, -1, 0
	v_mbcnt_hi_u32_b32 v13, -1, v6
	v_and_b32_e32 v14, 63, v13
	v_cmp_gt_u32_e64 s[0:1], 32, v14
	v_cndmask_b32_e64 v6, 0, 1, s[0:1]
	v_lshlrev_b32_e32 v6, 5, v6
	v_add_lshl_u32 v9, v6, v13, 2
	ds_bpermute_b32 v6, v9, v4
	ds_bpermute_b32 v7, v9, v5
	;; [unrolled: 1-line block ×4, first 2 shown]
	v_cmp_gt_u32_e64 s[0:1], 48, v14
	s_waitcnt lgkmcnt(0)
	v_add_f64 v[4:5], v[4:5], v[6:7]
	v_cndmask_b32_e64 v6, 0, 1, s[0:1]
	v_lshlrev_b32_e32 v6, 4, v6
	v_add_f64 v[2:3], v[2:3], v[8:9]
	v_add_lshl_u32 v9, v6, v13, 2
	ds_bpermute_b32 v6, v9, v4
	ds_bpermute_b32 v7, v9, v5
	;; [unrolled: 1-line block ×4, first 2 shown]
	v_cmp_gt_u32_e64 s[0:1], 56, v14
	s_barrier
	s_waitcnt lgkmcnt(2)
	v_add_f64 v[4:5], v[4:5], v[6:7]
	v_cndmask_b32_e64 v6, 0, 1, s[0:1]
	v_lshlrev_b32_e32 v6, 3, v6
	s_waitcnt lgkmcnt(0)
	v_add_f64 v[2:3], v[2:3], v[8:9]
	v_add_lshl_u32 v9, v6, v13, 2
	ds_bpermute_b32 v6, v9, v4
	ds_bpermute_b32 v7, v9, v5
	;; [unrolled: 1-line block ×4, first 2 shown]
	v_cmp_gt_u32_e64 s[0:1], 60, v14
	s_waitcnt lgkmcnt(0)
	v_add_f64 v[4:5], v[4:5], v[6:7]
	v_cndmask_b32_e64 v6, 0, 1, s[0:1]
	v_lshlrev_b32_e32 v6, 2, v6
	v_add_f64 v[2:3], v[2:3], v[8:9]
	v_add_lshl_u32 v11, v6, v13, 2
	ds_bpermute_b32 v6, v11, v4
	ds_bpermute_b32 v7, v11, v5
	;; [unrolled: 1-line block ×4, first 2 shown]
	v_cmp_gt_u32_e64 s[0:1], 62, v14
	s_waitcnt lgkmcnt(2)
	v_add_f64 v[4:5], v[4:5], v[6:7]
	s_waitcnt lgkmcnt(0)
	v_add_f64 v[6:7], v[2:3], v[8:9]
	v_cndmask_b32_e64 v2, 0, 1, s[0:1]
	v_lshlrev_b32_e32 v2, 1, v2
	v_add_lshl_u32 v12, v2, v13, 2
	ds_bpermute_b32 v2, v12, v4
	ds_bpermute_b32 v3, v12, v5
	;; [unrolled: 1-line block ×4, first 2 shown]
	v_cmp_ne_u32_e64 s[0:1], 63, v14
	s_waitcnt lgkmcnt(2)
	v_add_f64 v[2:3], v[4:5], v[2:3]
	v_addc_co_u32_e64 v4, s[0:1], 0, v13, s[0:1]
	s_waitcnt lgkmcnt(0)
	v_add_f64 v[6:7], v[6:7], v[8:9]
	v_lshlrev_b32_e32 v13, 2, v4
	ds_bpermute_b32 v4, v13, v2
	ds_bpermute_b32 v5, v13, v3
	;; [unrolled: 1-line block ×4, first 2 shown]
	v_cmp_eq_u32_e64 s[0:1], 0, v10
	s_and_saveexec_b64 s[8:9], s[0:1]
	s_cbranch_execz .LBB129_8
; %bb.7:
	v_lshrrev_b32_e32 v10, 2, v0
	v_and_b32_e32 v10, 0x70, v10
	s_waitcnt lgkmcnt(0)
	v_add_f64 v[6:7], v[6:7], v[8:9]
	v_add_f64 v[4:5], v[2:3], v[4:5]
	ds_write_b128 v10, v[4:7]
.LBB129_8:
	s_or_b64 exec, exec, s[8:9]
	s_waitcnt lgkmcnt(2)
	v_pk_mov_b32 v[4:5], 0, 0
	v_cmp_gt_u32_e64 s[0:1], 8, v0
	v_pk_mov_b32 v[2:3], v[4:5], v[4:5] op_sel:[0,1]
	s_waitcnt lgkmcnt(0)
	s_barrier
	s_and_saveexec_b64 s[8:9], s[0:1]
	s_cbranch_execnz .LBB129_12
; %bb.9:
	s_or_b64 exec, exec, s[8:9]
	s_and_saveexec_b64 s[0:1], vcc
	s_cbranch_execnz .LBB129_13
.LBB129_10:
	s_or_b64 exec, exec, s[0:1]
	v_cmp_eq_u32_e32 vcc, 0, v0
	s_and_saveexec_b64 s[0:1], vcc
	s_cbranch_execnz .LBB129_14
.LBB129_11:
	s_endpgm
.LBB129_12:
	ds_read_b128 v[2:5], v1
	s_or_b64 exec, exec, s[8:9]
	s_and_saveexec_b64 s[0:1], vcc
	s_cbranch_execz .LBB129_10
.LBB129_13:
	s_waitcnt lgkmcnt(0)
	ds_bpermute_b32 v6, v11, v2
	ds_bpermute_b32 v7, v11, v3
	;; [unrolled: 1-line block ×4, first 2 shown]
	s_waitcnt lgkmcnt(2)
	v_add_f64 v[2:3], v[2:3], v[6:7]
	ds_bpermute_b32 v6, v12, v2
	s_waitcnt lgkmcnt(1)
	v_add_f64 v[4:5], v[4:5], v[8:9]
	ds_bpermute_b32 v7, v12, v3
	ds_bpermute_b32 v8, v12, v4
	;; [unrolled: 1-line block ×3, first 2 shown]
	s_waitcnt lgkmcnt(2)
	v_add_f64 v[2:3], v[2:3], v[6:7]
	ds_bpermute_b32 v6, v13, v2
	s_waitcnt lgkmcnt(1)
	v_add_f64 v[4:5], v[4:5], v[8:9]
	ds_bpermute_b32 v7, v13, v3
	ds_bpermute_b32 v8, v13, v4
	;; [unrolled: 1-line block ×3, first 2 shown]
	s_waitcnt lgkmcnt(2)
	v_add_f64 v[2:3], v[2:3], v[6:7]
	s_waitcnt lgkmcnt(0)
	v_add_f64 v[4:5], v[4:5], v[8:9]
	s_or_b64 exec, exec, s[0:1]
	v_cmp_eq_u32_e32 vcc, 0, v0
	s_and_saveexec_b64 s[0:1], vcc
	s_cbranch_execz .LBB129_11
.LBB129_14:
	s_cmp_lg_u32 s10, 1
	s_cbranch_scc0 .LBB129_16
; %bb.15:
	s_load_dwordx2 s[0:1], s[4:5], 0x40
	s_mul_hi_u32 s9, s10, s2
	s_mul_i32 s8, s10, s2
	s_lshl_b64 s[8:9], s[8:9], 4
	s_mov_b32 s7, 0
	s_waitcnt lgkmcnt(0)
	s_add_u32 s8, s0, s8
	s_addc_u32 s9, s1, s9
	s_lshl_b64 s[0:1], s[6:7], 4
	s_add_u32 s0, s8, s0
	s_addc_u32 s1, s9, s1
	s_cbranch_execz .LBB129_17
	s_branch .LBB129_18
.LBB129_16:
                                        ; implicit-def: $sgpr0_sgpr1
.LBB129_17:
	s_load_dwordx2 s[0:1], s[4:5], 0x48
	s_lshl_b64 s[2:3], s[2:3], 4
	s_waitcnt lgkmcnt(0)
	s_add_u32 s0, s0, s2
	s_addc_u32 s1, s1, s3
.LBB129_18:
	v_mov_b32_e32 v0, 0
	s_waitcnt lgkmcnt(0)
	global_store_dwordx4 v0, v[2:5], s[0:1]
	s_endpgm
	.section	.rodata,"a",@progbits
	.p2align	6, 0x0
	.amdhsa_kernel _ZL23rocblas_dot_kernel_inc1ILb0ELi512ELi2ELb1E19rocblas_complex_numIdEPKS1_S1_EviT4_llS4_lliPT5_PT3_
		.amdhsa_group_segment_fixed_size 1024
		.amdhsa_private_segment_fixed_size 0
		.amdhsa_kernarg_size 336
		.amdhsa_user_sgpr_count 6
		.amdhsa_user_sgpr_private_segment_buffer 1
		.amdhsa_user_sgpr_dispatch_ptr 0
		.amdhsa_user_sgpr_queue_ptr 0
		.amdhsa_user_sgpr_kernarg_segment_ptr 1
		.amdhsa_user_sgpr_dispatch_id 0
		.amdhsa_user_sgpr_flat_scratch_init 0
		.amdhsa_user_sgpr_kernarg_preload_length 0
		.amdhsa_user_sgpr_kernarg_preload_offset 0
		.amdhsa_user_sgpr_private_segment_size 0
		.amdhsa_uses_dynamic_stack 0
		.amdhsa_system_sgpr_private_segment_wavefront_offset 0
		.amdhsa_system_sgpr_workgroup_id_x 1
		.amdhsa_system_sgpr_workgroup_id_y 0
		.amdhsa_system_sgpr_workgroup_id_z 1
		.amdhsa_system_sgpr_workgroup_info 0
		.amdhsa_system_vgpr_workitem_id 0
		.amdhsa_next_free_vgpr 16
		.amdhsa_next_free_sgpr 22
		.amdhsa_accum_offset 16
		.amdhsa_reserve_vcc 1
		.amdhsa_reserve_flat_scratch 0
		.amdhsa_float_round_mode_32 0
		.amdhsa_float_round_mode_16_64 0
		.amdhsa_float_denorm_mode_32 3
		.amdhsa_float_denorm_mode_16_64 3
		.amdhsa_dx10_clamp 1
		.amdhsa_ieee_mode 1
		.amdhsa_fp16_overflow 0
		.amdhsa_tg_split 0
		.amdhsa_exception_fp_ieee_invalid_op 0
		.amdhsa_exception_fp_denorm_src 0
		.amdhsa_exception_fp_ieee_div_zero 0
		.amdhsa_exception_fp_ieee_overflow 0
		.amdhsa_exception_fp_ieee_underflow 0
		.amdhsa_exception_fp_ieee_inexact 0
		.amdhsa_exception_int_div_zero 0
	.end_amdhsa_kernel
	.section	.text._ZL23rocblas_dot_kernel_inc1ILb0ELi512ELi2ELb1E19rocblas_complex_numIdEPKS1_S1_EviT4_llS4_lliPT5_PT3_,"axG",@progbits,_ZL23rocblas_dot_kernel_inc1ILb0ELi512ELi2ELb1E19rocblas_complex_numIdEPKS1_S1_EviT4_llS4_lliPT5_PT3_,comdat
.Lfunc_end129:
	.size	_ZL23rocblas_dot_kernel_inc1ILb0ELi512ELi2ELb1E19rocblas_complex_numIdEPKS1_S1_EviT4_llS4_lliPT5_PT3_, .Lfunc_end129-_ZL23rocblas_dot_kernel_inc1ILb0ELi512ELi2ELb1E19rocblas_complex_numIdEPKS1_S1_EviT4_llS4_lliPT5_PT3_
                                        ; -- End function
	.section	.AMDGPU.csdata,"",@progbits
; Kernel info:
; codeLenInByte = 1404
; NumSgprs: 26
; NumVgprs: 16
; NumAgprs: 0
; TotalNumVgprs: 16
; ScratchSize: 0
; MemoryBound: 0
; FloatMode: 240
; IeeeMode: 1
; LDSByteSize: 1024 bytes/workgroup (compile time only)
; SGPRBlocks: 3
; VGPRBlocks: 1
; NumSGPRsForWavesPerEU: 26
; NumVGPRsForWavesPerEU: 16
; AccumOffset: 16
; Occupancy: 8
; WaveLimiterHint : 0
; COMPUTE_PGM_RSRC2:SCRATCH_EN: 0
; COMPUTE_PGM_RSRC2:USER_SGPR: 6
; COMPUTE_PGM_RSRC2:TRAP_HANDLER: 0
; COMPUTE_PGM_RSRC2:TGID_X_EN: 1
; COMPUTE_PGM_RSRC2:TGID_Y_EN: 0
; COMPUTE_PGM_RSRC2:TGID_Z_EN: 1
; COMPUTE_PGM_RSRC2:TIDIG_COMP_CNT: 0
; COMPUTE_PGM_RSRC3_GFX90A:ACCUM_OFFSET: 3
; COMPUTE_PGM_RSRC3_GFX90A:TG_SPLIT: 0
	.section	.text._ZL18rocblas_dot_kernelIiLb0ELi512ELi2ELb1E19rocblas_complex_numIdEPKS1_S1_EviT5_lT_lS4_lS5_liPT6_PT4_,"axG",@progbits,_ZL18rocblas_dot_kernelIiLb0ELi512ELi2ELb1E19rocblas_complex_numIdEPKS1_S1_EviT5_lT_lS4_lS5_liPT6_PT4_,comdat
	.globl	_ZL18rocblas_dot_kernelIiLb0ELi512ELi2ELb1E19rocblas_complex_numIdEPKS1_S1_EviT5_lT_lS4_lS5_liPT6_PT4_ ; -- Begin function _ZL18rocblas_dot_kernelIiLb0ELi512ELi2ELb1E19rocblas_complex_numIdEPKS1_S1_EviT5_lT_lS4_lS5_liPT6_PT4_
	.p2align	8
	.type	_ZL18rocblas_dot_kernelIiLb0ELi512ELi2ELb1E19rocblas_complex_numIdEPKS1_S1_EviT5_lT_lS4_lS5_liPT6_PT4_,@function
_ZL18rocblas_dot_kernelIiLb0ELi512ELi2ELb1E19rocblas_complex_numIdEPKS1_S1_EviT5_lT_lS4_lS5_liPT6_PT4_: ; @_ZL18rocblas_dot_kernelIiLb0ELi512ELi2ELb1E19rocblas_complex_numIdEPKS1_S1_EviT5_lT_lS4_lS5_liPT6_PT4_
; %bb.0:
	s_load_dword s8, s[4:5], 0x0
	s_load_dword s10, s[4:5], 0x60
	v_lshl_or_b32 v1, s6, 9, v0
	v_pk_mov_b32 v[4:5], 0, 0
	s_mov_b32 s2, s7
	s_mov_b32 s3, 0
	s_waitcnt lgkmcnt(0)
	v_cmp_gt_i32_e32 vcc, s8, v1
	v_pk_mov_b32 v[2:3], v[4:5], v[4:5] op_sel:[0,1]
	s_and_saveexec_b64 s[0:1], vcc
	s_cbranch_execz .LBB130_4
; %bb.1:
	s_load_dwordx4 s[16:19], s[4:5], 0x20
	s_load_dwordx4 s[20:23], s[4:5], 0x8
	s_load_dword s7, s[4:5], 0x18
	s_load_dwordx2 s[14:15], s[4:5], 0x30
	s_load_dword s13, s[4:5], 0x38
	s_load_dwordx2 s[24:25], s[4:5], 0x40
	s_waitcnt lgkmcnt(0)
	s_mul_i32 s9, s2, s17
	s_mul_hi_u32 s11, s2, s16
	s_add_i32 s17, s11, s9
	s_mul_i32 s16, s2, s16
	s_lshl_b64 s[16:17], s[16:17], 4
	s_add_u32 s9, s20, s16
	s_addc_u32 s12, s21, s17
	s_lshl_b64 s[16:17], s[22:23], 4
	s_add_u32 s11, s9, s16
	s_mul_i32 s9, s2, s25
	s_mul_hi_u32 s16, s2, s24
	s_addc_u32 s12, s12, s17
	s_add_i32 s17, s16, s9
	s_mul_i32 s16, s2, s24
	s_lshl_b64 s[16:17], s[16:17], 4
	s_add_u32 s9, s18, s16
	s_addc_u32 s16, s19, s17
	s_lshl_b64 s[14:15], s[14:15], 4
	s_add_u32 s14, s9, s14
	s_addc_u32 s15, s16, s15
	v_mad_i64_i32 v[2:3], s[16:17], v1, s13, 0
	v_lshlrev_b64 v[2:3], 4, v[2:3]
	v_mov_b32_e32 v4, s15
	v_add_co_u32_e32 v10, vcc, s14, v2
	v_addc_co_u32_e32 v11, vcc, v4, v3, vcc
	v_mad_i64_i32 v[2:3], s[16:17], v1, s7, 0
	v_lshlrev_b64 v[2:3], 4, v[2:3]
	v_mov_b32_e32 v1, s12
	v_add_co_u32_e32 v12, vcc, s11, v2
	v_addc_co_u32_e32 v13, vcc, v1, v3, vcc
	global_load_dwordx4 v[2:5], v[12:13], off
	global_load_dwordx4 v[6:9], v[10:11], off
	s_add_i32 s9, s6, s10
	v_lshl_or_b32 v1, s9, 9, v0
	v_cmp_gt_i32_e32 vcc, s8, v1
	s_waitcnt vmcnt(0)
	v_mul_f64 v[10:11], v[8:9], v[4:5]
	v_mul_f64 v[4:5], v[6:7], v[4:5]
	v_fmac_f64_e32 v[10:11], v[6:7], v[2:3]
	v_fma_f64 v[2:3], v[8:9], v[2:3], -v[4:5]
	v_add_f64 v[4:5], v[10:11], 0
	v_add_f64 v[2:3], v[2:3], 0
	s_and_saveexec_b64 s[8:9], vcc
	s_cbranch_execz .LBB130_3
; %bb.2:
	v_mad_i64_i32 v[6:7], s[16:17], v1, s13, 0
	v_lshlrev_b64 v[6:7], 4, v[6:7]
	v_mov_b32_e32 v8, s15
	v_add_co_u32_e32 v6, vcc, s14, v6
	v_mad_i64_i32 v[10:11], s[14:15], v1, s7, 0
	v_addc_co_u32_e32 v7, vcc, v8, v7, vcc
	v_lshlrev_b64 v[10:11], 4, v[10:11]
	v_mov_b32_e32 v1, s12
	v_add_co_u32_e32 v10, vcc, s11, v10
	v_addc_co_u32_e32 v11, vcc, v1, v11, vcc
	global_load_dwordx4 v[6:9], v[6:7], off
	s_nop 0
	global_load_dwordx4 v[10:13], v[10:11], off
	s_waitcnt vmcnt(0)
	v_mul_f64 v[14:15], v[6:7], v[12:13]
	v_mul_f64 v[12:13], v[8:9], v[12:13]
	v_fma_f64 v[8:9], v[8:9], v[10:11], -v[14:15]
	v_fmac_f64_e32 v[12:13], v[6:7], v[10:11]
	v_add_f64 v[2:3], v[2:3], v[8:9]
	v_add_f64 v[4:5], v[4:5], v[12:13]
.LBB130_3:
	s_or_b64 exec, exec, s[8:9]
.LBB130_4:
	s_or_b64 exec, exec, s[0:1]
	v_and_b32_e32 v10, 63, v0
	v_cmp_gt_u32_e32 vcc, 64, v0
	v_lshlrev_b32_e32 v1, 4, v10
	s_and_saveexec_b64 s[0:1], vcc
	s_cbranch_execz .LBB130_6
; %bb.5:
	v_mov_b32_e32 v6, 0
	v_mov_b32_e32 v7, v6
	;; [unrolled: 1-line block ×4, first 2 shown]
	ds_write_b128 v1, v[6:9]
.LBB130_6:
	s_or_b64 exec, exec, s[0:1]
	v_mbcnt_lo_u32_b32 v6, -1, 0
	v_mbcnt_hi_u32_b32 v13, -1, v6
	v_and_b32_e32 v14, 63, v13
	v_cmp_gt_u32_e64 s[0:1], 32, v14
	v_cndmask_b32_e64 v6, 0, 1, s[0:1]
	v_lshlrev_b32_e32 v6, 5, v6
	v_add_lshl_u32 v9, v6, v13, 2
	ds_bpermute_b32 v6, v9, v4
	ds_bpermute_b32 v7, v9, v5
	;; [unrolled: 1-line block ×4, first 2 shown]
	v_cmp_gt_u32_e64 s[0:1], 48, v14
	s_waitcnt lgkmcnt(0)
	v_add_f64 v[4:5], v[4:5], v[6:7]
	v_cndmask_b32_e64 v6, 0, 1, s[0:1]
	v_lshlrev_b32_e32 v6, 4, v6
	v_add_f64 v[2:3], v[2:3], v[8:9]
	v_add_lshl_u32 v9, v6, v13, 2
	ds_bpermute_b32 v6, v9, v4
	ds_bpermute_b32 v7, v9, v5
	ds_bpermute_b32 v8, v9, v2
	ds_bpermute_b32 v9, v9, v3
	v_cmp_gt_u32_e64 s[0:1], 56, v14
	s_barrier
	s_waitcnt lgkmcnt(2)
	v_add_f64 v[4:5], v[4:5], v[6:7]
	v_cndmask_b32_e64 v6, 0, 1, s[0:1]
	v_lshlrev_b32_e32 v6, 3, v6
	s_waitcnt lgkmcnt(0)
	v_add_f64 v[2:3], v[2:3], v[8:9]
	v_add_lshl_u32 v9, v6, v13, 2
	ds_bpermute_b32 v6, v9, v4
	ds_bpermute_b32 v7, v9, v5
	;; [unrolled: 1-line block ×4, first 2 shown]
	v_cmp_gt_u32_e64 s[0:1], 60, v14
	s_waitcnt lgkmcnt(0)
	v_add_f64 v[4:5], v[4:5], v[6:7]
	v_cndmask_b32_e64 v6, 0, 1, s[0:1]
	v_lshlrev_b32_e32 v6, 2, v6
	v_add_f64 v[2:3], v[2:3], v[8:9]
	v_add_lshl_u32 v11, v6, v13, 2
	ds_bpermute_b32 v6, v11, v4
	ds_bpermute_b32 v7, v11, v5
	;; [unrolled: 1-line block ×4, first 2 shown]
	v_cmp_gt_u32_e64 s[0:1], 62, v14
	s_waitcnt lgkmcnt(2)
	v_add_f64 v[4:5], v[4:5], v[6:7]
	s_waitcnt lgkmcnt(0)
	v_add_f64 v[6:7], v[2:3], v[8:9]
	v_cndmask_b32_e64 v2, 0, 1, s[0:1]
	v_lshlrev_b32_e32 v2, 1, v2
	v_add_lshl_u32 v12, v2, v13, 2
	ds_bpermute_b32 v2, v12, v4
	ds_bpermute_b32 v3, v12, v5
	;; [unrolled: 1-line block ×4, first 2 shown]
	v_cmp_ne_u32_e64 s[0:1], 63, v14
	s_waitcnt lgkmcnt(2)
	v_add_f64 v[2:3], v[4:5], v[2:3]
	v_addc_co_u32_e64 v4, s[0:1], 0, v13, s[0:1]
	s_waitcnt lgkmcnt(0)
	v_add_f64 v[6:7], v[6:7], v[8:9]
	v_lshlrev_b32_e32 v13, 2, v4
	ds_bpermute_b32 v4, v13, v2
	ds_bpermute_b32 v5, v13, v3
	;; [unrolled: 1-line block ×4, first 2 shown]
	v_cmp_eq_u32_e64 s[0:1], 0, v10
	s_and_saveexec_b64 s[8:9], s[0:1]
	s_cbranch_execz .LBB130_8
; %bb.7:
	v_lshrrev_b32_e32 v10, 2, v0
	v_and_b32_e32 v10, 0x70, v10
	s_waitcnt lgkmcnt(0)
	v_add_f64 v[6:7], v[6:7], v[8:9]
	v_add_f64 v[4:5], v[2:3], v[4:5]
	ds_write_b128 v10, v[4:7]
.LBB130_8:
	s_or_b64 exec, exec, s[8:9]
	s_waitcnt lgkmcnt(2)
	v_pk_mov_b32 v[4:5], 0, 0
	v_cmp_gt_u32_e64 s[0:1], 8, v0
	v_pk_mov_b32 v[2:3], v[4:5], v[4:5] op_sel:[0,1]
	s_waitcnt lgkmcnt(0)
	s_barrier
	s_and_saveexec_b64 s[8:9], s[0:1]
	s_cbranch_execnz .LBB130_12
; %bb.9:
	s_or_b64 exec, exec, s[8:9]
	s_and_saveexec_b64 s[0:1], vcc
	s_cbranch_execnz .LBB130_13
.LBB130_10:
	s_or_b64 exec, exec, s[0:1]
	v_cmp_eq_u32_e32 vcc, 0, v0
	s_and_saveexec_b64 s[0:1], vcc
	s_cbranch_execnz .LBB130_14
.LBB130_11:
	s_endpgm
.LBB130_12:
	ds_read_b128 v[2:5], v1
	s_or_b64 exec, exec, s[8:9]
	s_and_saveexec_b64 s[0:1], vcc
	s_cbranch_execz .LBB130_10
.LBB130_13:
	s_waitcnt lgkmcnt(0)
	ds_bpermute_b32 v6, v11, v2
	ds_bpermute_b32 v7, v11, v3
	;; [unrolled: 1-line block ×4, first 2 shown]
	s_waitcnt lgkmcnt(2)
	v_add_f64 v[2:3], v[2:3], v[6:7]
	ds_bpermute_b32 v6, v12, v2
	s_waitcnt lgkmcnt(1)
	v_add_f64 v[4:5], v[4:5], v[8:9]
	ds_bpermute_b32 v7, v12, v3
	ds_bpermute_b32 v8, v12, v4
	;; [unrolled: 1-line block ×3, first 2 shown]
	s_waitcnt lgkmcnt(2)
	v_add_f64 v[2:3], v[2:3], v[6:7]
	ds_bpermute_b32 v6, v13, v2
	s_waitcnt lgkmcnt(1)
	v_add_f64 v[4:5], v[4:5], v[8:9]
	ds_bpermute_b32 v7, v13, v3
	ds_bpermute_b32 v8, v13, v4
	;; [unrolled: 1-line block ×3, first 2 shown]
	s_waitcnt lgkmcnt(2)
	v_add_f64 v[2:3], v[2:3], v[6:7]
	s_waitcnt lgkmcnt(0)
	v_add_f64 v[4:5], v[4:5], v[8:9]
	s_or_b64 exec, exec, s[0:1]
	v_cmp_eq_u32_e32 vcc, 0, v0
	s_and_saveexec_b64 s[0:1], vcc
	s_cbranch_execz .LBB130_11
.LBB130_14:
	s_cmp_lg_u32 s10, 1
	s_cbranch_scc0 .LBB130_16
; %bb.15:
	s_load_dwordx2 s[0:1], s[4:5], 0x50
	s_mul_hi_u32 s9, s10, s2
	s_mul_i32 s8, s10, s2
	s_lshl_b64 s[8:9], s[8:9], 4
	s_mov_b32 s7, 0
	s_waitcnt lgkmcnt(0)
	s_add_u32 s8, s0, s8
	s_addc_u32 s9, s1, s9
	s_lshl_b64 s[0:1], s[6:7], 4
	s_add_u32 s0, s8, s0
	s_addc_u32 s1, s9, s1
	s_cbranch_execz .LBB130_17
	s_branch .LBB130_18
.LBB130_16:
                                        ; implicit-def: $sgpr0_sgpr1
.LBB130_17:
	s_load_dwordx2 s[0:1], s[4:5], 0x58
	s_lshl_b64 s[2:3], s[2:3], 4
	s_waitcnt lgkmcnt(0)
	s_add_u32 s0, s0, s2
	s_addc_u32 s1, s1, s3
.LBB130_18:
	v_mov_b32_e32 v0, 0
	s_waitcnt lgkmcnt(0)
	global_store_dwordx4 v0, v[2:5], s[0:1]
	s_endpgm
	.section	.rodata,"a",@progbits
	.p2align	6, 0x0
	.amdhsa_kernel _ZL18rocblas_dot_kernelIiLb0ELi512ELi2ELb1E19rocblas_complex_numIdEPKS1_S1_EviT5_lT_lS4_lS5_liPT6_PT4_
		.amdhsa_group_segment_fixed_size 1024
		.amdhsa_private_segment_fixed_size 0
		.amdhsa_kernarg_size 352
		.amdhsa_user_sgpr_count 6
		.amdhsa_user_sgpr_private_segment_buffer 1
		.amdhsa_user_sgpr_dispatch_ptr 0
		.amdhsa_user_sgpr_queue_ptr 0
		.amdhsa_user_sgpr_kernarg_segment_ptr 1
		.amdhsa_user_sgpr_dispatch_id 0
		.amdhsa_user_sgpr_flat_scratch_init 0
		.amdhsa_user_sgpr_kernarg_preload_length 0
		.amdhsa_user_sgpr_kernarg_preload_offset 0
		.amdhsa_user_sgpr_private_segment_size 0
		.amdhsa_uses_dynamic_stack 0
		.amdhsa_system_sgpr_private_segment_wavefront_offset 0
		.amdhsa_system_sgpr_workgroup_id_x 1
		.amdhsa_system_sgpr_workgroup_id_y 0
		.amdhsa_system_sgpr_workgroup_id_z 1
		.amdhsa_system_sgpr_workgroup_info 0
		.amdhsa_system_vgpr_workitem_id 0
		.amdhsa_next_free_vgpr 16
		.amdhsa_next_free_sgpr 26
		.amdhsa_accum_offset 16
		.amdhsa_reserve_vcc 1
		.amdhsa_reserve_flat_scratch 0
		.amdhsa_float_round_mode_32 0
		.amdhsa_float_round_mode_16_64 0
		.amdhsa_float_denorm_mode_32 3
		.amdhsa_float_denorm_mode_16_64 3
		.amdhsa_dx10_clamp 1
		.amdhsa_ieee_mode 1
		.amdhsa_fp16_overflow 0
		.amdhsa_tg_split 0
		.amdhsa_exception_fp_ieee_invalid_op 0
		.amdhsa_exception_fp_denorm_src 0
		.amdhsa_exception_fp_ieee_div_zero 0
		.amdhsa_exception_fp_ieee_overflow 0
		.amdhsa_exception_fp_ieee_underflow 0
		.amdhsa_exception_fp_ieee_inexact 0
		.amdhsa_exception_int_div_zero 0
	.end_amdhsa_kernel
	.section	.text._ZL18rocblas_dot_kernelIiLb0ELi512ELi2ELb1E19rocblas_complex_numIdEPKS1_S1_EviT5_lT_lS4_lS5_liPT6_PT4_,"axG",@progbits,_ZL18rocblas_dot_kernelIiLb0ELi512ELi2ELb1E19rocblas_complex_numIdEPKS1_S1_EviT5_lT_lS4_lS5_liPT6_PT4_,comdat
.Lfunc_end130:
	.size	_ZL18rocblas_dot_kernelIiLb0ELi512ELi2ELb1E19rocblas_complex_numIdEPKS1_S1_EviT5_lT_lS4_lS5_liPT6_PT4_, .Lfunc_end130-_ZL18rocblas_dot_kernelIiLb0ELi512ELi2ELb1E19rocblas_complex_numIdEPKS1_S1_EviT5_lT_lS4_lS5_liPT6_PT4_
                                        ; -- End function
	.section	.AMDGPU.csdata,"",@progbits
; Kernel info:
; codeLenInByte = 1460
; NumSgprs: 30
; NumVgprs: 16
; NumAgprs: 0
; TotalNumVgprs: 16
; ScratchSize: 0
; MemoryBound: 0
; FloatMode: 240
; IeeeMode: 1
; LDSByteSize: 1024 bytes/workgroup (compile time only)
; SGPRBlocks: 3
; VGPRBlocks: 1
; NumSGPRsForWavesPerEU: 30
; NumVGPRsForWavesPerEU: 16
; AccumOffset: 16
; Occupancy: 8
; WaveLimiterHint : 0
; COMPUTE_PGM_RSRC2:SCRATCH_EN: 0
; COMPUTE_PGM_RSRC2:USER_SGPR: 6
; COMPUTE_PGM_RSRC2:TRAP_HANDLER: 0
; COMPUTE_PGM_RSRC2:TGID_X_EN: 1
; COMPUTE_PGM_RSRC2:TGID_Y_EN: 0
; COMPUTE_PGM_RSRC2:TGID_Z_EN: 1
; COMPUTE_PGM_RSRC2:TIDIG_COMP_CNT: 0
; COMPUTE_PGM_RSRC3_GFX90A:ACCUM_OFFSET: 3
; COMPUTE_PGM_RSRC3_GFX90A:TG_SPLIT: 0
	.section	.text._ZL24rocblas_dot_kernel_magsqIiLb0ELi512ELi2ELb1E19rocblas_complex_numIdEPKS1_S1_EviT5_lT_liPT6_PT4_,"axG",@progbits,_ZL24rocblas_dot_kernel_magsqIiLb0ELi512ELi2ELb1E19rocblas_complex_numIdEPKS1_S1_EviT5_lT_liPT6_PT4_,comdat
	.globl	_ZL24rocblas_dot_kernel_magsqIiLb0ELi512ELi2ELb1E19rocblas_complex_numIdEPKS1_S1_EviT5_lT_liPT6_PT4_ ; -- Begin function _ZL24rocblas_dot_kernel_magsqIiLb0ELi512ELi2ELb1E19rocblas_complex_numIdEPKS1_S1_EviT5_lT_liPT6_PT4_
	.p2align	8
	.type	_ZL24rocblas_dot_kernel_magsqIiLb0ELi512ELi2ELb1E19rocblas_complex_numIdEPKS1_S1_EviT5_lT_liPT6_PT4_,@function
_ZL24rocblas_dot_kernel_magsqIiLb0ELi512ELi2ELb1E19rocblas_complex_numIdEPKS1_S1_EviT5_lT_liPT6_PT4_: ; @_ZL24rocblas_dot_kernel_magsqIiLb0ELi512ELi2ELb1E19rocblas_complex_numIdEPKS1_S1_EviT5_lT_liPT6_PT4_
; %bb.0:
	s_mov_b32 s2, s7
	s_load_dword s7, s[4:5], 0x0
	s_load_dword s10, s[4:5], 0x40
	v_lshl_or_b32 v1, s6, 9, v0
	v_pk_mov_b32 v[2:3], 0, 0
	s_mov_b32 s3, 0
	s_waitcnt lgkmcnt(0)
	v_cmp_gt_i32_e32 vcc, s7, v1
	v_pk_mov_b32 v[4:5], v[2:3], v[2:3] op_sel:[0,1]
	s_and_saveexec_b64 s[0:1], vcc
	s_cbranch_execz .LBB131_4
; %bb.1:
	s_load_dwordx2 s[8:9], s[4:5], 0x20
	s_load_dwordx4 s[12:15], s[4:5], 0x8
	s_load_dword s11, s[4:5], 0x18
	s_waitcnt lgkmcnt(0)
	s_mul_i32 s9, s2, s9
	s_mul_hi_u32 s16, s2, s8
	s_mul_i32 s8, s2, s8
	s_add_i32 s9, s16, s9
	s_lshl_b64 s[8:9], s[8:9], 4
	s_add_u32 s12, s12, s8
	s_addc_u32 s13, s13, s9
	s_lshl_b64 s[8:9], s[14:15], 4
	s_add_u32 s12, s12, s8
	s_addc_u32 s13, s13, s9
	v_mad_i64_i32 v[2:3], s[8:9], v1, s11, 0
	v_lshlrev_b64 v[2:3], 4, v[2:3]
	v_mov_b32_e32 v1, s13
	v_add_co_u32_e32 v2, vcc, s12, v2
	v_addc_co_u32_e32 v3, vcc, v1, v3, vcc
	global_load_dwordx4 v[4:7], v[2:3], off
	s_add_i32 s8, s6, s10
	v_lshl_or_b32 v1, s8, 9, v0
	v_cmp_gt_i32_e32 vcc, s7, v1
	s_waitcnt vmcnt(0)
	v_mul_f64 v[2:3], v[6:7], v[6:7]
	v_mul_f64 v[8:9], v[4:5], v[6:7]
	v_fmac_f64_e32 v[2:3], v[4:5], v[4:5]
	v_fma_f64 v[4:5], v[4:5], v[6:7], -v[8:9]
	v_add_f64 v[4:5], v[4:5], 0
	s_and_saveexec_b64 s[8:9], vcc
	s_cbranch_execz .LBB131_3
; %bb.2:
	v_mad_i64_i32 v[6:7], s[14:15], v1, s11, 0
	v_lshlrev_b64 v[6:7], 4, v[6:7]
	v_mov_b32_e32 v1, s13
	v_add_co_u32_e32 v6, vcc, s12, v6
	v_addc_co_u32_e32 v7, vcc, v1, v7, vcc
	global_load_dwordx4 v[6:9], v[6:7], off
	s_waitcnt vmcnt(0)
	v_mul_f64 v[10:11], v[6:7], v[8:9]
	v_mul_f64 v[12:13], v[8:9], v[8:9]
	v_fma_f64 v[8:9], v[6:7], v[8:9], -v[10:11]
	v_fmac_f64_e32 v[12:13], v[6:7], v[6:7]
	v_add_f64 v[4:5], v[4:5], v[8:9]
	v_add_f64 v[2:3], v[2:3], v[12:13]
.LBB131_3:
	s_or_b64 exec, exec, s[8:9]
.LBB131_4:
	s_or_b64 exec, exec, s[0:1]
	v_and_b32_e32 v10, 63, v0
	v_cmp_gt_u32_e32 vcc, 64, v0
	v_lshlrev_b32_e32 v1, 4, v10
	s_and_saveexec_b64 s[0:1], vcc
	s_cbranch_execz .LBB131_6
; %bb.5:
	v_mov_b32_e32 v6, 0
	v_mov_b32_e32 v7, v6
	;; [unrolled: 1-line block ×4, first 2 shown]
	ds_write_b128 v1, v[6:9]
.LBB131_6:
	s_or_b64 exec, exec, s[0:1]
	v_mbcnt_lo_u32_b32 v6, -1, 0
	v_mbcnt_hi_u32_b32 v13, -1, v6
	v_and_b32_e32 v14, 63, v13
	v_cmp_gt_u32_e64 s[0:1], 32, v14
	v_cndmask_b32_e64 v6, 0, 1, s[0:1]
	v_lshlrev_b32_e32 v6, 5, v6
	v_add_lshl_u32 v9, v6, v13, 2
	ds_bpermute_b32 v6, v9, v2
	ds_bpermute_b32 v7, v9, v3
	;; [unrolled: 1-line block ×4, first 2 shown]
	v_cmp_gt_u32_e64 s[0:1], 48, v14
	s_waitcnt lgkmcnt(0)
	v_add_f64 v[2:3], v[2:3], v[6:7]
	v_cndmask_b32_e64 v6, 0, 1, s[0:1]
	v_lshlrev_b32_e32 v6, 4, v6
	v_add_f64 v[4:5], v[4:5], v[8:9]
	v_add_lshl_u32 v9, v6, v13, 2
	ds_bpermute_b32 v6, v9, v2
	ds_bpermute_b32 v7, v9, v3
	;; [unrolled: 1-line block ×4, first 2 shown]
	v_cmp_gt_u32_e64 s[0:1], 56, v14
	s_barrier
	s_waitcnt lgkmcnt(2)
	v_add_f64 v[2:3], v[2:3], v[6:7]
	v_cndmask_b32_e64 v6, 0, 1, s[0:1]
	v_lshlrev_b32_e32 v6, 3, v6
	s_waitcnt lgkmcnt(0)
	v_add_f64 v[4:5], v[4:5], v[8:9]
	v_add_lshl_u32 v9, v6, v13, 2
	ds_bpermute_b32 v6, v9, v2
	ds_bpermute_b32 v7, v9, v3
	;; [unrolled: 1-line block ×4, first 2 shown]
	v_cmp_gt_u32_e64 s[0:1], 60, v14
	s_waitcnt lgkmcnt(0)
	v_add_f64 v[2:3], v[2:3], v[6:7]
	v_cndmask_b32_e64 v6, 0, 1, s[0:1]
	v_lshlrev_b32_e32 v6, 2, v6
	v_add_lshl_u32 v11, v6, v13, 2
	ds_bpermute_b32 v6, v11, v2
	ds_bpermute_b32 v7, v11, v3
	v_add_f64 v[4:5], v[4:5], v[8:9]
	ds_bpermute_b32 v8, v11, v4
	ds_bpermute_b32 v9, v11, v5
	v_cmp_gt_u32_e64 s[0:1], 62, v14
	s_waitcnt lgkmcnt(2)
	v_add_f64 v[2:3], v[2:3], v[6:7]
	v_cndmask_b32_e64 v6, 0, 1, s[0:1]
	v_lshlrev_b32_e32 v6, 1, v6
	s_waitcnt lgkmcnt(0)
	v_add_f64 v[4:5], v[4:5], v[8:9]
	v_add_lshl_u32 v12, v6, v13, 2
	ds_bpermute_b32 v6, v12, v2
	ds_bpermute_b32 v7, v12, v3
	;; [unrolled: 1-line block ×4, first 2 shown]
	v_cmp_ne_u32_e64 s[0:1], 63, v14
	s_waitcnt lgkmcnt(2)
	v_add_f64 v[2:3], v[2:3], v[6:7]
	s_waitcnt lgkmcnt(0)
	v_add_f64 v[6:7], v[4:5], v[8:9]
	v_addc_co_u32_e64 v4, s[0:1], 0, v13, s[0:1]
	v_lshlrev_b32_e32 v13, 2, v4
	ds_bpermute_b32 v4, v13, v2
	ds_bpermute_b32 v5, v13, v3
	ds_bpermute_b32 v8, v13, v6
	ds_bpermute_b32 v9, v13, v7
	v_cmp_eq_u32_e64 s[0:1], 0, v10
	s_and_saveexec_b64 s[8:9], s[0:1]
	s_cbranch_execz .LBB131_8
; %bb.7:
	v_lshrrev_b32_e32 v10, 2, v0
	v_and_b32_e32 v10, 0x70, v10
	s_waitcnt lgkmcnt(0)
	v_add_f64 v[6:7], v[6:7], v[8:9]
	v_add_f64 v[4:5], v[2:3], v[4:5]
	ds_write_b128 v10, v[4:7]
.LBB131_8:
	s_or_b64 exec, exec, s[8:9]
	s_waitcnt lgkmcnt(2)
	v_pk_mov_b32 v[4:5], 0, 0
	v_cmp_gt_u32_e64 s[0:1], 8, v0
	v_pk_mov_b32 v[2:3], v[4:5], v[4:5] op_sel:[0,1]
	s_waitcnt lgkmcnt(0)
	s_barrier
	s_and_saveexec_b64 s[8:9], s[0:1]
	s_cbranch_execnz .LBB131_12
; %bb.9:
	s_or_b64 exec, exec, s[8:9]
	s_and_saveexec_b64 s[0:1], vcc
	s_cbranch_execnz .LBB131_13
.LBB131_10:
	s_or_b64 exec, exec, s[0:1]
	v_cmp_eq_u32_e32 vcc, 0, v0
	s_and_saveexec_b64 s[0:1], vcc
	s_cbranch_execnz .LBB131_14
.LBB131_11:
	s_endpgm
.LBB131_12:
	ds_read_b128 v[2:5], v1
	s_or_b64 exec, exec, s[8:9]
	s_and_saveexec_b64 s[0:1], vcc
	s_cbranch_execz .LBB131_10
.LBB131_13:
	s_waitcnt lgkmcnt(0)
	ds_bpermute_b32 v6, v11, v2
	ds_bpermute_b32 v7, v11, v3
	;; [unrolled: 1-line block ×4, first 2 shown]
	s_waitcnt lgkmcnt(2)
	v_add_f64 v[2:3], v[2:3], v[6:7]
	ds_bpermute_b32 v6, v12, v2
	s_waitcnt lgkmcnt(1)
	v_add_f64 v[4:5], v[4:5], v[8:9]
	ds_bpermute_b32 v7, v12, v3
	ds_bpermute_b32 v8, v12, v4
	;; [unrolled: 1-line block ×3, first 2 shown]
	s_waitcnt lgkmcnt(2)
	v_add_f64 v[2:3], v[2:3], v[6:7]
	ds_bpermute_b32 v6, v13, v2
	s_waitcnt lgkmcnt(1)
	v_add_f64 v[4:5], v[4:5], v[8:9]
	ds_bpermute_b32 v7, v13, v3
	ds_bpermute_b32 v8, v13, v4
	;; [unrolled: 1-line block ×3, first 2 shown]
	s_waitcnt lgkmcnt(2)
	v_add_f64 v[2:3], v[2:3], v[6:7]
	s_waitcnt lgkmcnt(0)
	v_add_f64 v[4:5], v[4:5], v[8:9]
	s_or_b64 exec, exec, s[0:1]
	v_cmp_eq_u32_e32 vcc, 0, v0
	s_and_saveexec_b64 s[0:1], vcc
	s_cbranch_execz .LBB131_11
.LBB131_14:
	s_cmp_lg_u32 s10, 1
	s_cbranch_scc0 .LBB131_16
; %bb.15:
	s_load_dwordx2 s[0:1], s[4:5], 0x30
	s_mul_hi_u32 s9, s10, s2
	s_mul_i32 s8, s10, s2
	s_lshl_b64 s[8:9], s[8:9], 4
	s_mov_b32 s7, 0
	s_waitcnt lgkmcnt(0)
	s_add_u32 s8, s0, s8
	s_addc_u32 s9, s1, s9
	s_lshl_b64 s[0:1], s[6:7], 4
	s_add_u32 s0, s8, s0
	s_addc_u32 s1, s9, s1
	s_cbranch_execz .LBB131_17
	s_branch .LBB131_18
.LBB131_16:
                                        ; implicit-def: $sgpr0_sgpr1
.LBB131_17:
	s_load_dwordx2 s[0:1], s[4:5], 0x38
	s_lshl_b64 s[2:3], s[2:3], 4
	s_waitcnt lgkmcnt(0)
	s_add_u32 s0, s0, s2
	s_addc_u32 s1, s1, s3
.LBB131_18:
	v_mov_b32_e32 v0, 0
	s_waitcnt lgkmcnt(0)
	global_store_dwordx4 v0, v[2:5], s[0:1]
	s_endpgm
	.section	.rodata,"a",@progbits
	.p2align	6, 0x0
	.amdhsa_kernel _ZL24rocblas_dot_kernel_magsqIiLb0ELi512ELi2ELb1E19rocblas_complex_numIdEPKS1_S1_EviT5_lT_liPT6_PT4_
		.amdhsa_group_segment_fixed_size 1024
		.amdhsa_private_segment_fixed_size 0
		.amdhsa_kernarg_size 320
		.amdhsa_user_sgpr_count 6
		.amdhsa_user_sgpr_private_segment_buffer 1
		.amdhsa_user_sgpr_dispatch_ptr 0
		.amdhsa_user_sgpr_queue_ptr 0
		.amdhsa_user_sgpr_kernarg_segment_ptr 1
		.amdhsa_user_sgpr_dispatch_id 0
		.amdhsa_user_sgpr_flat_scratch_init 0
		.amdhsa_user_sgpr_kernarg_preload_length 0
		.amdhsa_user_sgpr_kernarg_preload_offset 0
		.amdhsa_user_sgpr_private_segment_size 0
		.amdhsa_uses_dynamic_stack 0
		.amdhsa_system_sgpr_private_segment_wavefront_offset 0
		.amdhsa_system_sgpr_workgroup_id_x 1
		.amdhsa_system_sgpr_workgroup_id_y 0
		.amdhsa_system_sgpr_workgroup_id_z 1
		.amdhsa_system_sgpr_workgroup_info 0
		.amdhsa_system_vgpr_workitem_id 0
		.amdhsa_next_free_vgpr 15
		.amdhsa_next_free_sgpr 17
		.amdhsa_accum_offset 16
		.amdhsa_reserve_vcc 1
		.amdhsa_reserve_flat_scratch 0
		.amdhsa_float_round_mode_32 0
		.amdhsa_float_round_mode_16_64 0
		.amdhsa_float_denorm_mode_32 3
		.amdhsa_float_denorm_mode_16_64 3
		.amdhsa_dx10_clamp 1
		.amdhsa_ieee_mode 1
		.amdhsa_fp16_overflow 0
		.amdhsa_tg_split 0
		.amdhsa_exception_fp_ieee_invalid_op 0
		.amdhsa_exception_fp_denorm_src 0
		.amdhsa_exception_fp_ieee_div_zero 0
		.amdhsa_exception_fp_ieee_overflow 0
		.amdhsa_exception_fp_ieee_underflow 0
		.amdhsa_exception_fp_ieee_inexact 0
		.amdhsa_exception_int_div_zero 0
	.end_amdhsa_kernel
	.section	.text._ZL24rocblas_dot_kernel_magsqIiLb0ELi512ELi2ELb1E19rocblas_complex_numIdEPKS1_S1_EviT5_lT_liPT6_PT4_,"axG",@progbits,_ZL24rocblas_dot_kernel_magsqIiLb0ELi512ELi2ELb1E19rocblas_complex_numIdEPKS1_S1_EviT5_lT_liPT6_PT4_,comdat
.Lfunc_end131:
	.size	_ZL24rocblas_dot_kernel_magsqIiLb0ELi512ELi2ELb1E19rocblas_complex_numIdEPKS1_S1_EviT5_lT_liPT6_PT4_, .Lfunc_end131-_ZL24rocblas_dot_kernel_magsqIiLb0ELi512ELi2ELb1E19rocblas_complex_numIdEPKS1_S1_EviT5_lT_liPT6_PT4_
                                        ; -- End function
	.section	.AMDGPU.csdata,"",@progbits
; Kernel info:
; codeLenInByte = 1312
; NumSgprs: 21
; NumVgprs: 15
; NumAgprs: 0
; TotalNumVgprs: 15
; ScratchSize: 0
; MemoryBound: 0
; FloatMode: 240
; IeeeMode: 1
; LDSByteSize: 1024 bytes/workgroup (compile time only)
; SGPRBlocks: 2
; VGPRBlocks: 1
; NumSGPRsForWavesPerEU: 21
; NumVGPRsForWavesPerEU: 15
; AccumOffset: 16
; Occupancy: 8
; WaveLimiterHint : 0
; COMPUTE_PGM_RSRC2:SCRATCH_EN: 0
; COMPUTE_PGM_RSRC2:USER_SGPR: 6
; COMPUTE_PGM_RSRC2:TRAP_HANDLER: 0
; COMPUTE_PGM_RSRC2:TGID_X_EN: 1
; COMPUTE_PGM_RSRC2:TGID_Y_EN: 0
; COMPUTE_PGM_RSRC2:TGID_Z_EN: 1
; COMPUTE_PGM_RSRC2:TIDIG_COMP_CNT: 0
; COMPUTE_PGM_RSRC3_GFX90A:ACCUM_OFFSET: 3
; COMPUTE_PGM_RSRC3_GFX90A:TG_SPLIT: 0
	.section	.text._ZL28rocblas_dot_batched_4_kernelIlLi32ELi4ELb1E19rocblas_complex_numIdES1_PKS1_EviT5_lT_lS4_lS5_liPT4_,"axG",@progbits,_ZL28rocblas_dot_batched_4_kernelIlLi32ELi4ELb1E19rocblas_complex_numIdES1_PKS1_EviT5_lT_lS4_lS5_liPT4_,comdat
	.globl	_ZL28rocblas_dot_batched_4_kernelIlLi32ELi4ELb1E19rocblas_complex_numIdES1_PKS1_EviT5_lT_lS4_lS5_liPT4_ ; -- Begin function _ZL28rocblas_dot_batched_4_kernelIlLi32ELi4ELb1E19rocblas_complex_numIdES1_PKS1_EviT5_lT_lS4_lS5_liPT4_
	.p2align	8
	.type	_ZL28rocblas_dot_batched_4_kernelIlLi32ELi4ELb1E19rocblas_complex_numIdES1_PKS1_EviT5_lT_lS4_lS5_liPT4_,@function
_ZL28rocblas_dot_batched_4_kernelIlLi32ELi4ELb1E19rocblas_complex_numIdES1_PKS1_EviT5_lT_lS4_lS5_liPT4_: ; @_ZL28rocblas_dot_batched_4_kernelIlLi32ELi4ELb1E19rocblas_complex_numIdES1_PKS1_EviT5_lT_lS4_lS5_liPT4_
; %bb.0:
	s_load_dword s0, s[4:5], 0x48
	v_bfe_u32 v1, v0, 10, 10
	v_lshl_add_u32 v2, s6, 2, v1
	s_waitcnt lgkmcnt(0)
	v_cmp_gt_u32_e32 vcc, s0, v2
	s_and_saveexec_b64 s[0:1], vcc
	s_cbranch_execz .LBB132_7
; %bb.1:
	s_load_dword s18, s[4:5], 0x0
	s_load_dwordx2 s[6:7], s[4:5], 0x50
	v_and_b32_e32 v10, 0x3ff, v0
	v_pk_mov_b32 v[0:1], 0, 0
	v_mov_b32_e32 v3, 0
	s_waitcnt lgkmcnt(0)
	v_cmp_gt_i32_e32 vcc, s18, v10
	v_pk_mov_b32 v[4:5], v[0:1], v[0:1] op_sel:[0,1]
	s_and_saveexec_b64 s[16:17], vcc
	s_cbranch_execz .LBB132_5
; %bb.2:
	s_load_dwordx8 s[8:15], s[4:5], 0x20
	s_load_dwordx2 s[20:21], s[4:5], 0x8
	s_load_dwordx4 s[0:3], s[4:5], 0x10
	s_load_dwordx2 s[22:23], s[4:5], 0x40
	v_mov_b32_e32 v13, v10
	s_waitcnt lgkmcnt(0)
	v_mad_u64_u32 v[0:1], s[4:5], s14, v10, 0
	v_mov_b32_e32 v4, v1
	v_mad_u64_u32 v[4:5], s[4:5], s15, v10, v[4:5]
	v_mov_b32_e32 v1, v4
	v_mad_u64_u32 v[4:5], s[4:5], s22, v2, 0
	v_mov_b32_e32 v6, v5
	v_mad_u64_u32 v[6:7], s[4:5], s23, v2, v[6:7]
	v_mov_b32_e32 v5, v6
	v_lshlrev_b64 v[0:1], 4, v[0:1]
	v_lshlrev_b64 v[4:5], 4, v[4:5]
	s_lshl_b64 s[4:5], s[12:13], 4
	v_add_co_u32_e32 v0, vcc, v0, v4
	s_add_u32 s4, s10, s4
	v_addc_co_u32_e32 v1, vcc, v1, v5, vcc
	s_addc_u32 s5, s11, s5
	v_mov_b32_e32 v4, s5
	v_add_co_u32_e32 v0, vcc, s4, v0
	v_addc_co_u32_e32 v1, vcc, v4, v1, vcc
	v_add_co_u32_e32 v6, vcc, 8, v0
	v_addc_co_u32_e32 v7, vcc, 0, v1, vcc
	v_mad_u64_u32 v[0:1], s[10:11], s2, v10, 0
	v_mov_b32_e32 v4, v1
	v_mad_u64_u32 v[4:5], s[10:11], s3, v10, v[4:5]
	v_mov_b32_e32 v1, v4
	;; [unrolled: 2-line block ×4, first 2 shown]
	s_lshl_b64 s[4:5], s[14:15], 9
	v_lshlrev_b64 v[0:1], 4, v[0:1]
	v_lshlrev_b64 v[4:5], 4, v[4:5]
	s_lshl_b64 s[0:1], s[0:1], 4
	v_add_co_u32_e32 v0, vcc, v0, v4
	s_add_u32 s0, s20, s0
	v_addc_co_u32_e32 v1, vcc, v1, v5, vcc
	s_addc_u32 s1, s21, s1
	v_mov_b32_e32 v4, s1
	v_add_co_u32_e32 v0, vcc, s0, v0
	v_addc_co_u32_e32 v1, vcc, v4, v1, vcc
	v_add_co_u32_e32 v8, vcc, 8, v0
	v_addc_co_u32_e32 v9, vcc, 0, v1, vcc
	s_lshl_b64 s[2:3], s[2:3], 9
	v_pk_mov_b32 v[0:1], 0, 0
	s_mov_b64 s[0:1], 0
	v_mov_b32_e32 v11, s5
	v_mov_b32_e32 v12, s3
	v_pk_mov_b32 v[4:5], v[0:1], v[0:1] op_sel:[0,1]
.LBB132_3:                              ; =>This Inner Loop Header: Depth=1
	global_load_dwordx4 v[14:17], v[8:9], off offset:-8
	global_load_dwordx4 v[18:21], v[6:7], off offset:-8
	v_add_co_u32_e32 v6, vcc, s4, v6
	v_addc_co_u32_e32 v7, vcc, v7, v11, vcc
	v_add_co_u32_e32 v8, vcc, s2, v8
	v_add_u32_e32 v13, 32, v13
	v_addc_co_u32_e32 v9, vcc, v9, v12, vcc
	v_cmp_le_i32_e32 vcc, s18, v13
	s_or_b64 s[0:1], vcc, s[0:1]
	s_waitcnt vmcnt(0)
	v_mul_f64 v[22:23], v[16:17], v[20:21]
	v_mul_f64 v[16:17], v[16:17], v[18:19]
	v_fmac_f64_e32 v[22:23], v[14:15], v[18:19]
	v_fma_f64 v[14:15], v[14:15], v[20:21], -v[16:17]
	v_add_f64 v[0:1], v[0:1], v[22:23]
	v_add_f64 v[4:5], v[4:5], v[14:15]
	s_andn2_b64 exec, exec, s[0:1]
	s_cbranch_execnz .LBB132_3
; %bb.4:
	s_or_b64 exec, exec, s[0:1]
.LBB132_5:
	s_or_b64 exec, exec, s[16:17]
	v_mbcnt_lo_u32_b32 v6, -1, 0
	v_mbcnt_hi_u32_b32 v11, -1, v6
	v_and_b32_e32 v12, 63, v11
	v_cmp_gt_u32_e32 vcc, 48, v12
	v_cndmask_b32_e64 v6, 0, 1, vcc
	v_lshlrev_b32_e32 v6, 4, v6
	v_add_lshl_u32 v9, v6, v11, 2
	ds_bpermute_b32 v6, v9, v0
	ds_bpermute_b32 v7, v9, v1
	ds_bpermute_b32 v8, v9, v4
	ds_bpermute_b32 v9, v9, v5
	v_cmp_gt_u32_e32 vcc, 56, v12
	s_waitcnt lgkmcnt(0)
	v_add_f64 v[0:1], v[0:1], v[6:7]
	v_cndmask_b32_e64 v6, 0, 1, vcc
	v_lshlrev_b32_e32 v6, 3, v6
	v_add_f64 v[4:5], v[4:5], v[8:9]
	v_add_lshl_u32 v9, v6, v11, 2
	ds_bpermute_b32 v6, v9, v0
	ds_bpermute_b32 v7, v9, v1
	;; [unrolled: 1-line block ×4, first 2 shown]
	v_cmp_gt_u32_e32 vcc, 60, v12
	s_barrier
	s_waitcnt lgkmcnt(2)
	v_add_f64 v[0:1], v[0:1], v[6:7]
	v_cndmask_b32_e64 v6, 0, 1, vcc
	v_lshlrev_b32_e32 v6, 2, v6
	s_waitcnt lgkmcnt(0)
	v_add_f64 v[4:5], v[4:5], v[8:9]
	v_add_lshl_u32 v9, v6, v11, 2
	ds_bpermute_b32 v6, v9, v0
	ds_bpermute_b32 v7, v9, v1
	;; [unrolled: 1-line block ×4, first 2 shown]
	v_cmp_gt_u32_e32 vcc, 62, v12
	s_waitcnt lgkmcnt(0)
	v_add_f64 v[0:1], v[0:1], v[6:7]
	v_cndmask_b32_e64 v6, 0, 1, vcc
	v_lshlrev_b32_e32 v6, 1, v6
	v_add_f64 v[4:5], v[4:5], v[8:9]
	v_add_lshl_u32 v9, v6, v11, 2
	ds_bpermute_b32 v6, v9, v0
	ds_bpermute_b32 v7, v9, v1
	;; [unrolled: 1-line block ×4, first 2 shown]
	v_cmp_ne_u32_e32 vcc, 63, v12
	s_waitcnt lgkmcnt(2)
	v_add_f64 v[0:1], v[0:1], v[6:7]
	s_waitcnt lgkmcnt(0)
	v_add_f64 v[6:7], v[4:5], v[8:9]
	v_addc_co_u32_e32 v4, vcc, 0, v11, vcc
	v_lshlrev_b32_e32 v9, 2, v4
	ds_bpermute_b32 v4, v9, v0
	ds_bpermute_b32 v5, v9, v1
	;; [unrolled: 1-line block ×4, first 2 shown]
	v_cmp_eq_u32_e32 vcc, 0, v10
	s_and_b64 exec, exec, vcc
	s_cbranch_execz .LBB132_7
; %bb.6:
	v_lshlrev_b64 v[2:3], 4, v[2:3]
	v_mov_b32_e32 v11, s7
	v_add_co_u32_e32 v10, vcc, s6, v2
	v_addc_co_u32_e32 v11, vcc, v11, v3, vcc
	s_waitcnt lgkmcnt(0)
	v_add_f64 v[2:3], v[6:7], v[8:9]
	v_add_f64 v[0:1], v[0:1], v[4:5]
	global_store_dwordx4 v[10:11], v[0:3], off
.LBB132_7:
	s_endpgm
	.section	.rodata,"a",@progbits
	.p2align	6, 0x0
	.amdhsa_kernel _ZL28rocblas_dot_batched_4_kernelIlLi32ELi4ELb1E19rocblas_complex_numIdES1_PKS1_EviT5_lT_lS4_lS5_liPT4_
		.amdhsa_group_segment_fixed_size 0
		.amdhsa_private_segment_fixed_size 0
		.amdhsa_kernarg_size 88
		.amdhsa_user_sgpr_count 6
		.amdhsa_user_sgpr_private_segment_buffer 1
		.amdhsa_user_sgpr_dispatch_ptr 0
		.amdhsa_user_sgpr_queue_ptr 0
		.amdhsa_user_sgpr_kernarg_segment_ptr 1
		.amdhsa_user_sgpr_dispatch_id 0
		.amdhsa_user_sgpr_flat_scratch_init 0
		.amdhsa_user_sgpr_kernarg_preload_length 0
		.amdhsa_user_sgpr_kernarg_preload_offset 0
		.amdhsa_user_sgpr_private_segment_size 0
		.amdhsa_uses_dynamic_stack 0
		.amdhsa_system_sgpr_private_segment_wavefront_offset 0
		.amdhsa_system_sgpr_workgroup_id_x 1
		.amdhsa_system_sgpr_workgroup_id_y 0
		.amdhsa_system_sgpr_workgroup_id_z 0
		.amdhsa_system_sgpr_workgroup_info 0
		.amdhsa_system_vgpr_workitem_id 1
		.amdhsa_next_free_vgpr 24
		.amdhsa_next_free_sgpr 24
		.amdhsa_accum_offset 24
		.amdhsa_reserve_vcc 1
		.amdhsa_reserve_flat_scratch 0
		.amdhsa_float_round_mode_32 0
		.amdhsa_float_round_mode_16_64 0
		.amdhsa_float_denorm_mode_32 3
		.amdhsa_float_denorm_mode_16_64 3
		.amdhsa_dx10_clamp 1
		.amdhsa_ieee_mode 1
		.amdhsa_fp16_overflow 0
		.amdhsa_tg_split 0
		.amdhsa_exception_fp_ieee_invalid_op 0
		.amdhsa_exception_fp_denorm_src 0
		.amdhsa_exception_fp_ieee_div_zero 0
		.amdhsa_exception_fp_ieee_overflow 0
		.amdhsa_exception_fp_ieee_underflow 0
		.amdhsa_exception_fp_ieee_inexact 0
		.amdhsa_exception_int_div_zero 0
	.end_amdhsa_kernel
	.section	.text._ZL28rocblas_dot_batched_4_kernelIlLi32ELi4ELb1E19rocblas_complex_numIdES1_PKS1_EviT5_lT_lS4_lS5_liPT4_,"axG",@progbits,_ZL28rocblas_dot_batched_4_kernelIlLi32ELi4ELb1E19rocblas_complex_numIdES1_PKS1_EviT5_lT_lS4_lS5_liPT4_,comdat
.Lfunc_end132:
	.size	_ZL28rocblas_dot_batched_4_kernelIlLi32ELi4ELb1E19rocblas_complex_numIdES1_PKS1_EviT5_lT_lS4_lS5_liPT4_, .Lfunc_end132-_ZL28rocblas_dot_batched_4_kernelIlLi32ELi4ELb1E19rocblas_complex_numIdES1_PKS1_EviT5_lT_lS4_lS5_liPT4_
                                        ; -- End function
	.section	.AMDGPU.csdata,"",@progbits
; Kernel info:
; codeLenInByte = 936
; NumSgprs: 28
; NumVgprs: 24
; NumAgprs: 0
; TotalNumVgprs: 24
; ScratchSize: 0
; MemoryBound: 0
; FloatMode: 240
; IeeeMode: 1
; LDSByteSize: 0 bytes/workgroup (compile time only)
; SGPRBlocks: 3
; VGPRBlocks: 2
; NumSGPRsForWavesPerEU: 28
; NumVGPRsForWavesPerEU: 24
; AccumOffset: 24
; Occupancy: 8
; WaveLimiterHint : 0
; COMPUTE_PGM_RSRC2:SCRATCH_EN: 0
; COMPUTE_PGM_RSRC2:USER_SGPR: 6
; COMPUTE_PGM_RSRC2:TRAP_HANDLER: 0
; COMPUTE_PGM_RSRC2:TGID_X_EN: 1
; COMPUTE_PGM_RSRC2:TGID_Y_EN: 0
; COMPUTE_PGM_RSRC2:TGID_Z_EN: 0
; COMPUTE_PGM_RSRC2:TIDIG_COMP_CNT: 1
; COMPUTE_PGM_RSRC3_GFX90A:ACCUM_OFFSET: 5
; COMPUTE_PGM_RSRC3_GFX90A:TG_SPLIT: 0
	.section	.text._ZL28rocblas_dot_batched_4_kernelIlLi64ELi4ELb1E19rocblas_complex_numIdES1_PKS1_EviT5_lT_lS4_lS5_liPT4_,"axG",@progbits,_ZL28rocblas_dot_batched_4_kernelIlLi64ELi4ELb1E19rocblas_complex_numIdES1_PKS1_EviT5_lT_lS4_lS5_liPT4_,comdat
	.globl	_ZL28rocblas_dot_batched_4_kernelIlLi64ELi4ELb1E19rocblas_complex_numIdES1_PKS1_EviT5_lT_lS4_lS5_liPT4_ ; -- Begin function _ZL28rocblas_dot_batched_4_kernelIlLi64ELi4ELb1E19rocblas_complex_numIdES1_PKS1_EviT5_lT_lS4_lS5_liPT4_
	.p2align	8
	.type	_ZL28rocblas_dot_batched_4_kernelIlLi64ELi4ELb1E19rocblas_complex_numIdES1_PKS1_EviT5_lT_lS4_lS5_liPT4_,@function
_ZL28rocblas_dot_batched_4_kernelIlLi64ELi4ELb1E19rocblas_complex_numIdES1_PKS1_EviT5_lT_lS4_lS5_liPT4_: ; @_ZL28rocblas_dot_batched_4_kernelIlLi64ELi4ELb1E19rocblas_complex_numIdES1_PKS1_EviT5_lT_lS4_lS5_liPT4_
; %bb.0:
	s_load_dword s0, s[4:5], 0x48
	v_bfe_u32 v1, v0, 10, 10
	v_lshl_add_u32 v2, s6, 2, v1
	s_waitcnt lgkmcnt(0)
	v_cmp_gt_u32_e32 vcc, s0, v2
	s_and_saveexec_b64 s[0:1], vcc
	s_cbranch_execz .LBB133_7
; %bb.1:
	s_load_dword s18, s[4:5], 0x0
	s_load_dwordx2 s[6:7], s[4:5], 0x50
	v_and_b32_e32 v10, 0x3ff, v0
	v_pk_mov_b32 v[0:1], 0, 0
	v_mov_b32_e32 v3, 0
	s_waitcnt lgkmcnt(0)
	v_cmp_gt_i32_e32 vcc, s18, v10
	v_pk_mov_b32 v[4:5], v[0:1], v[0:1] op_sel:[0,1]
	s_and_saveexec_b64 s[16:17], vcc
	s_cbranch_execz .LBB133_5
; %bb.2:
	s_load_dwordx8 s[8:15], s[4:5], 0x20
	s_load_dwordx2 s[20:21], s[4:5], 0x8
	s_load_dwordx4 s[0:3], s[4:5], 0x10
	s_load_dwordx2 s[22:23], s[4:5], 0x40
	v_mov_b32_e32 v13, v10
	s_waitcnt lgkmcnt(0)
	v_mad_u64_u32 v[0:1], s[4:5], s14, v10, 0
	v_mov_b32_e32 v4, v1
	v_mad_u64_u32 v[4:5], s[4:5], s15, v10, v[4:5]
	v_mov_b32_e32 v1, v4
	;; [unrolled: 2-line block ×4, first 2 shown]
	v_lshlrev_b64 v[0:1], 4, v[0:1]
	v_lshlrev_b64 v[4:5], 4, v[4:5]
	s_lshl_b64 s[4:5], s[12:13], 4
	v_add_co_u32_e32 v0, vcc, v0, v4
	s_add_u32 s4, s10, s4
	v_addc_co_u32_e32 v1, vcc, v1, v5, vcc
	s_addc_u32 s5, s11, s5
	v_mov_b32_e32 v4, s5
	v_add_co_u32_e32 v0, vcc, s4, v0
	v_addc_co_u32_e32 v1, vcc, v4, v1, vcc
	v_add_co_u32_e32 v6, vcc, 8, v0
	v_addc_co_u32_e32 v7, vcc, 0, v1, vcc
	v_mad_u64_u32 v[0:1], s[10:11], s2, v10, 0
	v_mov_b32_e32 v4, v1
	v_mad_u64_u32 v[4:5], s[10:11], s3, v10, v[4:5]
	v_mov_b32_e32 v1, v4
	;; [unrolled: 2-line block ×4, first 2 shown]
	s_lshl_b64 s[4:5], s[14:15], 10
	v_lshlrev_b64 v[0:1], 4, v[0:1]
	v_lshlrev_b64 v[4:5], 4, v[4:5]
	s_lshl_b64 s[0:1], s[0:1], 4
	v_add_co_u32_e32 v0, vcc, v0, v4
	s_add_u32 s0, s20, s0
	v_addc_co_u32_e32 v1, vcc, v1, v5, vcc
	s_addc_u32 s1, s21, s1
	v_mov_b32_e32 v4, s1
	v_add_co_u32_e32 v0, vcc, s0, v0
	v_addc_co_u32_e32 v1, vcc, v4, v1, vcc
	v_add_co_u32_e32 v8, vcc, 8, v0
	v_addc_co_u32_e32 v9, vcc, 0, v1, vcc
	s_lshl_b64 s[2:3], s[2:3], 10
	v_pk_mov_b32 v[0:1], 0, 0
	s_mov_b64 s[0:1], 0
	v_mov_b32_e32 v11, s5
	v_mov_b32_e32 v12, s3
	v_pk_mov_b32 v[4:5], v[0:1], v[0:1] op_sel:[0,1]
.LBB133_3:                              ; =>This Inner Loop Header: Depth=1
	global_load_dwordx4 v[14:17], v[8:9], off offset:-8
	global_load_dwordx4 v[18:21], v[6:7], off offset:-8
	v_add_co_u32_e32 v6, vcc, s4, v6
	v_addc_co_u32_e32 v7, vcc, v7, v11, vcc
	v_add_co_u32_e32 v8, vcc, s2, v8
	v_add_u32_e32 v13, 64, v13
	v_addc_co_u32_e32 v9, vcc, v9, v12, vcc
	v_cmp_le_i32_e32 vcc, s18, v13
	s_or_b64 s[0:1], vcc, s[0:1]
	s_waitcnt vmcnt(0)
	v_mul_f64 v[22:23], v[16:17], v[20:21]
	v_mul_f64 v[16:17], v[16:17], v[18:19]
	v_fmac_f64_e32 v[22:23], v[14:15], v[18:19]
	v_fma_f64 v[14:15], v[14:15], v[20:21], -v[16:17]
	v_add_f64 v[0:1], v[0:1], v[22:23]
	v_add_f64 v[4:5], v[4:5], v[14:15]
	s_andn2_b64 exec, exec, s[0:1]
	s_cbranch_execnz .LBB133_3
; %bb.4:
	s_or_b64 exec, exec, s[0:1]
.LBB133_5:
	s_or_b64 exec, exec, s[16:17]
	v_mbcnt_lo_u32_b32 v6, -1, 0
	v_mbcnt_hi_u32_b32 v11, -1, v6
	v_and_b32_e32 v12, 63, v11
	v_cmp_gt_u32_e32 vcc, 32, v12
	v_cndmask_b32_e64 v6, 0, 1, vcc
	v_lshlrev_b32_e32 v6, 5, v6
	v_add_lshl_u32 v9, v6, v11, 2
	ds_bpermute_b32 v6, v9, v0
	ds_bpermute_b32 v7, v9, v1
	;; [unrolled: 1-line block ×4, first 2 shown]
	v_cmp_gt_u32_e32 vcc, 48, v12
	s_waitcnt lgkmcnt(0)
	v_add_f64 v[0:1], v[0:1], v[6:7]
	v_cndmask_b32_e64 v6, 0, 1, vcc
	v_lshlrev_b32_e32 v6, 4, v6
	v_add_f64 v[4:5], v[4:5], v[8:9]
	v_add_lshl_u32 v9, v6, v11, 2
	ds_bpermute_b32 v6, v9, v0
	ds_bpermute_b32 v7, v9, v1
	;; [unrolled: 1-line block ×4, first 2 shown]
	v_cmp_gt_u32_e32 vcc, 56, v12
	s_barrier
	s_waitcnt lgkmcnt(2)
	v_add_f64 v[0:1], v[0:1], v[6:7]
	v_cndmask_b32_e64 v6, 0, 1, vcc
	v_lshlrev_b32_e32 v6, 3, v6
	s_waitcnt lgkmcnt(0)
	v_add_f64 v[4:5], v[4:5], v[8:9]
	v_add_lshl_u32 v9, v6, v11, 2
	ds_bpermute_b32 v6, v9, v0
	ds_bpermute_b32 v7, v9, v1
	ds_bpermute_b32 v8, v9, v4
	ds_bpermute_b32 v9, v9, v5
	v_cmp_gt_u32_e32 vcc, 60, v12
	s_waitcnt lgkmcnt(0)
	v_add_f64 v[0:1], v[0:1], v[6:7]
	v_cndmask_b32_e64 v6, 0, 1, vcc
	v_lshlrev_b32_e32 v6, 2, v6
	v_add_f64 v[4:5], v[4:5], v[8:9]
	v_add_lshl_u32 v9, v6, v11, 2
	ds_bpermute_b32 v6, v9, v0
	ds_bpermute_b32 v7, v9, v1
	;; [unrolled: 1-line block ×4, first 2 shown]
	v_cmp_gt_u32_e32 vcc, 62, v12
	s_waitcnt lgkmcnt(2)
	v_add_f64 v[0:1], v[0:1], v[6:7]
	v_cndmask_b32_e64 v6, 0, 1, vcc
	v_lshlrev_b32_e32 v6, 1, v6
	s_waitcnt lgkmcnt(0)
	v_add_f64 v[4:5], v[4:5], v[8:9]
	v_add_lshl_u32 v9, v6, v11, 2
	ds_bpermute_b32 v6, v9, v0
	ds_bpermute_b32 v7, v9, v1
	;; [unrolled: 1-line block ×4, first 2 shown]
	v_cmp_ne_u32_e32 vcc, 63, v12
	s_waitcnt lgkmcnt(2)
	v_add_f64 v[0:1], v[0:1], v[6:7]
	s_waitcnt lgkmcnt(0)
	v_add_f64 v[6:7], v[4:5], v[8:9]
	v_addc_co_u32_e32 v4, vcc, 0, v11, vcc
	v_lshlrev_b32_e32 v9, 2, v4
	ds_bpermute_b32 v4, v9, v0
	ds_bpermute_b32 v5, v9, v1
	;; [unrolled: 1-line block ×4, first 2 shown]
	v_cmp_eq_u32_e32 vcc, 0, v10
	s_and_b64 exec, exec, vcc
	s_cbranch_execz .LBB133_7
; %bb.6:
	v_lshlrev_b64 v[2:3], 4, v[2:3]
	v_mov_b32_e32 v11, s7
	v_add_co_u32_e32 v10, vcc, s6, v2
	v_addc_co_u32_e32 v11, vcc, v11, v3, vcc
	s_waitcnt lgkmcnt(0)
	v_add_f64 v[2:3], v[6:7], v[8:9]
	v_add_f64 v[0:1], v[0:1], v[4:5]
	global_store_dwordx4 v[10:11], v[0:3], off
.LBB133_7:
	s_endpgm
	.section	.rodata,"a",@progbits
	.p2align	6, 0x0
	.amdhsa_kernel _ZL28rocblas_dot_batched_4_kernelIlLi64ELi4ELb1E19rocblas_complex_numIdES1_PKS1_EviT5_lT_lS4_lS5_liPT4_
		.amdhsa_group_segment_fixed_size 0
		.amdhsa_private_segment_fixed_size 0
		.amdhsa_kernarg_size 88
		.amdhsa_user_sgpr_count 6
		.amdhsa_user_sgpr_private_segment_buffer 1
		.amdhsa_user_sgpr_dispatch_ptr 0
		.amdhsa_user_sgpr_queue_ptr 0
		.amdhsa_user_sgpr_kernarg_segment_ptr 1
		.amdhsa_user_sgpr_dispatch_id 0
		.amdhsa_user_sgpr_flat_scratch_init 0
		.amdhsa_user_sgpr_kernarg_preload_length 0
		.amdhsa_user_sgpr_kernarg_preload_offset 0
		.amdhsa_user_sgpr_private_segment_size 0
		.amdhsa_uses_dynamic_stack 0
		.amdhsa_system_sgpr_private_segment_wavefront_offset 0
		.amdhsa_system_sgpr_workgroup_id_x 1
		.amdhsa_system_sgpr_workgroup_id_y 0
		.amdhsa_system_sgpr_workgroup_id_z 0
		.amdhsa_system_sgpr_workgroup_info 0
		.amdhsa_system_vgpr_workitem_id 1
		.amdhsa_next_free_vgpr 24
		.amdhsa_next_free_sgpr 24
		.amdhsa_accum_offset 24
		.amdhsa_reserve_vcc 1
		.amdhsa_reserve_flat_scratch 0
		.amdhsa_float_round_mode_32 0
		.amdhsa_float_round_mode_16_64 0
		.amdhsa_float_denorm_mode_32 3
		.amdhsa_float_denorm_mode_16_64 3
		.amdhsa_dx10_clamp 1
		.amdhsa_ieee_mode 1
		.amdhsa_fp16_overflow 0
		.amdhsa_tg_split 0
		.amdhsa_exception_fp_ieee_invalid_op 0
		.amdhsa_exception_fp_denorm_src 0
		.amdhsa_exception_fp_ieee_div_zero 0
		.amdhsa_exception_fp_ieee_overflow 0
		.amdhsa_exception_fp_ieee_underflow 0
		.amdhsa_exception_fp_ieee_inexact 0
		.amdhsa_exception_int_div_zero 0
	.end_amdhsa_kernel
	.section	.text._ZL28rocblas_dot_batched_4_kernelIlLi64ELi4ELb1E19rocblas_complex_numIdES1_PKS1_EviT5_lT_lS4_lS5_liPT4_,"axG",@progbits,_ZL28rocblas_dot_batched_4_kernelIlLi64ELi4ELb1E19rocblas_complex_numIdES1_PKS1_EviT5_lT_lS4_lS5_liPT4_,comdat
.Lfunc_end133:
	.size	_ZL28rocblas_dot_batched_4_kernelIlLi64ELi4ELb1E19rocblas_complex_numIdES1_PKS1_EviT5_lT_lS4_lS5_liPT4_, .Lfunc_end133-_ZL28rocblas_dot_batched_4_kernelIlLi64ELi4ELb1E19rocblas_complex_numIdES1_PKS1_EviT5_lT_lS4_lS5_liPT4_
                                        ; -- End function
	.section	.AMDGPU.csdata,"",@progbits
; Kernel info:
; codeLenInByte = 1016
; NumSgprs: 28
; NumVgprs: 24
; NumAgprs: 0
; TotalNumVgprs: 24
; ScratchSize: 0
; MemoryBound: 0
; FloatMode: 240
; IeeeMode: 1
; LDSByteSize: 0 bytes/workgroup (compile time only)
; SGPRBlocks: 3
; VGPRBlocks: 2
; NumSGPRsForWavesPerEU: 28
; NumVGPRsForWavesPerEU: 24
; AccumOffset: 24
; Occupancy: 8
; WaveLimiterHint : 0
; COMPUTE_PGM_RSRC2:SCRATCH_EN: 0
; COMPUTE_PGM_RSRC2:USER_SGPR: 6
; COMPUTE_PGM_RSRC2:TRAP_HANDLER: 0
; COMPUTE_PGM_RSRC2:TGID_X_EN: 1
; COMPUTE_PGM_RSRC2:TGID_Y_EN: 0
; COMPUTE_PGM_RSRC2:TGID_Z_EN: 0
; COMPUTE_PGM_RSRC2:TIDIG_COMP_CNT: 1
; COMPUTE_PGM_RSRC3_GFX90A:ACCUM_OFFSET: 5
; COMPUTE_PGM_RSRC3_GFX90A:TG_SPLIT: 0
	.section	.text._ZL18rocblas_dot_kernelIlLb1ELi1024ELi32ELb1E19rocblas_complex_numIdEPKS1_S1_EviT5_lT_lS4_lS5_liPT6_PT4_,"axG",@progbits,_ZL18rocblas_dot_kernelIlLb1ELi1024ELi32ELb1E19rocblas_complex_numIdEPKS1_S1_EviT5_lT_lS4_lS5_liPT6_PT4_,comdat
	.globl	_ZL18rocblas_dot_kernelIlLb1ELi1024ELi32ELb1E19rocblas_complex_numIdEPKS1_S1_EviT5_lT_lS4_lS5_liPT6_PT4_ ; -- Begin function _ZL18rocblas_dot_kernelIlLb1ELi1024ELi32ELb1E19rocblas_complex_numIdEPKS1_S1_EviT5_lT_lS4_lS5_liPT6_PT4_
	.p2align	8
	.type	_ZL18rocblas_dot_kernelIlLb1ELi1024ELi32ELb1E19rocblas_complex_numIdEPKS1_S1_EviT5_lT_lS4_lS5_liPT6_PT4_,@function
_ZL18rocblas_dot_kernelIlLb1ELi1024ELi32ELb1E19rocblas_complex_numIdEPKS1_S1_EviT5_lT_lS4_lS5_liPT6_PT4_: ; @_ZL18rocblas_dot_kernelIlLb1ELi1024ELi32ELb1E19rocblas_complex_numIdEPKS1_S1_EviT5_lT_lS4_lS5_liPT6_PT4_
; %bb.0:
	s_mov_b32 s2, s7
	s_load_dword s18, s[4:5], 0x0
	s_load_dwordx2 s[6:7], s[4:5], 0x58
	v_pk_mov_b32 v[2:3], 0, 0
	s_mov_b32 s3, 0
	v_pk_mov_b32 v[6:7], v[2:3], v[2:3] op_sel:[0,1]
	s_waitcnt lgkmcnt(0)
	v_cmp_gt_i32_e32 vcc, s18, v0
	s_and_saveexec_b64 s[16:17], vcc
	s_cbranch_execz .LBB134_4
; %bb.1:
	s_load_dword s19, s[4:5], 0x60
	s_load_dwordx2 s[0:1], s[4:5], 0x40
	s_load_dwordx8 s[8:15], s[4:5], 0x20
	s_load_dwordx2 s[24:25], s[4:5], 0x8
	s_load_dwordx4 s[20:23], s[4:5], 0x10
	s_waitcnt lgkmcnt(0)
	s_lshl_b32 s19, s19, 10
	s_mul_i32 s1, s1, s2
	s_mul_i32 s4, s9, s2
	s_mul_hi_u32 s5, s8, s2
	s_add_i32 s5, s5, s4
	s_mul_i32 s4, s8, s2
	v_mad_u64_u32 v[2:3], s[8:9], s22, v0, 0
	v_mov_b32_e32 v4, v3
	v_mad_u64_u32 v[4:5], s[8:9], s23, v0, v[4:5]
	s_lshl_b64 s[4:5], s[4:5], 4
	s_lshl_b64 s[8:9], s[20:21], 4
	s_add_u32 s8, s24, s8
	s_addc_u32 s9, s25, s9
	v_mov_b32_e32 v3, v4
	s_add_u32 s4, s8, s4
	v_lshlrev_b64 v[2:3], 4, v[2:3]
	s_addc_u32 s5, s9, s5
	v_mov_b32_e32 v4, s5
	v_add_co_u32_e32 v2, vcc, s4, v2
	v_addc_co_u32_e32 v3, vcc, v4, v3, vcc
	v_add_co_u32_e32 v4, vcc, 8, v2
	s_ashr_i32 s20, s19, 31
	s_mul_hi_u32 s8, s0, s2
	v_addc_co_u32_e32 v5, vcc, 0, v3, vcc
	s_mul_i32 s4, s22, s20
	s_mul_hi_u32 s5, s22, s19
	s_add_i32 s1, s8, s1
	v_mad_u64_u32 v[2:3], s[8:9], s14, v0, 0
	s_add_i32 s4, s5, s4
	s_mul_i32 s5, s23, s19
	v_mov_b32_e32 v6, v3
	s_add_i32 s5, s4, s5
	s_mul_i32 s4, s22, s19
	s_mul_i32 s0, s0, s2
	v_mad_u64_u32 v[6:7], s[8:9], s15, v0, v[6:7]
	s_lshl_b64 s[4:5], s[4:5], 4
	s_lshl_b64 s[0:1], s[0:1], 4
	;; [unrolled: 1-line block ×3, first 2 shown]
	s_add_u32 s8, s10, s8
	s_addc_u32 s9, s11, s9
	v_mov_b32_e32 v3, v6
	s_add_u32 s0, s8, s0
	v_lshlrev_b64 v[2:3], 4, v[2:3]
	s_addc_u32 s1, s9, s1
	v_mov_b32_e32 v6, s1
	v_add_co_u32_e32 v2, vcc, s0, v2
	s_mul_i32 s0, s14, s20
	s_mul_hi_u32 s1, s14, s19
	v_addc_co_u32_e32 v3, vcc, v6, v3, vcc
	s_add_i32 s0, s1, s0
	s_mul_i32 s1, s15, s19
	v_add_co_u32_e32 v8, vcc, 8, v2
	s_add_i32 s1, s0, s1
	s_mul_i32 s0, s14, s19
	v_addc_co_u32_e32 v9, vcc, 0, v3, vcc
	s_lshl_b64 s[10:11], s[0:1], 4
	v_pk_mov_b32 v[2:3], 0, 0
	v_or_b32_e32 v1, s19, v0
	s_mov_b64 s[8:9], 0
	v_mov_b32_e32 v10, s5
	v_mov_b32_e32 v11, s11
	s_mov_b32 s5, s3
	v_pk_mov_b32 v[6:7], v[2:3], v[2:3] op_sel:[0,1]
.LBB134_2:                              ; =>This Inner Loop Header: Depth=1
	global_load_dwordx4 v[12:15], v[8:9], off offset:-8
	global_load_dwordx4 v[16:19], v[4:5], off offset:-8
	v_add_co_u32_e64 v4, s[0:1], s4, v4
	v_addc_co_u32_e64 v5, s[0:1], v5, v10, s[0:1]
	s_add_i32 s11, s5, 1
	v_add_co_u32_e64 v8, s[0:1], s10, v8
	v_addc_co_u32_e64 v9, s[0:1], v9, v11, s[0:1]
	s_cmp_gt_u32 s5, 30
	v_cmp_le_i32_e32 vcc, s18, v1
	s_cselect_b64 s[0:1], -1, 0
	s_or_b64 s[0:1], s[0:1], vcc
	s_and_b64 s[0:1], exec, s[0:1]
	v_add_u32_e32 v1, s19, v1
	s_mov_b32 s5, s11
	s_or_b64 s[8:9], s[0:1], s[8:9]
	s_waitcnt vmcnt(0)
	v_mul_f64 v[20:21], v[14:15], v[18:19]
	v_mul_f64 v[18:19], v[12:13], v[18:19]
	v_fmac_f64_e32 v[20:21], v[12:13], v[16:17]
	v_fma_f64 v[12:13], v[14:15], v[16:17], -v[18:19]
	v_add_f64 v[6:7], v[6:7], v[20:21]
	v_add_f64 v[2:3], v[2:3], v[12:13]
	s_andn2_b64 exec, exec, s[8:9]
	s_cbranch_execnz .LBB134_2
; %bb.3:
	s_or_b64 exec, exec, s[8:9]
.LBB134_4:
	s_or_b64 exec, exec, s[16:17]
	v_and_b32_e32 v13, 63, v0
	v_cmp_gt_u32_e32 vcc, 64, v0
	v_lshlrev_b32_e32 v1, 4, v13
	s_and_saveexec_b64 s[0:1], vcc
	s_cbranch_execz .LBB134_6
; %bb.5:
	v_mov_b32_e32 v8, 0
	v_mov_b32_e32 v9, v8
	;; [unrolled: 1-line block ×4, first 2 shown]
	ds_write_b128 v1, v[8:11]
.LBB134_6:
	s_or_b64 exec, exec, s[0:1]
	v_mbcnt_lo_u32_b32 v4, -1, 0
	v_mbcnt_hi_u32_b32 v14, -1, v4
	v_and_b32_e32 v15, 63, v14
	v_cmp_gt_u32_e64 s[0:1], 32, v15
	v_cndmask_b32_e64 v4, 0, 1, s[0:1]
	v_lshlrev_b32_e32 v4, 5, v4
	v_add_lshl_u32 v9, v4, v14, 2
	ds_bpermute_b32 v4, v9, v6
	ds_bpermute_b32 v5, v9, v7
	;; [unrolled: 1-line block ×4, first 2 shown]
	v_cmp_gt_u32_e64 s[0:1], 48, v15
	s_waitcnt lgkmcnt(0)
	v_add_f64 v[4:5], v[6:7], v[4:5]
	v_cndmask_b32_e64 v6, 0, 1, s[0:1]
	v_lshlrev_b32_e32 v6, 4, v6
	v_add_f64 v[2:3], v[2:3], v[8:9]
	v_add_lshl_u32 v9, v6, v14, 2
	ds_bpermute_b32 v6, v9, v4
	ds_bpermute_b32 v7, v9, v5
	;; [unrolled: 1-line block ×4, first 2 shown]
	v_cmp_gt_u32_e64 s[0:1], 56, v15
	s_barrier
	s_waitcnt lgkmcnt(2)
	v_add_f64 v[4:5], v[4:5], v[6:7]
	v_cndmask_b32_e64 v6, 0, 1, s[0:1]
	v_lshlrev_b32_e32 v6, 3, v6
	v_add_lshl_u32 v10, v6, v14, 2
	ds_bpermute_b32 v6, v10, v4
	ds_bpermute_b32 v7, v10, v5
	s_waitcnt lgkmcnt(2)
	v_add_f64 v[2:3], v[2:3], v[8:9]
	ds_bpermute_b32 v8, v10, v2
	ds_bpermute_b32 v9, v10, v3
	v_cmp_gt_u32_e64 s[0:1], 60, v15
	s_waitcnt lgkmcnt(2)
	v_add_f64 v[4:5], v[4:5], v[6:7]
	v_cndmask_b32_e64 v6, 0, 1, s[0:1]
	v_lshlrev_b32_e32 v6, 2, v6
	s_waitcnt lgkmcnt(0)
	v_add_f64 v[2:3], v[2:3], v[8:9]
	v_add_lshl_u32 v11, v6, v14, 2
	ds_bpermute_b32 v6, v11, v4
	ds_bpermute_b32 v7, v11, v5
	;; [unrolled: 1-line block ×4, first 2 shown]
	v_cmp_gt_u32_e64 s[0:1], 62, v15
	s_waitcnt lgkmcnt(0)
	v_add_f64 v[4:5], v[4:5], v[6:7]
	v_add_f64 v[6:7], v[2:3], v[8:9]
	v_cndmask_b32_e64 v2, 0, 1, s[0:1]
	v_lshlrev_b32_e32 v2, 1, v2
	v_add_lshl_u32 v12, v2, v14, 2
	ds_bpermute_b32 v2, v12, v4
	ds_bpermute_b32 v3, v12, v5
	;; [unrolled: 1-line block ×4, first 2 shown]
	v_cmp_ne_u32_e64 s[0:1], 63, v15
	s_waitcnt lgkmcnt(2)
	v_add_f64 v[2:3], v[4:5], v[2:3]
	v_addc_co_u32_e64 v4, s[0:1], 0, v14, s[0:1]
	s_waitcnt lgkmcnt(0)
	v_add_f64 v[6:7], v[6:7], v[8:9]
	v_lshlrev_b32_e32 v14, 2, v4
	ds_bpermute_b32 v4, v14, v2
	ds_bpermute_b32 v5, v14, v3
	;; [unrolled: 1-line block ×4, first 2 shown]
	v_cmp_eq_u32_e64 s[0:1], 0, v13
	s_and_saveexec_b64 s[4:5], s[0:1]
	s_cbranch_execz .LBB134_8
; %bb.7:
	v_lshrrev_b32_e32 v13, 2, v0
	v_and_b32_e32 v13, 0xf0, v13
	s_waitcnt lgkmcnt(0)
	v_add_f64 v[6:7], v[6:7], v[8:9]
	v_add_f64 v[4:5], v[2:3], v[4:5]
	ds_write_b128 v13, v[4:7]
.LBB134_8:
	s_or_b64 exec, exec, s[4:5]
	s_waitcnt lgkmcnt(2)
	v_pk_mov_b32 v[4:5], 0, 0
	v_cmp_gt_u32_e64 s[0:1], 16, v0
	v_pk_mov_b32 v[2:3], v[4:5], v[4:5] op_sel:[0,1]
	s_waitcnt lgkmcnt(0)
	s_barrier
	s_and_saveexec_b64 s[4:5], s[0:1]
	s_cbranch_execnz .LBB134_12
; %bb.9:
	s_or_b64 exec, exec, s[4:5]
	s_and_saveexec_b64 s[0:1], vcc
	s_cbranch_execnz .LBB134_13
.LBB134_10:
	s_or_b64 exec, exec, s[0:1]
	v_cmp_eq_u32_e32 vcc, 0, v0
	s_and_saveexec_b64 s[0:1], vcc
	s_cbranch_execnz .LBB134_14
.LBB134_11:
	s_endpgm
.LBB134_12:
	ds_read_b128 v[2:5], v1
	s_or_b64 exec, exec, s[4:5]
	s_and_saveexec_b64 s[0:1], vcc
	s_cbranch_execz .LBB134_10
.LBB134_13:
	s_waitcnt lgkmcnt(0)
	ds_bpermute_b32 v6, v10, v2
	ds_bpermute_b32 v7, v10, v3
	;; [unrolled: 1-line block ×4, first 2 shown]
	s_waitcnt lgkmcnt(2)
	v_add_f64 v[2:3], v[2:3], v[6:7]
	ds_bpermute_b32 v6, v11, v2
	s_waitcnt lgkmcnt(1)
	v_add_f64 v[4:5], v[4:5], v[8:9]
	ds_bpermute_b32 v7, v11, v3
	ds_bpermute_b32 v8, v11, v4
	ds_bpermute_b32 v9, v11, v5
	s_waitcnt lgkmcnt(2)
	v_add_f64 v[2:3], v[2:3], v[6:7]
	ds_bpermute_b32 v6, v12, v2
	s_waitcnt lgkmcnt(1)
	v_add_f64 v[4:5], v[4:5], v[8:9]
	ds_bpermute_b32 v7, v12, v3
	ds_bpermute_b32 v8, v12, v4
	ds_bpermute_b32 v9, v12, v5
	;; [unrolled: 8-line block ×3, first 2 shown]
	s_waitcnt lgkmcnt(2)
	v_add_f64 v[2:3], v[2:3], v[6:7]
	s_waitcnt lgkmcnt(0)
	v_add_f64 v[4:5], v[4:5], v[8:9]
	s_or_b64 exec, exec, s[0:1]
	v_cmp_eq_u32_e32 vcc, 0, v0
	s_and_saveexec_b64 s[0:1], vcc
	s_cbranch_execz .LBB134_11
.LBB134_14:
	s_lshl_b64 s[0:1], s[2:3], 4
	s_add_u32 s0, s6, s0
	s_addc_u32 s1, s7, s1
	v_mov_b32_e32 v0, 0
	s_waitcnt lgkmcnt(0)
	global_store_dwordx4 v0, v[2:5], s[0:1]
	s_endpgm
	.section	.rodata,"a",@progbits
	.p2align	6, 0x0
	.amdhsa_kernel _ZL18rocblas_dot_kernelIlLb1ELi1024ELi32ELb1E19rocblas_complex_numIdEPKS1_S1_EviT5_lT_lS4_lS5_liPT6_PT4_
		.amdhsa_group_segment_fixed_size 1024
		.amdhsa_private_segment_fixed_size 0
		.amdhsa_kernarg_size 352
		.amdhsa_user_sgpr_count 6
		.amdhsa_user_sgpr_private_segment_buffer 1
		.amdhsa_user_sgpr_dispatch_ptr 0
		.amdhsa_user_sgpr_queue_ptr 0
		.amdhsa_user_sgpr_kernarg_segment_ptr 1
		.amdhsa_user_sgpr_dispatch_id 0
		.amdhsa_user_sgpr_flat_scratch_init 0
		.amdhsa_user_sgpr_kernarg_preload_length 0
		.amdhsa_user_sgpr_kernarg_preload_offset 0
		.amdhsa_user_sgpr_private_segment_size 0
		.amdhsa_uses_dynamic_stack 0
		.amdhsa_system_sgpr_private_segment_wavefront_offset 0
		.amdhsa_system_sgpr_workgroup_id_x 1
		.amdhsa_system_sgpr_workgroup_id_y 0
		.amdhsa_system_sgpr_workgroup_id_z 1
		.amdhsa_system_sgpr_workgroup_info 0
		.amdhsa_system_vgpr_workitem_id 0
		.amdhsa_next_free_vgpr 22
		.amdhsa_next_free_sgpr 26
		.amdhsa_accum_offset 24
		.amdhsa_reserve_vcc 1
		.amdhsa_reserve_flat_scratch 0
		.amdhsa_float_round_mode_32 0
		.amdhsa_float_round_mode_16_64 0
		.amdhsa_float_denorm_mode_32 3
		.amdhsa_float_denorm_mode_16_64 3
		.amdhsa_dx10_clamp 1
		.amdhsa_ieee_mode 1
		.amdhsa_fp16_overflow 0
		.amdhsa_tg_split 0
		.amdhsa_exception_fp_ieee_invalid_op 0
		.amdhsa_exception_fp_denorm_src 0
		.amdhsa_exception_fp_ieee_div_zero 0
		.amdhsa_exception_fp_ieee_overflow 0
		.amdhsa_exception_fp_ieee_underflow 0
		.amdhsa_exception_fp_ieee_inexact 0
		.amdhsa_exception_int_div_zero 0
	.end_amdhsa_kernel
	.section	.text._ZL18rocblas_dot_kernelIlLb1ELi1024ELi32ELb1E19rocblas_complex_numIdEPKS1_S1_EviT5_lT_lS4_lS5_liPT6_PT4_,"axG",@progbits,_ZL18rocblas_dot_kernelIlLb1ELi1024ELi32ELb1E19rocblas_complex_numIdEPKS1_S1_EviT5_lT_lS4_lS5_liPT6_PT4_,comdat
.Lfunc_end134:
	.size	_ZL18rocblas_dot_kernelIlLb1ELi1024ELi32ELb1E19rocblas_complex_numIdEPKS1_S1_EviT5_lT_lS4_lS5_liPT6_PT4_, .Lfunc_end134-_ZL18rocblas_dot_kernelIlLb1ELi1024ELi32ELb1E19rocblas_complex_numIdEPKS1_S1_EviT5_lT_lS4_lS5_liPT6_PT4_
                                        ; -- End function
	.section	.AMDGPU.csdata,"",@progbits
; Kernel info:
; codeLenInByte = 1500
; NumSgprs: 30
; NumVgprs: 22
; NumAgprs: 0
; TotalNumVgprs: 22
; ScratchSize: 0
; MemoryBound: 0
; FloatMode: 240
; IeeeMode: 1
; LDSByteSize: 1024 bytes/workgroup (compile time only)
; SGPRBlocks: 3
; VGPRBlocks: 2
; NumSGPRsForWavesPerEU: 30
; NumVGPRsForWavesPerEU: 22
; AccumOffset: 24
; Occupancy: 8
; WaveLimiterHint : 0
; COMPUTE_PGM_RSRC2:SCRATCH_EN: 0
; COMPUTE_PGM_RSRC2:USER_SGPR: 6
; COMPUTE_PGM_RSRC2:TRAP_HANDLER: 0
; COMPUTE_PGM_RSRC2:TGID_X_EN: 1
; COMPUTE_PGM_RSRC2:TGID_Y_EN: 0
; COMPUTE_PGM_RSRC2:TGID_Z_EN: 1
; COMPUTE_PGM_RSRC2:TIDIG_COMP_CNT: 0
; COMPUTE_PGM_RSRC3_GFX90A:ACCUM_OFFSET: 5
; COMPUTE_PGM_RSRC3_GFX90A:TG_SPLIT: 0
	.section	.text._ZL24rocblas_dot_kernel_magsqIlLb1ELi1024ELi32ELb1E19rocblas_complex_numIdEPKS1_S1_EviT5_lT_liPT6_PT4_,"axG",@progbits,_ZL24rocblas_dot_kernel_magsqIlLb1ELi1024ELi32ELb1E19rocblas_complex_numIdEPKS1_S1_EviT5_lT_liPT6_PT4_,comdat
	.globl	_ZL24rocblas_dot_kernel_magsqIlLb1ELi1024ELi32ELb1E19rocblas_complex_numIdEPKS1_S1_EviT5_lT_liPT6_PT4_ ; -- Begin function _ZL24rocblas_dot_kernel_magsqIlLb1ELi1024ELi32ELb1E19rocblas_complex_numIdEPKS1_S1_EviT5_lT_liPT6_PT4_
	.p2align	8
	.type	_ZL24rocblas_dot_kernel_magsqIlLb1ELi1024ELi32ELb1E19rocblas_complex_numIdEPKS1_S1_EviT5_lT_liPT6_PT4_,@function
_ZL24rocblas_dot_kernel_magsqIlLb1ELi1024ELi32ELb1E19rocblas_complex_numIdEPKS1_S1_EviT5_lT_liPT6_PT4_: ; @_ZL24rocblas_dot_kernel_magsqIlLb1ELi1024ELi32ELb1E19rocblas_complex_numIdEPKS1_S1_EviT5_lT_liPT6_PT4_
; %bb.0:
	s_mov_b32 s2, s7
	s_load_dword s12, s[4:5], 0x0
	s_load_dwordx2 s[6:7], s[4:5], 0x38
	v_pk_mov_b32 v[2:3], 0, 0
	s_mov_b32 s3, 0
	v_pk_mov_b32 v[4:5], v[2:3], v[2:3] op_sel:[0,1]
	s_waitcnt lgkmcnt(0)
	v_cmp_gt_i32_e32 vcc, s12, v0
	s_and_saveexec_b64 s[8:9], vcc
	s_cbranch_execz .LBB135_4
; %bb.1:
	s_load_dword s13, s[4:5], 0x40
	s_load_dwordx2 s[0:1], s[4:5], 0x20
	s_load_dwordx2 s[10:11], s[4:5], 0x8
	s_load_dwordx4 s[16:19], s[4:5], 0x10
	s_waitcnt lgkmcnt(0)
	s_lshl_b32 s13, s13, 10
	s_mul_i32 s1, s1, s2
	s_mul_hi_u32 s4, s0, s2
	s_add_i32 s1, s4, s1
	v_mad_u64_u32 v[2:3], s[4:5], s18, v0, 0
	v_mov_b32_e32 v4, v3
	s_mul_i32 s0, s0, s2
	v_mad_u64_u32 v[4:5], s[4:5], s19, v0, v[4:5]
	s_lshl_b64 s[0:1], s[0:1], 4
	s_lshl_b64 s[4:5], s[16:17], 4
	s_add_u32 s4, s10, s4
	v_mov_b32_e32 v3, v4
	s_addc_u32 s5, s11, s5
	v_lshlrev_b64 v[2:3], 4, v[2:3]
	s_add_u32 s0, s4, s0
	s_addc_u32 s1, s5, s1
	v_add_co_u32_e32 v6, vcc, s0, v2
	s_ashr_i32 s0, s13, 31
	v_mov_b32_e32 v4, s1
	s_mul_i32 s0, s18, s0
	s_mul_hi_u32 s1, s18, s13
	s_add_i32 s0, s1, s0
	s_mul_i32 s1, s19, s13
	s_add_i32 s1, s0, s1
	s_mul_i32 s0, s18, s13
	v_addc_co_u32_e32 v7, vcc, v4, v3, vcc
	s_lshl_b64 s[10:11], s[0:1], 4
	v_pk_mov_b32 v[2:3], 0, 0
	v_or_b32_e32 v1, s13, v0
	s_mov_b64 s[4:5], 0
	v_mov_b32_e32 v8, s11
	s_mov_b32 s11, s3
	v_pk_mov_b32 v[4:5], v[2:3], v[2:3] op_sel:[0,1]
.LBB135_2:                              ; =>This Inner Loop Header: Depth=1
	global_load_dwordx4 v[10:13], v[6:7], off
	s_add_i32 s14, s11, 1
	v_add_co_u32_e64 v6, s[0:1], s10, v6
	v_addc_co_u32_e64 v7, s[0:1], v7, v8, s[0:1]
	s_cmp_gt_u32 s11, 30
	v_cmp_le_i32_e32 vcc, s12, v1
	s_cselect_b64 s[0:1], -1, 0
	s_or_b64 s[0:1], s[0:1], vcc
	s_and_b64 s[0:1], exec, s[0:1]
	v_add_u32_e32 v1, s13, v1
	s_mov_b32 s11, s14
	s_or_b64 s[4:5], s[0:1], s[4:5]
	s_waitcnt vmcnt(0)
	v_mul_f64 v[14:15], v[12:13], v[12:13]
	v_mul_f64 v[16:17], v[10:11], v[12:13]
	v_fmac_f64_e32 v[14:15], v[10:11], v[10:11]
	v_fma_f64 v[10:11], v[10:11], v[12:13], -v[16:17]
	v_add_f64 v[4:5], v[4:5], v[14:15]
	v_add_f64 v[2:3], v[2:3], v[10:11]
	s_andn2_b64 exec, exec, s[4:5]
	s_cbranch_execnz .LBB135_2
; %bb.3:
	s_or_b64 exec, exec, s[4:5]
.LBB135_4:
	s_or_b64 exec, exec, s[8:9]
	v_and_b32_e32 v13, 63, v0
	v_cmp_gt_u32_e32 vcc, 64, v0
	v_lshlrev_b32_e32 v1, 4, v13
	s_and_saveexec_b64 s[0:1], vcc
	s_cbranch_execz .LBB135_6
; %bb.5:
	v_mov_b32_e32 v6, 0
	v_mov_b32_e32 v7, v6
	;; [unrolled: 1-line block ×4, first 2 shown]
	ds_write_b128 v1, v[6:9]
.LBB135_6:
	s_or_b64 exec, exec, s[0:1]
	v_mbcnt_lo_u32_b32 v6, -1, 0
	v_mbcnt_hi_u32_b32 v14, -1, v6
	v_and_b32_e32 v15, 63, v14
	v_cmp_gt_u32_e64 s[0:1], 32, v15
	v_cndmask_b32_e64 v6, 0, 1, s[0:1]
	v_lshlrev_b32_e32 v6, 5, v6
	v_add_lshl_u32 v9, v6, v14, 2
	ds_bpermute_b32 v6, v9, v4
	ds_bpermute_b32 v7, v9, v5
	;; [unrolled: 1-line block ×4, first 2 shown]
	v_cmp_gt_u32_e64 s[0:1], 48, v15
	s_waitcnt lgkmcnt(0)
	v_add_f64 v[4:5], v[4:5], v[6:7]
	v_cndmask_b32_e64 v6, 0, 1, s[0:1]
	v_lshlrev_b32_e32 v6, 4, v6
	v_add_f64 v[2:3], v[2:3], v[8:9]
	v_add_lshl_u32 v9, v6, v14, 2
	ds_bpermute_b32 v6, v9, v4
	ds_bpermute_b32 v7, v9, v5
	;; [unrolled: 1-line block ×4, first 2 shown]
	v_cmp_gt_u32_e64 s[0:1], 56, v15
	s_barrier
	s_waitcnt lgkmcnt(2)
	v_add_f64 v[4:5], v[4:5], v[6:7]
	v_cndmask_b32_e64 v6, 0, 1, s[0:1]
	v_lshlrev_b32_e32 v6, 3, v6
	v_add_lshl_u32 v10, v6, v14, 2
	ds_bpermute_b32 v6, v10, v4
	ds_bpermute_b32 v7, v10, v5
	s_waitcnt lgkmcnt(2)
	v_add_f64 v[2:3], v[2:3], v[8:9]
	ds_bpermute_b32 v8, v10, v2
	ds_bpermute_b32 v9, v10, v3
	v_cmp_gt_u32_e64 s[0:1], 60, v15
	s_waitcnt lgkmcnt(2)
	v_add_f64 v[4:5], v[4:5], v[6:7]
	v_cndmask_b32_e64 v6, 0, 1, s[0:1]
	v_lshlrev_b32_e32 v6, 2, v6
	s_waitcnt lgkmcnt(0)
	v_add_f64 v[2:3], v[2:3], v[8:9]
	v_add_lshl_u32 v11, v6, v14, 2
	ds_bpermute_b32 v6, v11, v4
	ds_bpermute_b32 v7, v11, v5
	;; [unrolled: 1-line block ×4, first 2 shown]
	v_cmp_gt_u32_e64 s[0:1], 62, v15
	s_waitcnt lgkmcnt(0)
	v_add_f64 v[4:5], v[4:5], v[6:7]
	v_add_f64 v[6:7], v[2:3], v[8:9]
	v_cndmask_b32_e64 v2, 0, 1, s[0:1]
	v_lshlrev_b32_e32 v2, 1, v2
	v_add_lshl_u32 v12, v2, v14, 2
	ds_bpermute_b32 v2, v12, v4
	ds_bpermute_b32 v3, v12, v5
	;; [unrolled: 1-line block ×4, first 2 shown]
	v_cmp_ne_u32_e64 s[0:1], 63, v15
	s_waitcnt lgkmcnt(2)
	v_add_f64 v[2:3], v[4:5], v[2:3]
	v_addc_co_u32_e64 v4, s[0:1], 0, v14, s[0:1]
	s_waitcnt lgkmcnt(0)
	v_add_f64 v[6:7], v[6:7], v[8:9]
	v_lshlrev_b32_e32 v14, 2, v4
	ds_bpermute_b32 v4, v14, v2
	ds_bpermute_b32 v5, v14, v3
	ds_bpermute_b32 v8, v14, v6
	ds_bpermute_b32 v9, v14, v7
	v_cmp_eq_u32_e64 s[0:1], 0, v13
	s_and_saveexec_b64 s[4:5], s[0:1]
	s_cbranch_execz .LBB135_8
; %bb.7:
	v_lshrrev_b32_e32 v13, 2, v0
	v_and_b32_e32 v13, 0xf0, v13
	s_waitcnt lgkmcnt(0)
	v_add_f64 v[6:7], v[6:7], v[8:9]
	v_add_f64 v[4:5], v[2:3], v[4:5]
	ds_write_b128 v13, v[4:7]
.LBB135_8:
	s_or_b64 exec, exec, s[4:5]
	s_waitcnt lgkmcnt(2)
	v_pk_mov_b32 v[4:5], 0, 0
	v_cmp_gt_u32_e64 s[0:1], 16, v0
	v_pk_mov_b32 v[2:3], v[4:5], v[4:5] op_sel:[0,1]
	s_waitcnt lgkmcnt(0)
	s_barrier
	s_and_saveexec_b64 s[4:5], s[0:1]
	s_cbranch_execnz .LBB135_12
; %bb.9:
	s_or_b64 exec, exec, s[4:5]
	s_and_saveexec_b64 s[0:1], vcc
	s_cbranch_execnz .LBB135_13
.LBB135_10:
	s_or_b64 exec, exec, s[0:1]
	v_cmp_eq_u32_e32 vcc, 0, v0
	s_and_saveexec_b64 s[0:1], vcc
	s_cbranch_execnz .LBB135_14
.LBB135_11:
	s_endpgm
.LBB135_12:
	ds_read_b128 v[2:5], v1
	s_or_b64 exec, exec, s[4:5]
	s_and_saveexec_b64 s[0:1], vcc
	s_cbranch_execz .LBB135_10
.LBB135_13:
	s_waitcnt lgkmcnt(0)
	ds_bpermute_b32 v6, v10, v2
	ds_bpermute_b32 v7, v10, v3
	;; [unrolled: 1-line block ×4, first 2 shown]
	s_waitcnt lgkmcnt(2)
	v_add_f64 v[2:3], v[2:3], v[6:7]
	ds_bpermute_b32 v6, v11, v2
	s_waitcnt lgkmcnt(1)
	v_add_f64 v[4:5], v[4:5], v[8:9]
	ds_bpermute_b32 v7, v11, v3
	ds_bpermute_b32 v8, v11, v4
	ds_bpermute_b32 v9, v11, v5
	s_waitcnt lgkmcnt(2)
	v_add_f64 v[2:3], v[2:3], v[6:7]
	ds_bpermute_b32 v6, v12, v2
	s_waitcnt lgkmcnt(1)
	v_add_f64 v[4:5], v[4:5], v[8:9]
	ds_bpermute_b32 v7, v12, v3
	ds_bpermute_b32 v8, v12, v4
	ds_bpermute_b32 v9, v12, v5
	;; [unrolled: 8-line block ×3, first 2 shown]
	s_waitcnt lgkmcnt(2)
	v_add_f64 v[2:3], v[2:3], v[6:7]
	s_waitcnt lgkmcnt(0)
	v_add_f64 v[4:5], v[4:5], v[8:9]
	s_or_b64 exec, exec, s[0:1]
	v_cmp_eq_u32_e32 vcc, 0, v0
	s_and_saveexec_b64 s[0:1], vcc
	s_cbranch_execz .LBB135_11
.LBB135_14:
	s_lshl_b64 s[0:1], s[2:3], 4
	s_add_u32 s0, s6, s0
	s_addc_u32 s1, s7, s1
	v_mov_b32_e32 v0, 0
	s_waitcnt lgkmcnt(0)
	global_store_dwordx4 v0, v[2:5], s[0:1]
	s_endpgm
	.section	.rodata,"a",@progbits
	.p2align	6, 0x0
	.amdhsa_kernel _ZL24rocblas_dot_kernel_magsqIlLb1ELi1024ELi32ELb1E19rocblas_complex_numIdEPKS1_S1_EviT5_lT_liPT6_PT4_
		.amdhsa_group_segment_fixed_size 1024
		.amdhsa_private_segment_fixed_size 0
		.amdhsa_kernarg_size 320
		.amdhsa_user_sgpr_count 6
		.amdhsa_user_sgpr_private_segment_buffer 1
		.amdhsa_user_sgpr_dispatch_ptr 0
		.amdhsa_user_sgpr_queue_ptr 0
		.amdhsa_user_sgpr_kernarg_segment_ptr 1
		.amdhsa_user_sgpr_dispatch_id 0
		.amdhsa_user_sgpr_flat_scratch_init 0
		.amdhsa_user_sgpr_kernarg_preload_length 0
		.amdhsa_user_sgpr_kernarg_preload_offset 0
		.amdhsa_user_sgpr_private_segment_size 0
		.amdhsa_uses_dynamic_stack 0
		.amdhsa_system_sgpr_private_segment_wavefront_offset 0
		.amdhsa_system_sgpr_workgroup_id_x 1
		.amdhsa_system_sgpr_workgroup_id_y 0
		.amdhsa_system_sgpr_workgroup_id_z 1
		.amdhsa_system_sgpr_workgroup_info 0
		.amdhsa_system_vgpr_workitem_id 0
		.amdhsa_next_free_vgpr 18
		.amdhsa_next_free_sgpr 20
		.amdhsa_accum_offset 20
		.amdhsa_reserve_vcc 1
		.amdhsa_reserve_flat_scratch 0
		.amdhsa_float_round_mode_32 0
		.amdhsa_float_round_mode_16_64 0
		.amdhsa_float_denorm_mode_32 3
		.amdhsa_float_denorm_mode_16_64 3
		.amdhsa_dx10_clamp 1
		.amdhsa_ieee_mode 1
		.amdhsa_fp16_overflow 0
		.amdhsa_tg_split 0
		.amdhsa_exception_fp_ieee_invalid_op 0
		.amdhsa_exception_fp_denorm_src 0
		.amdhsa_exception_fp_ieee_div_zero 0
		.amdhsa_exception_fp_ieee_overflow 0
		.amdhsa_exception_fp_ieee_underflow 0
		.amdhsa_exception_fp_ieee_inexact 0
		.amdhsa_exception_int_div_zero 0
	.end_amdhsa_kernel
	.section	.text._ZL24rocblas_dot_kernel_magsqIlLb1ELi1024ELi32ELb1E19rocblas_complex_numIdEPKS1_S1_EviT5_lT_liPT6_PT4_,"axG",@progbits,_ZL24rocblas_dot_kernel_magsqIlLb1ELi1024ELi32ELb1E19rocblas_complex_numIdEPKS1_S1_EviT5_lT_liPT6_PT4_,comdat
.Lfunc_end135:
	.size	_ZL24rocblas_dot_kernel_magsqIlLb1ELi1024ELi32ELb1E19rocblas_complex_numIdEPKS1_S1_EviT5_lT_liPT6_PT4_, .Lfunc_end135-_ZL24rocblas_dot_kernel_magsqIlLb1ELi1024ELi32ELb1E19rocblas_complex_numIdEPKS1_S1_EviT5_lT_liPT6_PT4_
                                        ; -- End function
	.section	.AMDGPU.csdata,"",@progbits
; Kernel info:
; codeLenInByte = 1336
; NumSgprs: 24
; NumVgprs: 18
; NumAgprs: 0
; TotalNumVgprs: 18
; ScratchSize: 0
; MemoryBound: 0
; FloatMode: 240
; IeeeMode: 1
; LDSByteSize: 1024 bytes/workgroup (compile time only)
; SGPRBlocks: 2
; VGPRBlocks: 2
; NumSGPRsForWavesPerEU: 24
; NumVGPRsForWavesPerEU: 18
; AccumOffset: 20
; Occupancy: 8
; WaveLimiterHint : 0
; COMPUTE_PGM_RSRC2:SCRATCH_EN: 0
; COMPUTE_PGM_RSRC2:USER_SGPR: 6
; COMPUTE_PGM_RSRC2:TRAP_HANDLER: 0
; COMPUTE_PGM_RSRC2:TGID_X_EN: 1
; COMPUTE_PGM_RSRC2:TGID_Y_EN: 0
; COMPUTE_PGM_RSRC2:TGID_Z_EN: 1
; COMPUTE_PGM_RSRC2:TIDIG_COMP_CNT: 0
; COMPUTE_PGM_RSRC3_GFX90A:ACCUM_OFFSET: 4
; COMPUTE_PGM_RSRC3_GFX90A:TG_SPLIT: 0
	.section	.text._ZL18rocblas_dot_kernelIlLb0ELi512ELi2ELb1E19rocblas_complex_numIdEPKS1_S1_EviT5_lT_lS4_lS5_liPT6_PT4_,"axG",@progbits,_ZL18rocblas_dot_kernelIlLb0ELi512ELi2ELb1E19rocblas_complex_numIdEPKS1_S1_EviT5_lT_lS4_lS5_liPT6_PT4_,comdat
	.globl	_ZL18rocblas_dot_kernelIlLb0ELi512ELi2ELb1E19rocblas_complex_numIdEPKS1_S1_EviT5_lT_lS4_lS5_liPT6_PT4_ ; -- Begin function _ZL18rocblas_dot_kernelIlLb0ELi512ELi2ELb1E19rocblas_complex_numIdEPKS1_S1_EviT5_lT_lS4_lS5_liPT6_PT4_
	.p2align	8
	.type	_ZL18rocblas_dot_kernelIlLb0ELi512ELi2ELb1E19rocblas_complex_numIdEPKS1_S1_EviT5_lT_lS4_lS5_liPT6_PT4_,@function
_ZL18rocblas_dot_kernelIlLb0ELi512ELi2ELb1E19rocblas_complex_numIdEPKS1_S1_EviT5_lT_lS4_lS5_liPT6_PT4_: ; @_ZL18rocblas_dot_kernelIlLb0ELi512ELi2ELb1E19rocblas_complex_numIdEPKS1_S1_EviT5_lT_lS4_lS5_liPT6_PT4_
; %bb.0:
	s_mov_b32 s16, s7
	s_load_dword s7, s[4:5], 0x0
	s_load_dword s20, s[4:5], 0x60
	v_lshl_or_b32 v1, s6, 9, v0
	v_pk_mov_b32 v[4:5], 0, 0
	s_mov_b32 s17, 0
	s_waitcnt lgkmcnt(0)
	v_cmp_gt_i32_e32 vcc, s7, v1
	v_pk_mov_b32 v[2:3], v[4:5], v[4:5] op_sel:[0,1]
	s_and_saveexec_b64 s[18:19], vcc
	s_cbranch_execz .LBB136_4
; %bb.1:
	s_load_dwordx8 s[8:15], s[4:5], 0x20
	s_load_dwordx2 s[22:23], s[4:5], 0x8
	s_load_dwordx4 s[0:3], s[4:5], 0x10
	s_load_dwordx2 s[24:25], s[4:5], 0x40
	v_ashrrev_i32_e32 v4, 31, v1
	s_waitcnt lgkmcnt(0)
	s_mul_i32 s9, s16, s9
	s_mul_hi_u32 s21, s16, s8
	s_add_i32 s9, s21, s9
	s_mul_i32 s8, s16, s8
	s_lshl_b64 s[8:9], s[8:9], 4
	s_add_u32 s8, s22, s8
	s_addc_u32 s9, s23, s9
	s_lshl_b64 s[0:1], s[0:1], 4
	s_add_u32 s8, s8, s0
	s_addc_u32 s9, s9, s1
	s_mul_i32 s0, s16, s25
	s_mul_hi_u32 s1, s16, s24
	s_add_i32 s1, s1, s0
	s_mul_i32 s0, s16, s24
	s_lshl_b64 s[0:1], s[0:1], 4
	s_add_u32 s10, s10, s0
	s_addc_u32 s11, s11, s1
	s_lshl_b64 s[0:1], s[12:13], 4
	s_add_u32 s10, s10, s0
	s_addc_u32 s11, s11, s1
	v_mul_lo_u32 v5, v1, s15
	v_mul_lo_u32 v6, v4, s14
	v_mad_u64_u32 v[2:3], s[0:1], v1, s14, 0
	v_add3_u32 v3, v3, v5, v6
	v_lshlrev_b64 v[2:3], 4, v[2:3]
	v_mov_b32_e32 v5, s11
	v_add_co_u32_e32 v10, vcc, s10, v2
	v_addc_co_u32_e32 v11, vcc, v5, v3, vcc
	v_mul_lo_u32 v5, v1, s3
	v_mul_lo_u32 v4, v4, s2
	v_mad_u64_u32 v[2:3], s[0:1], v1, s2, 0
	v_add3_u32 v3, v3, v5, v4
	v_lshlrev_b64 v[2:3], 4, v[2:3]
	v_mov_b32_e32 v1, s9
	v_add_co_u32_e32 v12, vcc, s8, v2
	v_addc_co_u32_e32 v13, vcc, v1, v3, vcc
	global_load_dwordx4 v[2:5], v[12:13], off
	global_load_dwordx4 v[6:9], v[10:11], off
	s_add_i32 s0, s6, s20
	v_lshl_or_b32 v1, s0, 9, v0
	v_cmp_gt_i32_e32 vcc, s7, v1
	s_waitcnt vmcnt(0)
	v_mul_f64 v[10:11], v[8:9], v[4:5]
	v_mul_f64 v[4:5], v[6:7], v[4:5]
	v_fmac_f64_e32 v[10:11], v[6:7], v[2:3]
	v_fma_f64 v[2:3], v[8:9], v[2:3], -v[4:5]
	v_add_f64 v[4:5], v[10:11], 0
	v_add_f64 v[2:3], v[2:3], 0
	s_and_saveexec_b64 s[0:1], vcc
	s_cbranch_execz .LBB136_3
; %bb.2:
	v_ashrrev_i32_e32 v10, 31, v1
	v_mul_lo_u32 v8, v1, s15
	v_mul_lo_u32 v9, v10, s14
	v_mad_u64_u32 v[6:7], s[12:13], v1, s14, 0
	v_add3_u32 v7, v7, v8, v9
	v_lshlrev_b64 v[6:7], 4, v[6:7]
	v_mul_lo_u32 v12, v1, s3
	v_mul_lo_u32 v13, v10, s2
	v_mad_u64_u32 v[10:11], s[2:3], v1, s2, 0
	v_mov_b32_e32 v8, s11
	v_add_co_u32_e32 v6, vcc, s10, v6
	v_add3_u32 v11, v11, v12, v13
	v_addc_co_u32_e32 v7, vcc, v8, v7, vcc
	v_lshlrev_b64 v[10:11], 4, v[10:11]
	v_mov_b32_e32 v1, s9
	v_add_co_u32_e32 v10, vcc, s8, v10
	v_addc_co_u32_e32 v11, vcc, v1, v11, vcc
	global_load_dwordx4 v[6:9], v[6:7], off
	s_nop 0
	global_load_dwordx4 v[10:13], v[10:11], off
	s_waitcnt vmcnt(0)
	v_mul_f64 v[14:15], v[6:7], v[12:13]
	v_mul_f64 v[12:13], v[8:9], v[12:13]
	v_fma_f64 v[8:9], v[8:9], v[10:11], -v[14:15]
	v_fmac_f64_e32 v[12:13], v[6:7], v[10:11]
	v_add_f64 v[2:3], v[2:3], v[8:9]
	v_add_f64 v[4:5], v[4:5], v[12:13]
.LBB136_3:
	s_or_b64 exec, exec, s[0:1]
.LBB136_4:
	s_or_b64 exec, exec, s[18:19]
	v_and_b32_e32 v10, 63, v0
	v_cmp_gt_u32_e32 vcc, 64, v0
	v_lshlrev_b32_e32 v1, 4, v10
	s_and_saveexec_b64 s[0:1], vcc
	s_cbranch_execz .LBB136_6
; %bb.5:
	v_mov_b32_e32 v6, 0
	v_mov_b32_e32 v7, v6
	;; [unrolled: 1-line block ×4, first 2 shown]
	ds_write_b128 v1, v[6:9]
.LBB136_6:
	s_or_b64 exec, exec, s[0:1]
	v_mbcnt_lo_u32_b32 v6, -1, 0
	v_mbcnt_hi_u32_b32 v13, -1, v6
	v_and_b32_e32 v14, 63, v13
	v_cmp_gt_u32_e64 s[0:1], 32, v14
	v_cndmask_b32_e64 v6, 0, 1, s[0:1]
	v_lshlrev_b32_e32 v6, 5, v6
	v_add_lshl_u32 v9, v6, v13, 2
	ds_bpermute_b32 v6, v9, v4
	ds_bpermute_b32 v7, v9, v5
	ds_bpermute_b32 v8, v9, v2
	ds_bpermute_b32 v9, v9, v3
	v_cmp_gt_u32_e64 s[0:1], 48, v14
	s_waitcnt lgkmcnt(0)
	v_add_f64 v[4:5], v[4:5], v[6:7]
	v_cndmask_b32_e64 v6, 0, 1, s[0:1]
	v_lshlrev_b32_e32 v6, 4, v6
	v_add_f64 v[2:3], v[2:3], v[8:9]
	v_add_lshl_u32 v9, v6, v13, 2
	ds_bpermute_b32 v6, v9, v4
	ds_bpermute_b32 v7, v9, v5
	;; [unrolled: 1-line block ×4, first 2 shown]
	v_cmp_gt_u32_e64 s[0:1], 56, v14
	s_barrier
	s_waitcnt lgkmcnt(2)
	v_add_f64 v[4:5], v[4:5], v[6:7]
	v_cndmask_b32_e64 v6, 0, 1, s[0:1]
	v_lshlrev_b32_e32 v6, 3, v6
	s_waitcnt lgkmcnt(0)
	v_add_f64 v[2:3], v[2:3], v[8:9]
	v_add_lshl_u32 v9, v6, v13, 2
	ds_bpermute_b32 v6, v9, v4
	ds_bpermute_b32 v7, v9, v5
	;; [unrolled: 1-line block ×4, first 2 shown]
	v_cmp_gt_u32_e64 s[0:1], 60, v14
	s_waitcnt lgkmcnt(0)
	v_add_f64 v[4:5], v[4:5], v[6:7]
	v_cndmask_b32_e64 v6, 0, 1, s[0:1]
	v_lshlrev_b32_e32 v6, 2, v6
	v_add_f64 v[2:3], v[2:3], v[8:9]
	v_add_lshl_u32 v11, v6, v13, 2
	ds_bpermute_b32 v6, v11, v4
	ds_bpermute_b32 v7, v11, v5
	ds_bpermute_b32 v8, v11, v2
	ds_bpermute_b32 v9, v11, v3
	v_cmp_gt_u32_e64 s[0:1], 62, v14
	s_waitcnt lgkmcnt(2)
	v_add_f64 v[4:5], v[4:5], v[6:7]
	s_waitcnt lgkmcnt(0)
	v_add_f64 v[6:7], v[2:3], v[8:9]
	v_cndmask_b32_e64 v2, 0, 1, s[0:1]
	v_lshlrev_b32_e32 v2, 1, v2
	v_add_lshl_u32 v12, v2, v13, 2
	ds_bpermute_b32 v2, v12, v4
	ds_bpermute_b32 v3, v12, v5
	;; [unrolled: 1-line block ×4, first 2 shown]
	v_cmp_ne_u32_e64 s[0:1], 63, v14
	s_waitcnt lgkmcnt(2)
	v_add_f64 v[2:3], v[4:5], v[2:3]
	v_addc_co_u32_e64 v4, s[0:1], 0, v13, s[0:1]
	s_waitcnt lgkmcnt(0)
	v_add_f64 v[6:7], v[6:7], v[8:9]
	v_lshlrev_b32_e32 v13, 2, v4
	ds_bpermute_b32 v4, v13, v2
	ds_bpermute_b32 v5, v13, v3
	;; [unrolled: 1-line block ×4, first 2 shown]
	v_cmp_eq_u32_e64 s[0:1], 0, v10
	s_and_saveexec_b64 s[2:3], s[0:1]
	s_cbranch_execz .LBB136_8
; %bb.7:
	v_lshrrev_b32_e32 v10, 2, v0
	v_and_b32_e32 v10, 0x70, v10
	s_waitcnt lgkmcnt(0)
	v_add_f64 v[6:7], v[6:7], v[8:9]
	v_add_f64 v[4:5], v[2:3], v[4:5]
	ds_write_b128 v10, v[4:7]
.LBB136_8:
	s_or_b64 exec, exec, s[2:3]
	s_waitcnt lgkmcnt(2)
	v_pk_mov_b32 v[4:5], 0, 0
	v_cmp_gt_u32_e64 s[0:1], 8, v0
	v_pk_mov_b32 v[2:3], v[4:5], v[4:5] op_sel:[0,1]
	s_waitcnt lgkmcnt(0)
	s_barrier
	s_and_saveexec_b64 s[2:3], s[0:1]
	s_cbranch_execnz .LBB136_12
; %bb.9:
	s_or_b64 exec, exec, s[2:3]
	s_and_saveexec_b64 s[0:1], vcc
	s_cbranch_execnz .LBB136_13
.LBB136_10:
	s_or_b64 exec, exec, s[0:1]
	v_cmp_eq_u32_e32 vcc, 0, v0
	s_and_saveexec_b64 s[0:1], vcc
	s_cbranch_execnz .LBB136_14
.LBB136_11:
	s_endpgm
.LBB136_12:
	ds_read_b128 v[2:5], v1
	s_or_b64 exec, exec, s[2:3]
	s_and_saveexec_b64 s[0:1], vcc
	s_cbranch_execz .LBB136_10
.LBB136_13:
	s_waitcnt lgkmcnt(0)
	ds_bpermute_b32 v6, v11, v2
	ds_bpermute_b32 v7, v11, v3
	;; [unrolled: 1-line block ×4, first 2 shown]
	s_waitcnt lgkmcnt(2)
	v_add_f64 v[2:3], v[2:3], v[6:7]
	ds_bpermute_b32 v6, v12, v2
	s_waitcnt lgkmcnt(1)
	v_add_f64 v[4:5], v[4:5], v[8:9]
	ds_bpermute_b32 v7, v12, v3
	ds_bpermute_b32 v8, v12, v4
	;; [unrolled: 1-line block ×3, first 2 shown]
	s_waitcnt lgkmcnt(2)
	v_add_f64 v[2:3], v[2:3], v[6:7]
	ds_bpermute_b32 v6, v13, v2
	s_waitcnt lgkmcnt(1)
	v_add_f64 v[4:5], v[4:5], v[8:9]
	ds_bpermute_b32 v7, v13, v3
	ds_bpermute_b32 v8, v13, v4
	ds_bpermute_b32 v9, v13, v5
	s_waitcnt lgkmcnt(2)
	v_add_f64 v[2:3], v[2:3], v[6:7]
	s_waitcnt lgkmcnt(0)
	v_add_f64 v[4:5], v[4:5], v[8:9]
	s_or_b64 exec, exec, s[0:1]
	v_cmp_eq_u32_e32 vcc, 0, v0
	s_and_saveexec_b64 s[0:1], vcc
	s_cbranch_execz .LBB136_11
.LBB136_14:
	s_cmp_lg_u32 s20, 1
	s_cbranch_scc0 .LBB136_16
; %bb.15:
	s_load_dwordx2 s[0:1], s[4:5], 0x50
	s_mul_hi_u32 s3, s20, s16
	s_mul_i32 s2, s20, s16
	s_lshl_b64 s[2:3], s[2:3], 4
	s_mov_b32 s7, 0
	s_waitcnt lgkmcnt(0)
	s_add_u32 s2, s0, s2
	s_addc_u32 s3, s1, s3
	s_lshl_b64 s[0:1], s[6:7], 4
	s_add_u32 s0, s2, s0
	s_addc_u32 s1, s3, s1
	s_cbranch_execz .LBB136_17
	s_branch .LBB136_18
.LBB136_16:
                                        ; implicit-def: $sgpr0_sgpr1
.LBB136_17:
	s_load_dwordx2 s[0:1], s[4:5], 0x58
	s_lshl_b64 s[2:3], s[16:17], 4
	s_waitcnt lgkmcnt(0)
	s_add_u32 s0, s0, s2
	s_addc_u32 s1, s1, s3
.LBB136_18:
	v_mov_b32_e32 v0, 0
	s_waitcnt lgkmcnt(0)
	global_store_dwordx4 v0, v[2:5], s[0:1]
	s_endpgm
	.section	.rodata,"a",@progbits
	.p2align	6, 0x0
	.amdhsa_kernel _ZL18rocblas_dot_kernelIlLb0ELi512ELi2ELb1E19rocblas_complex_numIdEPKS1_S1_EviT5_lT_lS4_lS5_liPT6_PT4_
		.amdhsa_group_segment_fixed_size 1024
		.amdhsa_private_segment_fixed_size 0
		.amdhsa_kernarg_size 352
		.amdhsa_user_sgpr_count 6
		.amdhsa_user_sgpr_private_segment_buffer 1
		.amdhsa_user_sgpr_dispatch_ptr 0
		.amdhsa_user_sgpr_queue_ptr 0
		.amdhsa_user_sgpr_kernarg_segment_ptr 1
		.amdhsa_user_sgpr_dispatch_id 0
		.amdhsa_user_sgpr_flat_scratch_init 0
		.amdhsa_user_sgpr_kernarg_preload_length 0
		.amdhsa_user_sgpr_kernarg_preload_offset 0
		.amdhsa_user_sgpr_private_segment_size 0
		.amdhsa_uses_dynamic_stack 0
		.amdhsa_system_sgpr_private_segment_wavefront_offset 0
		.amdhsa_system_sgpr_workgroup_id_x 1
		.amdhsa_system_sgpr_workgroup_id_y 0
		.amdhsa_system_sgpr_workgroup_id_z 1
		.amdhsa_system_sgpr_workgroup_info 0
		.amdhsa_system_vgpr_workitem_id 0
		.amdhsa_next_free_vgpr 16
		.amdhsa_next_free_sgpr 26
		.amdhsa_accum_offset 16
		.amdhsa_reserve_vcc 1
		.amdhsa_reserve_flat_scratch 0
		.amdhsa_float_round_mode_32 0
		.amdhsa_float_round_mode_16_64 0
		.amdhsa_float_denorm_mode_32 3
		.amdhsa_float_denorm_mode_16_64 3
		.amdhsa_dx10_clamp 1
		.amdhsa_ieee_mode 1
		.amdhsa_fp16_overflow 0
		.amdhsa_tg_split 0
		.amdhsa_exception_fp_ieee_invalid_op 0
		.amdhsa_exception_fp_denorm_src 0
		.amdhsa_exception_fp_ieee_div_zero 0
		.amdhsa_exception_fp_ieee_overflow 0
		.amdhsa_exception_fp_ieee_underflow 0
		.amdhsa_exception_fp_ieee_inexact 0
		.amdhsa_exception_int_div_zero 0
	.end_amdhsa_kernel
	.section	.text._ZL18rocblas_dot_kernelIlLb0ELi512ELi2ELb1E19rocblas_complex_numIdEPKS1_S1_EviT5_lT_lS4_lS5_liPT6_PT4_,"axG",@progbits,_ZL18rocblas_dot_kernelIlLb0ELi512ELi2ELb1E19rocblas_complex_numIdEPKS1_S1_EviT5_lT_lS4_lS5_liPT6_PT4_,comdat
.Lfunc_end136:
	.size	_ZL18rocblas_dot_kernelIlLb0ELi512ELi2ELb1E19rocblas_complex_numIdEPKS1_S1_EviT5_lT_lS4_lS5_liPT6_PT4_, .Lfunc_end136-_ZL18rocblas_dot_kernelIlLb0ELi512ELi2ELb1E19rocblas_complex_numIdEPKS1_S1_EviT5_lT_lS4_lS5_liPT6_PT4_
                                        ; -- End function
	.section	.AMDGPU.csdata,"",@progbits
; Kernel info:
; codeLenInByte = 1548
; NumSgprs: 30
; NumVgprs: 16
; NumAgprs: 0
; TotalNumVgprs: 16
; ScratchSize: 0
; MemoryBound: 0
; FloatMode: 240
; IeeeMode: 1
; LDSByteSize: 1024 bytes/workgroup (compile time only)
; SGPRBlocks: 3
; VGPRBlocks: 1
; NumSGPRsForWavesPerEU: 30
; NumVGPRsForWavesPerEU: 16
; AccumOffset: 16
; Occupancy: 8
; WaveLimiterHint : 0
; COMPUTE_PGM_RSRC2:SCRATCH_EN: 0
; COMPUTE_PGM_RSRC2:USER_SGPR: 6
; COMPUTE_PGM_RSRC2:TRAP_HANDLER: 0
; COMPUTE_PGM_RSRC2:TGID_X_EN: 1
; COMPUTE_PGM_RSRC2:TGID_Y_EN: 0
; COMPUTE_PGM_RSRC2:TGID_Z_EN: 1
; COMPUTE_PGM_RSRC2:TIDIG_COMP_CNT: 0
; COMPUTE_PGM_RSRC3_GFX90A:ACCUM_OFFSET: 3
; COMPUTE_PGM_RSRC3_GFX90A:TG_SPLIT: 0
	.section	.text._ZL24rocblas_dot_kernel_magsqIlLb0ELi512ELi2ELb1E19rocblas_complex_numIdEPKS1_S1_EviT5_lT_liPT6_PT4_,"axG",@progbits,_ZL24rocblas_dot_kernel_magsqIlLb0ELi512ELi2ELb1E19rocblas_complex_numIdEPKS1_S1_EviT5_lT_liPT6_PT4_,comdat
	.globl	_ZL24rocblas_dot_kernel_magsqIlLb0ELi512ELi2ELb1E19rocblas_complex_numIdEPKS1_S1_EviT5_lT_liPT6_PT4_ ; -- Begin function _ZL24rocblas_dot_kernel_magsqIlLb0ELi512ELi2ELb1E19rocblas_complex_numIdEPKS1_S1_EviT5_lT_liPT6_PT4_
	.p2align	8
	.type	_ZL24rocblas_dot_kernel_magsqIlLb0ELi512ELi2ELb1E19rocblas_complex_numIdEPKS1_S1_EviT5_lT_liPT6_PT4_,@function
_ZL24rocblas_dot_kernel_magsqIlLb0ELi512ELi2ELb1E19rocblas_complex_numIdEPKS1_S1_EviT5_lT_liPT6_PT4_: ; @_ZL24rocblas_dot_kernel_magsqIlLb0ELi512ELi2ELb1E19rocblas_complex_numIdEPKS1_S1_EviT5_lT_liPT6_PT4_
; %bb.0:
	s_mov_b32 s8, s7
	s_load_dword s7, s[4:5], 0x0
	s_load_dword s12, s[4:5], 0x40
	v_lshl_or_b32 v1, s6, 9, v0
	v_pk_mov_b32 v[2:3], 0, 0
	s_mov_b32 s9, 0
	s_waitcnt lgkmcnt(0)
	v_cmp_gt_i32_e32 vcc, s7, v1
	v_pk_mov_b32 v[4:5], v[2:3], v[2:3] op_sel:[0,1]
	s_and_saveexec_b64 s[10:11], vcc
	s_cbranch_execz .LBB137_4
; %bb.1:
	s_load_dwordx2 s[14:15], s[4:5], 0x20
	s_load_dwordx2 s[16:17], s[4:5], 0x8
	s_load_dwordx4 s[0:3], s[4:5], 0x10
	v_ashrrev_i32_e32 v2, 31, v1
	s_waitcnt lgkmcnt(0)
	s_mul_i32 s13, s8, s15
	s_mul_hi_u32 s15, s8, s14
	s_mul_i32 s14, s8, s14
	s_add_i32 s15, s15, s13
	s_lshl_b64 s[14:15], s[14:15], 4
	s_add_u32 s13, s16, s14
	s_addc_u32 s14, s17, s15
	s_lshl_b64 s[0:1], s[0:1], 4
	s_add_u32 s13, s13, s0
	s_addc_u32 s14, s14, s1
	v_mul_lo_u32 v4, v1, s3
	v_mul_lo_u32 v5, v2, s2
	v_mad_u64_u32 v[2:3], s[0:1], v1, s2, 0
	v_add3_u32 v3, v3, v4, v5
	v_lshlrev_b64 v[2:3], 4, v[2:3]
	v_mov_b32_e32 v1, s14
	v_add_co_u32_e32 v2, vcc, s13, v2
	v_addc_co_u32_e32 v3, vcc, v1, v3, vcc
	global_load_dwordx4 v[4:7], v[2:3], off
	s_add_i32 s0, s6, s12
	v_lshl_or_b32 v1, s0, 9, v0
	v_cmp_gt_i32_e32 vcc, s7, v1
	s_waitcnt vmcnt(0)
	v_mul_f64 v[2:3], v[6:7], v[6:7]
	v_mul_f64 v[8:9], v[4:5], v[6:7]
	v_fmac_f64_e32 v[2:3], v[4:5], v[4:5]
	v_fma_f64 v[4:5], v[4:5], v[6:7], -v[8:9]
	v_add_f64 v[4:5], v[4:5], 0
	s_and_saveexec_b64 s[0:1], vcc
	s_cbranch_execz .LBB137_3
; %bb.2:
	v_ashrrev_i32_e32 v6, 31, v1
	v_mul_lo_u32 v8, v1, s3
	v_mul_lo_u32 v9, v6, s2
	v_mad_u64_u32 v[6:7], s[2:3], v1, s2, 0
	v_add3_u32 v7, v7, v8, v9
	v_lshlrev_b64 v[6:7], 4, v[6:7]
	v_mov_b32_e32 v1, s14
	v_add_co_u32_e32 v6, vcc, s13, v6
	v_addc_co_u32_e32 v7, vcc, v1, v7, vcc
	global_load_dwordx4 v[6:9], v[6:7], off
	s_waitcnt vmcnt(0)
	v_mul_f64 v[10:11], v[6:7], v[8:9]
	v_mul_f64 v[12:13], v[8:9], v[8:9]
	v_fma_f64 v[8:9], v[6:7], v[8:9], -v[10:11]
	v_fmac_f64_e32 v[12:13], v[6:7], v[6:7]
	v_add_f64 v[4:5], v[4:5], v[8:9]
	v_add_f64 v[2:3], v[2:3], v[12:13]
.LBB137_3:
	s_or_b64 exec, exec, s[0:1]
.LBB137_4:
	s_or_b64 exec, exec, s[10:11]
	v_and_b32_e32 v10, 63, v0
	v_cmp_gt_u32_e32 vcc, 64, v0
	v_lshlrev_b32_e32 v1, 4, v10
	s_and_saveexec_b64 s[0:1], vcc
	s_cbranch_execz .LBB137_6
; %bb.5:
	v_mov_b32_e32 v6, 0
	v_mov_b32_e32 v7, v6
	;; [unrolled: 1-line block ×4, first 2 shown]
	ds_write_b128 v1, v[6:9]
.LBB137_6:
	s_or_b64 exec, exec, s[0:1]
	v_mbcnt_lo_u32_b32 v6, -1, 0
	v_mbcnt_hi_u32_b32 v13, -1, v6
	v_and_b32_e32 v14, 63, v13
	v_cmp_gt_u32_e64 s[0:1], 32, v14
	v_cndmask_b32_e64 v6, 0, 1, s[0:1]
	v_lshlrev_b32_e32 v6, 5, v6
	v_add_lshl_u32 v9, v6, v13, 2
	ds_bpermute_b32 v6, v9, v2
	ds_bpermute_b32 v7, v9, v3
	;; [unrolled: 1-line block ×4, first 2 shown]
	v_cmp_gt_u32_e64 s[0:1], 48, v14
	s_waitcnt lgkmcnt(0)
	v_add_f64 v[2:3], v[2:3], v[6:7]
	v_cndmask_b32_e64 v6, 0, 1, s[0:1]
	v_lshlrev_b32_e32 v6, 4, v6
	v_add_f64 v[4:5], v[4:5], v[8:9]
	v_add_lshl_u32 v9, v6, v13, 2
	ds_bpermute_b32 v6, v9, v2
	ds_bpermute_b32 v7, v9, v3
	;; [unrolled: 1-line block ×4, first 2 shown]
	v_cmp_gt_u32_e64 s[0:1], 56, v14
	s_barrier
	s_waitcnt lgkmcnt(2)
	v_add_f64 v[2:3], v[2:3], v[6:7]
	v_cndmask_b32_e64 v6, 0, 1, s[0:1]
	v_lshlrev_b32_e32 v6, 3, v6
	s_waitcnt lgkmcnt(0)
	v_add_f64 v[4:5], v[4:5], v[8:9]
	v_add_lshl_u32 v9, v6, v13, 2
	ds_bpermute_b32 v6, v9, v2
	ds_bpermute_b32 v7, v9, v3
	;; [unrolled: 1-line block ×4, first 2 shown]
	v_cmp_gt_u32_e64 s[0:1], 60, v14
	s_waitcnt lgkmcnt(0)
	v_add_f64 v[2:3], v[2:3], v[6:7]
	v_cndmask_b32_e64 v6, 0, 1, s[0:1]
	v_lshlrev_b32_e32 v6, 2, v6
	v_add_lshl_u32 v11, v6, v13, 2
	ds_bpermute_b32 v6, v11, v2
	ds_bpermute_b32 v7, v11, v3
	v_add_f64 v[4:5], v[4:5], v[8:9]
	ds_bpermute_b32 v8, v11, v4
	ds_bpermute_b32 v9, v11, v5
	v_cmp_gt_u32_e64 s[0:1], 62, v14
	s_waitcnt lgkmcnt(2)
	v_add_f64 v[2:3], v[2:3], v[6:7]
	v_cndmask_b32_e64 v6, 0, 1, s[0:1]
	v_lshlrev_b32_e32 v6, 1, v6
	s_waitcnt lgkmcnt(0)
	v_add_f64 v[4:5], v[4:5], v[8:9]
	v_add_lshl_u32 v12, v6, v13, 2
	ds_bpermute_b32 v6, v12, v2
	ds_bpermute_b32 v7, v12, v3
	;; [unrolled: 1-line block ×4, first 2 shown]
	v_cmp_ne_u32_e64 s[0:1], 63, v14
	s_waitcnt lgkmcnt(2)
	v_add_f64 v[2:3], v[2:3], v[6:7]
	s_waitcnt lgkmcnt(0)
	v_add_f64 v[6:7], v[4:5], v[8:9]
	v_addc_co_u32_e64 v4, s[0:1], 0, v13, s[0:1]
	v_lshlrev_b32_e32 v13, 2, v4
	ds_bpermute_b32 v4, v13, v2
	ds_bpermute_b32 v5, v13, v3
	;; [unrolled: 1-line block ×4, first 2 shown]
	v_cmp_eq_u32_e64 s[0:1], 0, v10
	s_and_saveexec_b64 s[2:3], s[0:1]
	s_cbranch_execz .LBB137_8
; %bb.7:
	v_lshrrev_b32_e32 v10, 2, v0
	v_and_b32_e32 v10, 0x70, v10
	s_waitcnt lgkmcnt(0)
	v_add_f64 v[6:7], v[6:7], v[8:9]
	v_add_f64 v[4:5], v[2:3], v[4:5]
	ds_write_b128 v10, v[4:7]
.LBB137_8:
	s_or_b64 exec, exec, s[2:3]
	s_waitcnt lgkmcnt(2)
	v_pk_mov_b32 v[4:5], 0, 0
	v_cmp_gt_u32_e64 s[0:1], 8, v0
	v_pk_mov_b32 v[2:3], v[4:5], v[4:5] op_sel:[0,1]
	s_waitcnt lgkmcnt(0)
	s_barrier
	s_and_saveexec_b64 s[2:3], s[0:1]
	s_cbranch_execnz .LBB137_12
; %bb.9:
	s_or_b64 exec, exec, s[2:3]
	s_and_saveexec_b64 s[0:1], vcc
	s_cbranch_execnz .LBB137_13
.LBB137_10:
	s_or_b64 exec, exec, s[0:1]
	v_cmp_eq_u32_e32 vcc, 0, v0
	s_and_saveexec_b64 s[0:1], vcc
	s_cbranch_execnz .LBB137_14
.LBB137_11:
	s_endpgm
.LBB137_12:
	ds_read_b128 v[2:5], v1
	s_or_b64 exec, exec, s[2:3]
	s_and_saveexec_b64 s[0:1], vcc
	s_cbranch_execz .LBB137_10
.LBB137_13:
	s_waitcnt lgkmcnt(0)
	ds_bpermute_b32 v6, v11, v2
	ds_bpermute_b32 v7, v11, v3
	;; [unrolled: 1-line block ×4, first 2 shown]
	s_waitcnt lgkmcnt(2)
	v_add_f64 v[2:3], v[2:3], v[6:7]
	ds_bpermute_b32 v6, v12, v2
	s_waitcnt lgkmcnt(1)
	v_add_f64 v[4:5], v[4:5], v[8:9]
	ds_bpermute_b32 v7, v12, v3
	ds_bpermute_b32 v8, v12, v4
	;; [unrolled: 1-line block ×3, first 2 shown]
	s_waitcnt lgkmcnt(2)
	v_add_f64 v[2:3], v[2:3], v[6:7]
	ds_bpermute_b32 v6, v13, v2
	s_waitcnt lgkmcnt(1)
	v_add_f64 v[4:5], v[4:5], v[8:9]
	ds_bpermute_b32 v7, v13, v3
	ds_bpermute_b32 v8, v13, v4
	;; [unrolled: 1-line block ×3, first 2 shown]
	s_waitcnt lgkmcnt(2)
	v_add_f64 v[2:3], v[2:3], v[6:7]
	s_waitcnt lgkmcnt(0)
	v_add_f64 v[4:5], v[4:5], v[8:9]
	s_or_b64 exec, exec, s[0:1]
	v_cmp_eq_u32_e32 vcc, 0, v0
	s_and_saveexec_b64 s[0:1], vcc
	s_cbranch_execz .LBB137_11
.LBB137_14:
	s_cmp_lg_u32 s12, 1
	s_cbranch_scc0 .LBB137_16
; %bb.15:
	s_load_dwordx2 s[0:1], s[4:5], 0x30
	s_mul_hi_u32 s3, s12, s8
	s_mul_i32 s2, s12, s8
	s_lshl_b64 s[2:3], s[2:3], 4
	s_mov_b32 s7, 0
	s_waitcnt lgkmcnt(0)
	s_add_u32 s2, s0, s2
	s_addc_u32 s3, s1, s3
	s_lshl_b64 s[0:1], s[6:7], 4
	s_add_u32 s0, s2, s0
	s_addc_u32 s1, s3, s1
	s_cbranch_execz .LBB137_17
	s_branch .LBB137_18
.LBB137_16:
                                        ; implicit-def: $sgpr0_sgpr1
.LBB137_17:
	s_load_dwordx2 s[0:1], s[4:5], 0x38
	s_lshl_b64 s[2:3], s[8:9], 4
	s_waitcnt lgkmcnt(0)
	s_add_u32 s0, s0, s2
	s_addc_u32 s1, s1, s3
.LBB137_18:
	v_mov_b32_e32 v0, 0
	s_waitcnt lgkmcnt(0)
	global_store_dwordx4 v0, v[2:5], s[0:1]
	s_endpgm
	.section	.rodata,"a",@progbits
	.p2align	6, 0x0
	.amdhsa_kernel _ZL24rocblas_dot_kernel_magsqIlLb0ELi512ELi2ELb1E19rocblas_complex_numIdEPKS1_S1_EviT5_lT_liPT6_PT4_
		.amdhsa_group_segment_fixed_size 1024
		.amdhsa_private_segment_fixed_size 0
		.amdhsa_kernarg_size 320
		.amdhsa_user_sgpr_count 6
		.amdhsa_user_sgpr_private_segment_buffer 1
		.amdhsa_user_sgpr_dispatch_ptr 0
		.amdhsa_user_sgpr_queue_ptr 0
		.amdhsa_user_sgpr_kernarg_segment_ptr 1
		.amdhsa_user_sgpr_dispatch_id 0
		.amdhsa_user_sgpr_flat_scratch_init 0
		.amdhsa_user_sgpr_kernarg_preload_length 0
		.amdhsa_user_sgpr_kernarg_preload_offset 0
		.amdhsa_user_sgpr_private_segment_size 0
		.amdhsa_uses_dynamic_stack 0
		.amdhsa_system_sgpr_private_segment_wavefront_offset 0
		.amdhsa_system_sgpr_workgroup_id_x 1
		.amdhsa_system_sgpr_workgroup_id_y 0
		.amdhsa_system_sgpr_workgroup_id_z 1
		.amdhsa_system_sgpr_workgroup_info 0
		.amdhsa_system_vgpr_workitem_id 0
		.amdhsa_next_free_vgpr 15
		.amdhsa_next_free_sgpr 18
		.amdhsa_accum_offset 16
		.amdhsa_reserve_vcc 1
		.amdhsa_reserve_flat_scratch 0
		.amdhsa_float_round_mode_32 0
		.amdhsa_float_round_mode_16_64 0
		.amdhsa_float_denorm_mode_32 3
		.amdhsa_float_denorm_mode_16_64 3
		.amdhsa_dx10_clamp 1
		.amdhsa_ieee_mode 1
		.amdhsa_fp16_overflow 0
		.amdhsa_tg_split 0
		.amdhsa_exception_fp_ieee_invalid_op 0
		.amdhsa_exception_fp_denorm_src 0
		.amdhsa_exception_fp_ieee_div_zero 0
		.amdhsa_exception_fp_ieee_overflow 0
		.amdhsa_exception_fp_ieee_underflow 0
		.amdhsa_exception_fp_ieee_inexact 0
		.amdhsa_exception_int_div_zero 0
	.end_amdhsa_kernel
	.section	.text._ZL24rocblas_dot_kernel_magsqIlLb0ELi512ELi2ELb1E19rocblas_complex_numIdEPKS1_S1_EviT5_lT_liPT6_PT4_,"axG",@progbits,_ZL24rocblas_dot_kernel_magsqIlLb0ELi512ELi2ELb1E19rocblas_complex_numIdEPKS1_S1_EviT5_lT_liPT6_PT4_,comdat
.Lfunc_end137:
	.size	_ZL24rocblas_dot_kernel_magsqIlLb0ELi512ELi2ELb1E19rocblas_complex_numIdEPKS1_S1_EviT5_lT_liPT6_PT4_, .Lfunc_end137-_ZL24rocblas_dot_kernel_magsqIlLb0ELi512ELi2ELb1E19rocblas_complex_numIdEPKS1_S1_EviT5_lT_liPT6_PT4_
                                        ; -- End function
	.section	.AMDGPU.csdata,"",@progbits
; Kernel info:
; codeLenInByte = 1368
; NumSgprs: 22
; NumVgprs: 15
; NumAgprs: 0
; TotalNumVgprs: 15
; ScratchSize: 0
; MemoryBound: 0
; FloatMode: 240
; IeeeMode: 1
; LDSByteSize: 1024 bytes/workgroup (compile time only)
; SGPRBlocks: 2
; VGPRBlocks: 1
; NumSGPRsForWavesPerEU: 22
; NumVGPRsForWavesPerEU: 15
; AccumOffset: 16
; Occupancy: 8
; WaveLimiterHint : 0
; COMPUTE_PGM_RSRC2:SCRATCH_EN: 0
; COMPUTE_PGM_RSRC2:USER_SGPR: 6
; COMPUTE_PGM_RSRC2:TRAP_HANDLER: 0
; COMPUTE_PGM_RSRC2:TGID_X_EN: 1
; COMPUTE_PGM_RSRC2:TGID_Y_EN: 0
; COMPUTE_PGM_RSRC2:TGID_Z_EN: 1
; COMPUTE_PGM_RSRC2:TIDIG_COMP_CNT: 0
; COMPUTE_PGM_RSRC3_GFX90A:ACCUM_OFFSET: 3
; COMPUTE_PGM_RSRC3_GFX90A:TG_SPLIT: 0
	.section	.text._ZL28rocblas_dot_batched_4_kernelIiLi32ELi4ELb0EDF16_DF16_PKPKDF16_EviT5_lT_lS4_lS5_liPT4_,"axG",@progbits,_ZL28rocblas_dot_batched_4_kernelIiLi32ELi4ELb0EDF16_DF16_PKPKDF16_EviT5_lT_lS4_lS5_liPT4_,comdat
	.globl	_ZL28rocblas_dot_batched_4_kernelIiLi32ELi4ELb0EDF16_DF16_PKPKDF16_EviT5_lT_lS4_lS5_liPT4_ ; -- Begin function _ZL28rocblas_dot_batched_4_kernelIiLi32ELi4ELb0EDF16_DF16_PKPKDF16_EviT5_lT_lS4_lS5_liPT4_
	.p2align	8
	.type	_ZL28rocblas_dot_batched_4_kernelIiLi32ELi4ELb0EDF16_DF16_PKPKDF16_EviT5_lT_lS4_lS5_liPT4_,@function
_ZL28rocblas_dot_batched_4_kernelIiLi32ELi4ELb0EDF16_DF16_PKPKDF16_EviT5_lT_lS4_lS5_liPT4_: ; @_ZL28rocblas_dot_batched_4_kernelIiLi32ELi4ELb0EDF16_DF16_PKPKDF16_EviT5_lT_lS4_lS5_liPT4_
; %bb.0:
	s_load_dword s0, s[4:5], 0x48
	v_bfe_u32 v1, v0, 10, 10
	v_lshl_add_u32 v2, s6, 2, v1
	s_waitcnt lgkmcnt(0)
	v_cmp_gt_u32_e32 vcc, s0, v2
	s_and_saveexec_b64 s[0:1], vcc
	s_cbranch_execz .LBB138_7
; %bb.1:
	s_load_dword s14, s[4:5], 0x0
	s_load_dwordx2 s[6:7], s[4:5], 0x50
	v_mov_b32_e32 v3, 0
	v_and_b32_e32 v6, 0x3ff, v0
	v_mov_b32_e32 v7, v3
	s_waitcnt lgkmcnt(0)
	v_cmp_gt_i32_e32 vcc, s14, v6
	s_and_saveexec_b64 s[12:13], vcc
	s_cbranch_execz .LBB138_5
; %bb.2:
	s_load_dwordx4 s[0:3], s[4:5], 0x8
	s_load_dwordx4 s[8:11], s[4:5], 0x28
	v_lshlrev_b64 v[0:1], 3, v[2:3]
	s_load_dword s16, s[4:5], 0x18
	s_waitcnt lgkmcnt(0)
	v_mov_b32_e32 v5, s1
	v_add_co_u32_e32 v4, vcc, s0, v0
	v_addc_co_u32_e32 v5, vcc, v5, v1, vcc
	global_load_dwordx2 v[4:5], v[4:5], off
	v_mov_b32_e32 v7, s9
	v_add_co_u32_e32 v0, vcc, s8, v0
	v_addc_co_u32_e32 v1, vcc, v7, v1, vcc
	global_load_dwordx2 v[10:11], v[0:1], off
	s_load_dword s4, s[4:5], 0x38
	v_mad_i64_i32 v[0:1], s[8:9], s16, v6, 0
	s_lshl_b64 s[8:9], s[2:3], 1
	v_lshlrev_b64 v[0:1], 1, v[0:1]
	s_waitcnt lgkmcnt(0)
	v_mad_i64_i32 v[8:9], s[2:3], s4, v6, 0
	v_mov_b32_e32 v12, s9
	v_add_co_u32_e32 v0, vcc, s8, v0
	s_lshl_b64 s[10:11], s[10:11], 1
	v_lshlrev_b64 v[8:9], 1, v[8:9]
	v_addc_co_u32_e32 v1, vcc, v1, v12, vcc
	v_mov_b32_e32 v13, s11
	v_add_co_u32_e32 v12, vcc, s10, v8
	v_addc_co_u32_e32 v13, vcc, v9, v13, vcc
	s_ashr_i32 s17, s16, 31
	s_ashr_i32 s5, s4, 31
	s_lshl_b64 s[2:3], s[16:17], 6
	s_lshl_b64 s[4:5], s[4:5], 6
	s_mov_b64 s[0:1], 0
	v_mov_b32_e32 v7, 0
	v_mov_b32_e32 v8, s3
	;; [unrolled: 1-line block ×3, first 2 shown]
	s_waitcnt vmcnt(1)
	v_add_co_u32_e32 v0, vcc, v4, v0
	v_addc_co_u32_e32 v1, vcc, v5, v1, vcc
	s_waitcnt vmcnt(0)
	v_add_co_u32_e32 v4, vcc, v10, v12
	v_addc_co_u32_e32 v5, vcc, v11, v13, vcc
	v_mov_b32_e32 v10, v6
.LBB138_3:                              ; =>This Inner Loop Header: Depth=1
	global_load_ushort v11, v[0:1], off
	global_load_ushort v12, v[4:5], off
	v_add_co_u32_e32 v0, vcc, s2, v0
	v_addc_co_u32_e32 v1, vcc, v1, v8, vcc
	v_add_co_u32_e32 v4, vcc, s4, v4
	v_add_u32_e32 v10, 32, v10
	v_addc_co_u32_e32 v5, vcc, v5, v9, vcc
	v_cmp_le_i32_e32 vcc, s14, v10
	s_or_b64 s[0:1], vcc, s[0:1]
	s_waitcnt vmcnt(0)
	v_fma_f16 v7, v11, v12, v7
	s_andn2_b64 exec, exec, s[0:1]
	s_cbranch_execnz .LBB138_3
; %bb.4:
	s_or_b64 exec, exec, s[0:1]
.LBB138_5:
	s_or_b64 exec, exec, s[12:13]
	v_mbcnt_lo_u32_b32 v0, -1, 0
	v_mbcnt_hi_u32_b32 v1, -1, v0
	v_and_b32_e32 v4, 63, v1
	v_cmp_gt_u32_e32 vcc, 48, v4
	v_cndmask_b32_e64 v5, 0, 1, vcc
	v_lshlrev_b32_e32 v5, 4, v5
	v_and_b32_e32 v0, 0xffff, v7
	v_add_lshl_u32 v5, v5, v1, 2
	ds_bpermute_b32 v0, v5, v0
	v_cmp_gt_u32_e32 vcc, 56, v4
	s_mov_b32 s0, 0xffff0000
	s_waitcnt lgkmcnt(0)
	s_barrier
	v_add_f16_e32 v5, v7, v0
	v_cndmask_b32_e64 v7, 0, 1, vcc
	v_lshlrev_b32_e32 v7, 3, v7
	v_and_or_b32 v0, v0, s0, v5
	v_add_lshl_u32 v7, v7, v1, 2
	ds_bpermute_b32 v0, v7, v0
	v_cmp_gt_u32_e32 vcc, 60, v4
	v_cndmask_b32_e64 v7, 0, 1, vcc
	v_lshlrev_b32_e32 v7, 2, v7
	v_add_lshl_u32 v7, v7, v1, 2
	s_waitcnt lgkmcnt(0)
	v_add_f16_e32 v5, v5, v0
	v_and_or_b32 v0, v0, s0, v5
	ds_bpermute_b32 v0, v7, v0
	v_cmp_gt_u32_e32 vcc, 62, v4
	v_cndmask_b32_e64 v7, 0, 1, vcc
	v_lshlrev_b32_e32 v7, 1, v7
	v_add_lshl_u32 v7, v7, v1, 2
	s_waitcnt lgkmcnt(0)
	v_add_f16_e32 v5, v5, v0
	v_and_or_b32 v0, v0, s0, v5
	ds_bpermute_b32 v7, v7, v0
	v_cmp_ne_u32_e32 vcc, 63, v4
	v_addc_co_u32_e32 v1, vcc, 0, v1, vcc
	v_lshlrev_b32_e32 v1, 2, v1
	s_waitcnt lgkmcnt(0)
	v_add_f16_e32 v0, v5, v7
	v_and_or_b32 v5, v7, s0, v0
	ds_bpermute_b32 v1, v1, v5
	v_cmp_eq_u32_e32 vcc, 0, v6
	s_waitcnt lgkmcnt(0)
	s_and_b64 exec, exec, vcc
	s_cbranch_execz .LBB138_7
; %bb.6:
	v_lshlrev_b64 v[2:3], 1, v[2:3]
	v_mov_b32_e32 v4, s7
	v_add_co_u32_e32 v2, vcc, s6, v2
	v_addc_co_u32_e32 v3, vcc, v4, v3, vcc
	v_add_f16_e32 v0, v0, v1
	global_store_short v[2:3], v0, off
.LBB138_7:
	s_endpgm
	.section	.rodata,"a",@progbits
	.p2align	6, 0x0
	.amdhsa_kernel _ZL28rocblas_dot_batched_4_kernelIiLi32ELi4ELb0EDF16_DF16_PKPKDF16_EviT5_lT_lS4_lS5_liPT4_
		.amdhsa_group_segment_fixed_size 0
		.amdhsa_private_segment_fixed_size 0
		.amdhsa_kernarg_size 88
		.amdhsa_user_sgpr_count 6
		.amdhsa_user_sgpr_private_segment_buffer 1
		.amdhsa_user_sgpr_dispatch_ptr 0
		.amdhsa_user_sgpr_queue_ptr 0
		.amdhsa_user_sgpr_kernarg_segment_ptr 1
		.amdhsa_user_sgpr_dispatch_id 0
		.amdhsa_user_sgpr_flat_scratch_init 0
		.amdhsa_user_sgpr_kernarg_preload_length 0
		.amdhsa_user_sgpr_kernarg_preload_offset 0
		.amdhsa_user_sgpr_private_segment_size 0
		.amdhsa_uses_dynamic_stack 0
		.amdhsa_system_sgpr_private_segment_wavefront_offset 0
		.amdhsa_system_sgpr_workgroup_id_x 1
		.amdhsa_system_sgpr_workgroup_id_y 0
		.amdhsa_system_sgpr_workgroup_id_z 0
		.amdhsa_system_sgpr_workgroup_info 0
		.amdhsa_system_vgpr_workitem_id 1
		.amdhsa_next_free_vgpr 14
		.amdhsa_next_free_sgpr 18
		.amdhsa_accum_offset 16
		.amdhsa_reserve_vcc 1
		.amdhsa_reserve_flat_scratch 0
		.amdhsa_float_round_mode_32 0
		.amdhsa_float_round_mode_16_64 0
		.amdhsa_float_denorm_mode_32 3
		.amdhsa_float_denorm_mode_16_64 3
		.amdhsa_dx10_clamp 1
		.amdhsa_ieee_mode 1
		.amdhsa_fp16_overflow 0
		.amdhsa_tg_split 0
		.amdhsa_exception_fp_ieee_invalid_op 0
		.amdhsa_exception_fp_denorm_src 0
		.amdhsa_exception_fp_ieee_div_zero 0
		.amdhsa_exception_fp_ieee_overflow 0
		.amdhsa_exception_fp_ieee_underflow 0
		.amdhsa_exception_fp_ieee_inexact 0
		.amdhsa_exception_int_div_zero 0
	.end_amdhsa_kernel
	.section	.text._ZL28rocblas_dot_batched_4_kernelIiLi32ELi4ELb0EDF16_DF16_PKPKDF16_EviT5_lT_lS4_lS5_liPT4_,"axG",@progbits,_ZL28rocblas_dot_batched_4_kernelIiLi32ELi4ELb0EDF16_DF16_PKPKDF16_EviT5_lT_lS4_lS5_liPT4_,comdat
.Lfunc_end138:
	.size	_ZL28rocblas_dot_batched_4_kernelIiLi32ELi4ELb0EDF16_DF16_PKPKDF16_EviT5_lT_lS4_lS5_liPT4_, .Lfunc_end138-_ZL28rocblas_dot_batched_4_kernelIiLi32ELi4ELb0EDF16_DF16_PKPKDF16_EviT5_lT_lS4_lS5_liPT4_
                                        ; -- End function
	.section	.AMDGPU.csdata,"",@progbits
; Kernel info:
; codeLenInByte = 676
; NumSgprs: 22
; NumVgprs: 14
; NumAgprs: 0
; TotalNumVgprs: 14
; ScratchSize: 0
; MemoryBound: 0
; FloatMode: 240
; IeeeMode: 1
; LDSByteSize: 0 bytes/workgroup (compile time only)
; SGPRBlocks: 2
; VGPRBlocks: 1
; NumSGPRsForWavesPerEU: 22
; NumVGPRsForWavesPerEU: 14
; AccumOffset: 16
; Occupancy: 8
; WaveLimiterHint : 0
; COMPUTE_PGM_RSRC2:SCRATCH_EN: 0
; COMPUTE_PGM_RSRC2:USER_SGPR: 6
; COMPUTE_PGM_RSRC2:TRAP_HANDLER: 0
; COMPUTE_PGM_RSRC2:TGID_X_EN: 1
; COMPUTE_PGM_RSRC2:TGID_Y_EN: 0
; COMPUTE_PGM_RSRC2:TGID_Z_EN: 0
; COMPUTE_PGM_RSRC2:TIDIG_COMP_CNT: 1
; COMPUTE_PGM_RSRC3_GFX90A:ACCUM_OFFSET: 3
; COMPUTE_PGM_RSRC3_GFX90A:TG_SPLIT: 0
	.section	.text._ZL28rocblas_dot_batched_4_kernelIiLi64ELi4ELb0EDF16_DF16_PKPKDF16_EviT5_lT_lS4_lS5_liPT4_,"axG",@progbits,_ZL28rocblas_dot_batched_4_kernelIiLi64ELi4ELb0EDF16_DF16_PKPKDF16_EviT5_lT_lS4_lS5_liPT4_,comdat
	.globl	_ZL28rocblas_dot_batched_4_kernelIiLi64ELi4ELb0EDF16_DF16_PKPKDF16_EviT5_lT_lS4_lS5_liPT4_ ; -- Begin function _ZL28rocblas_dot_batched_4_kernelIiLi64ELi4ELb0EDF16_DF16_PKPKDF16_EviT5_lT_lS4_lS5_liPT4_
	.p2align	8
	.type	_ZL28rocblas_dot_batched_4_kernelIiLi64ELi4ELb0EDF16_DF16_PKPKDF16_EviT5_lT_lS4_lS5_liPT4_,@function
_ZL28rocblas_dot_batched_4_kernelIiLi64ELi4ELb0EDF16_DF16_PKPKDF16_EviT5_lT_lS4_lS5_liPT4_: ; @_ZL28rocblas_dot_batched_4_kernelIiLi64ELi4ELb0EDF16_DF16_PKPKDF16_EviT5_lT_lS4_lS5_liPT4_
; %bb.0:
	s_load_dword s0, s[4:5], 0x48
	v_bfe_u32 v1, v0, 10, 10
	v_lshl_add_u32 v2, s6, 2, v1
	s_waitcnt lgkmcnt(0)
	v_cmp_gt_u32_e32 vcc, s0, v2
	s_and_saveexec_b64 s[0:1], vcc
	s_cbranch_execz .LBB139_7
; %bb.1:
	s_load_dword s14, s[4:5], 0x0
	s_load_dwordx2 s[6:7], s[4:5], 0x50
	v_mov_b32_e32 v3, 0
	v_and_b32_e32 v6, 0x3ff, v0
	v_mov_b32_e32 v7, v3
	s_waitcnt lgkmcnt(0)
	v_cmp_gt_i32_e32 vcc, s14, v6
	s_and_saveexec_b64 s[12:13], vcc
	s_cbranch_execz .LBB139_5
; %bb.2:
	s_load_dwordx4 s[0:3], s[4:5], 0x8
	s_load_dwordx4 s[8:11], s[4:5], 0x28
	v_lshlrev_b64 v[0:1], 3, v[2:3]
	s_load_dword s16, s[4:5], 0x18
	s_waitcnt lgkmcnt(0)
	v_mov_b32_e32 v5, s1
	v_add_co_u32_e32 v4, vcc, s0, v0
	v_addc_co_u32_e32 v5, vcc, v5, v1, vcc
	global_load_dwordx2 v[4:5], v[4:5], off
	v_mov_b32_e32 v7, s9
	v_add_co_u32_e32 v0, vcc, s8, v0
	v_addc_co_u32_e32 v1, vcc, v7, v1, vcc
	global_load_dwordx2 v[10:11], v[0:1], off
	s_load_dword s4, s[4:5], 0x38
	v_mad_i64_i32 v[0:1], s[8:9], s16, v6, 0
	s_lshl_b64 s[8:9], s[2:3], 1
	v_lshlrev_b64 v[0:1], 1, v[0:1]
	s_waitcnt lgkmcnt(0)
	v_mad_i64_i32 v[8:9], s[2:3], s4, v6, 0
	v_mov_b32_e32 v12, s9
	v_add_co_u32_e32 v0, vcc, s8, v0
	s_lshl_b64 s[10:11], s[10:11], 1
	v_lshlrev_b64 v[8:9], 1, v[8:9]
	v_addc_co_u32_e32 v1, vcc, v1, v12, vcc
	v_mov_b32_e32 v13, s11
	v_add_co_u32_e32 v12, vcc, s10, v8
	v_addc_co_u32_e32 v13, vcc, v9, v13, vcc
	s_ashr_i32 s17, s16, 31
	s_ashr_i32 s5, s4, 31
	s_lshl_b64 s[2:3], s[16:17], 7
	s_lshl_b64 s[4:5], s[4:5], 7
	s_mov_b64 s[0:1], 0
	v_mov_b32_e32 v7, 0
	v_mov_b32_e32 v8, s3
	;; [unrolled: 1-line block ×3, first 2 shown]
	s_waitcnt vmcnt(1)
	v_add_co_u32_e32 v0, vcc, v4, v0
	v_addc_co_u32_e32 v1, vcc, v5, v1, vcc
	s_waitcnt vmcnt(0)
	v_add_co_u32_e32 v4, vcc, v10, v12
	v_addc_co_u32_e32 v5, vcc, v11, v13, vcc
	v_mov_b32_e32 v10, v6
.LBB139_3:                              ; =>This Inner Loop Header: Depth=1
	global_load_ushort v11, v[0:1], off
	global_load_ushort v12, v[4:5], off
	v_add_co_u32_e32 v0, vcc, s2, v0
	v_addc_co_u32_e32 v1, vcc, v1, v8, vcc
	v_add_co_u32_e32 v4, vcc, s4, v4
	v_add_u32_e32 v10, 64, v10
	v_addc_co_u32_e32 v5, vcc, v5, v9, vcc
	v_cmp_le_i32_e32 vcc, s14, v10
	s_or_b64 s[0:1], vcc, s[0:1]
	s_waitcnt vmcnt(0)
	v_fma_f16 v7, v11, v12, v7
	s_andn2_b64 exec, exec, s[0:1]
	s_cbranch_execnz .LBB139_3
; %bb.4:
	s_or_b64 exec, exec, s[0:1]
.LBB139_5:
	s_or_b64 exec, exec, s[12:13]
	v_mbcnt_lo_u32_b32 v0, -1, 0
	v_mbcnt_hi_u32_b32 v1, -1, v0
	v_and_b32_e32 v4, 63, v1
	v_cmp_gt_u32_e32 vcc, 32, v4
	v_cndmask_b32_e64 v5, 0, 1, vcc
	v_lshlrev_b32_e32 v5, 5, v5
	v_and_b32_e32 v0, 0xffff, v7
	v_add_lshl_u32 v5, v5, v1, 2
	ds_bpermute_b32 v0, v5, v0
	v_cmp_gt_u32_e32 vcc, 48, v4
	s_mov_b32 s0, 0xffff0000
	s_waitcnt lgkmcnt(0)
	s_barrier
	v_add_f16_e32 v5, v7, v0
	v_cndmask_b32_e64 v7, 0, 1, vcc
	v_lshlrev_b32_e32 v7, 4, v7
	v_and_or_b32 v0, v0, s0, v5
	v_add_lshl_u32 v7, v7, v1, 2
	ds_bpermute_b32 v0, v7, v0
	v_cmp_gt_u32_e32 vcc, 56, v4
	v_cndmask_b32_e64 v7, 0, 1, vcc
	v_lshlrev_b32_e32 v7, 3, v7
	v_add_lshl_u32 v7, v7, v1, 2
	s_waitcnt lgkmcnt(0)
	v_add_f16_e32 v5, v5, v0
	v_and_or_b32 v0, v0, s0, v5
	ds_bpermute_b32 v0, v7, v0
	v_cmp_gt_u32_e32 vcc, 60, v4
	v_cndmask_b32_e64 v7, 0, 1, vcc
	v_lshlrev_b32_e32 v7, 2, v7
	v_add_lshl_u32 v7, v7, v1, 2
	s_waitcnt lgkmcnt(0)
	v_add_f16_e32 v5, v5, v0
	v_and_or_b32 v0, v0, s0, v5
	;; [unrolled: 8-line block ×3, first 2 shown]
	ds_bpermute_b32 v7, v7, v0
	v_cmp_ne_u32_e32 vcc, 63, v4
	v_addc_co_u32_e32 v1, vcc, 0, v1, vcc
	v_lshlrev_b32_e32 v1, 2, v1
	s_waitcnt lgkmcnt(0)
	v_add_f16_e32 v0, v5, v7
	v_and_or_b32 v5, v7, s0, v0
	ds_bpermute_b32 v1, v1, v5
	v_cmp_eq_u32_e32 vcc, 0, v6
	s_waitcnt lgkmcnt(0)
	s_and_b64 exec, exec, vcc
	s_cbranch_execz .LBB139_7
; %bb.6:
	v_lshlrev_b64 v[2:3], 1, v[2:3]
	v_mov_b32_e32 v4, s7
	v_add_co_u32_e32 v2, vcc, s6, v2
	v_addc_co_u32_e32 v3, vcc, v4, v3, vcc
	v_add_f16_e32 v0, v0, v1
	global_store_short v[2:3], v0, off
.LBB139_7:
	s_endpgm
	.section	.rodata,"a",@progbits
	.p2align	6, 0x0
	.amdhsa_kernel _ZL28rocblas_dot_batched_4_kernelIiLi64ELi4ELb0EDF16_DF16_PKPKDF16_EviT5_lT_lS4_lS5_liPT4_
		.amdhsa_group_segment_fixed_size 0
		.amdhsa_private_segment_fixed_size 0
		.amdhsa_kernarg_size 88
		.amdhsa_user_sgpr_count 6
		.amdhsa_user_sgpr_private_segment_buffer 1
		.amdhsa_user_sgpr_dispatch_ptr 0
		.amdhsa_user_sgpr_queue_ptr 0
		.amdhsa_user_sgpr_kernarg_segment_ptr 1
		.amdhsa_user_sgpr_dispatch_id 0
		.amdhsa_user_sgpr_flat_scratch_init 0
		.amdhsa_user_sgpr_kernarg_preload_length 0
		.amdhsa_user_sgpr_kernarg_preload_offset 0
		.amdhsa_user_sgpr_private_segment_size 0
		.amdhsa_uses_dynamic_stack 0
		.amdhsa_system_sgpr_private_segment_wavefront_offset 0
		.amdhsa_system_sgpr_workgroup_id_x 1
		.amdhsa_system_sgpr_workgroup_id_y 0
		.amdhsa_system_sgpr_workgroup_id_z 0
		.amdhsa_system_sgpr_workgroup_info 0
		.amdhsa_system_vgpr_workitem_id 1
		.amdhsa_next_free_vgpr 14
		.amdhsa_next_free_sgpr 18
		.amdhsa_accum_offset 16
		.amdhsa_reserve_vcc 1
		.amdhsa_reserve_flat_scratch 0
		.amdhsa_float_round_mode_32 0
		.amdhsa_float_round_mode_16_64 0
		.amdhsa_float_denorm_mode_32 3
		.amdhsa_float_denorm_mode_16_64 3
		.amdhsa_dx10_clamp 1
		.amdhsa_ieee_mode 1
		.amdhsa_fp16_overflow 0
		.amdhsa_tg_split 0
		.amdhsa_exception_fp_ieee_invalid_op 0
		.amdhsa_exception_fp_denorm_src 0
		.amdhsa_exception_fp_ieee_div_zero 0
		.amdhsa_exception_fp_ieee_overflow 0
		.amdhsa_exception_fp_ieee_underflow 0
		.amdhsa_exception_fp_ieee_inexact 0
		.amdhsa_exception_int_div_zero 0
	.end_amdhsa_kernel
	.section	.text._ZL28rocblas_dot_batched_4_kernelIiLi64ELi4ELb0EDF16_DF16_PKPKDF16_EviT5_lT_lS4_lS5_liPT4_,"axG",@progbits,_ZL28rocblas_dot_batched_4_kernelIiLi64ELi4ELb0EDF16_DF16_PKPKDF16_EviT5_lT_lS4_lS5_liPT4_,comdat
.Lfunc_end139:
	.size	_ZL28rocblas_dot_batched_4_kernelIiLi64ELi4ELb0EDF16_DF16_PKPKDF16_EviT5_lT_lS4_lS5_liPT4_, .Lfunc_end139-_ZL28rocblas_dot_batched_4_kernelIiLi64ELi4ELb0EDF16_DF16_PKPKDF16_EviT5_lT_lS4_lS5_liPT4_
                                        ; -- End function
	.section	.AMDGPU.csdata,"",@progbits
; Kernel info:
; codeLenInByte = 724
; NumSgprs: 22
; NumVgprs: 14
; NumAgprs: 0
; TotalNumVgprs: 14
; ScratchSize: 0
; MemoryBound: 0
; FloatMode: 240
; IeeeMode: 1
; LDSByteSize: 0 bytes/workgroup (compile time only)
; SGPRBlocks: 2
; VGPRBlocks: 1
; NumSGPRsForWavesPerEU: 22
; NumVGPRsForWavesPerEU: 14
; AccumOffset: 16
; Occupancy: 8
; WaveLimiterHint : 0
; COMPUTE_PGM_RSRC2:SCRATCH_EN: 0
; COMPUTE_PGM_RSRC2:USER_SGPR: 6
; COMPUTE_PGM_RSRC2:TRAP_HANDLER: 0
; COMPUTE_PGM_RSRC2:TGID_X_EN: 1
; COMPUTE_PGM_RSRC2:TGID_Y_EN: 0
; COMPUTE_PGM_RSRC2:TGID_Z_EN: 0
; COMPUTE_PGM_RSRC2:TIDIG_COMP_CNT: 1
; COMPUTE_PGM_RSRC3_GFX90A:ACCUM_OFFSET: 3
; COMPUTE_PGM_RSRC3_GFX90A:TG_SPLIT: 0
	.section	.text._ZL26rocblas_dot_kernel_inc1by2ILb1ELi1024ELi32ELb0EDF16_PKPKDF16_DF16_EviT4_llS4_lliPT5_PT3_,"axG",@progbits,_ZL26rocblas_dot_kernel_inc1by2ILb1ELi1024ELi32ELb0EDF16_PKPKDF16_DF16_EviT4_llS4_lliPT5_PT3_,comdat
	.globl	_ZL26rocblas_dot_kernel_inc1by2ILb1ELi1024ELi32ELb0EDF16_PKPKDF16_DF16_EviT4_llS4_lliPT5_PT3_ ; -- Begin function _ZL26rocblas_dot_kernel_inc1by2ILb1ELi1024ELi32ELb0EDF16_PKPKDF16_DF16_EviT4_llS4_lliPT5_PT3_
	.p2align	8
	.type	_ZL26rocblas_dot_kernel_inc1by2ILb1ELi1024ELi32ELb0EDF16_PKPKDF16_DF16_EviT4_llS4_lliPT5_PT3_,@function
_ZL26rocblas_dot_kernel_inc1by2ILb1ELi1024ELi32ELb0EDF16_PKPKDF16_DF16_EviT4_llS4_lliPT5_PT3_: ; @_ZL26rocblas_dot_kernel_inc1by2ILb1ELi1024ELi32ELb0EDF16_PKPKDF16_DF16_EviT4_llS4_lliPT5_PT3_
; %bb.0:
	s_load_dword s20, s[4:5], 0x0
	s_load_dwordx4 s[0:3], s[4:5], 0x8
	s_load_dwordx2 s[12:13], s[4:5], 0x48
	s_load_dwordx4 s[8:11], s[4:5], 0x20
	s_mov_b32 s6, s7
	s_mov_b32 s7, 0
	s_lshl_b64 s[14:15], s[6:7], 3
	s_waitcnt lgkmcnt(0)
	s_add_u32 s0, s0, s14
	s_addc_u32 s1, s1, s15
	s_load_dwordx2 s[4:5], s[0:1], 0x0
	s_add_u32 s0, s8, s14
	s_addc_u32 s1, s9, s15
	s_load_dwordx2 s[14:15], s[0:1], 0x0
	v_lshlrev_b32_e32 v6, 1, v0
	s_add_i32 s8, s20, -1
	v_cmp_gt_i32_e32 vcc, s8, v6
	v_mov_b32_e32 v1, 0
	s_and_saveexec_b64 s[16:17], vcc
	s_cbranch_execz .LBB140_4
; %bb.1:
	s_lshl_b64 s[0:1], s[10:11], 1
	s_waitcnt lgkmcnt(0)
	s_add_u32 s0, s14, s0
	v_lshlrev_b32_e32 v4, 2, v0
	s_addc_u32 s1, s15, s1
	v_mov_b32_e32 v3, s1
	v_add_co_u32_e32 v2, vcc, s0, v4
	s_lshl_b64 s[0:1], s[2:3], 1
	s_add_u32 s0, s4, s0
	v_addc_co_u32_e32 v3, vcc, 0, v3, vcc
	s_addc_u32 s1, s5, s1
	v_mov_b32_e32 v5, s1
	v_add_co_u32_e32 v4, vcc, s0, v4
	v_mov_b32_e32 v1, 0
	v_addc_co_u32_e32 v5, vcc, 0, v5, vcc
	s_mov_b64 s[18:19], 0
	s_mov_b32 s9, s7
.LBB140_2:                              ; =>This Inner Loop Header: Depth=1
	global_load_dword v7, v[2:3], off
	global_load_dword v8, v[4:5], off
	s_add_i32 s21, s9, 1
	v_add_u32_e32 v6, 0x800, v6
	s_cmp_gt_u32 s9, 30
	v_add_co_u32_e32 v2, vcc, 0x1000, v2
	v_cmp_le_i32_e64 s[0:1], s8, v6
	s_cselect_b64 s[22:23], -1, 0
	v_addc_co_u32_e32 v3, vcc, 0, v3, vcc
	s_or_b64 s[0:1], s[22:23], s[0:1]
	v_add_co_u32_e32 v4, vcc, 0x1000, v4
	s_and_b64 s[0:1], exec, s[0:1]
	s_mov_b32 s9, s21
	v_addc_co_u32_e32 v5, vcc, 0, v5, vcc
	s_or_b64 s[18:19], s[0:1], s[18:19]
	s_waitcnt vmcnt(0)
	v_pk_mul_f16 v7, v7, v8
	v_add_f16_e32 v1, v1, v7
	v_add_f16_sdwa v1, v1, v7 dst_sel:DWORD dst_unused:UNUSED_PAD src0_sel:DWORD src1_sel:WORD_1
	s_andn2_b64 exec, exec, s[18:19]
	s_cbranch_execnz .LBB140_2
; %bb.3:
	s_or_b64 exec, exec, s[18:19]
.LBB140_4:
	s_or_b64 exec, exec, s[16:17]
	s_bitcmp1_b32 s20, 0
	s_cselect_b64 s[0:1], -1, 0
	v_cmp_eq_u32_e32 vcc, s8, v6
	s_and_b64 s[16:17], s[0:1], vcc
	s_and_saveexec_b64 s[0:1], s[16:17]
	s_cbranch_execz .LBB140_6
; %bb.5:
	s_lshl_b64 s[2:3], s[2:3], 1
	s_waitcnt lgkmcnt(0)
	s_add_u32 s4, s4, s2
	s_addc_u32 s5, s5, s3
	s_lshl_b64 s[2:3], s[10:11], 1
	s_add_u32 s10, s14, s2
	s_mov_b32 s9, 0
	s_addc_u32 s11, s15, s3
	s_lshl_b64 s[2:3], s[8:9], 1
	s_add_u32 s4, s4, s2
	s_addc_u32 s5, s5, s3
	s_add_u32 s2, s10, s2
	v_mov_b32_e32 v2, 0
	s_addc_u32 s3, s11, s3
	global_load_ushort v3, v2, s[2:3]
	global_load_ushort v4, v2, s[4:5]
	s_waitcnt vmcnt(0)
	v_fma_f16 v1, v3, v4, v1
.LBB140_6:
	s_or_b64 exec, exec, s[0:1]
	v_and_b32_e32 v3, 63, v0
	v_cmp_gt_u32_e32 vcc, 64, v0
	v_lshlrev_b32_e32 v2, 1, v3
	s_and_saveexec_b64 s[0:1], vcc
	s_cbranch_execz .LBB140_8
; %bb.7:
	v_mov_b32_e32 v4, 0
	ds_write_b16 v2, v4
.LBB140_8:
	s_or_b64 exec, exec, s[0:1]
	v_mbcnt_lo_u32_b32 v4, -1, 0
	v_mbcnt_hi_u32_b32 v6, -1, v4
	v_and_b32_e32 v8, 63, v6
	v_cmp_gt_u32_e64 s[0:1], 32, v8
	v_cndmask_b32_e64 v5, 0, 1, s[0:1]
	v_lshlrev_b32_e32 v5, 5, v5
	v_and_b32_e32 v4, 0xffff, v1
	v_add_lshl_u32 v5, v5, v6, 2
	ds_bpermute_b32 v4, v5, v4
	v_cmp_gt_u32_e64 s[0:1], 48, v8
	v_cndmask_b32_e64 v5, 0, 1, s[0:1]
	s_mov_b32 s2, 0xffff0000
	v_lshlrev_b32_e32 v5, 4, v5
	s_waitcnt lgkmcnt(0)
	v_add_f16_e32 v1, v1, v4
	v_and_or_b32 v4, v4, s2, v1
	v_add_lshl_u32 v5, v5, v6, 2
	ds_bpermute_b32 v4, v5, v4
	v_cmp_gt_u32_e64 s[0:1], 56, v8
	s_waitcnt lgkmcnt(0)
	s_barrier
	v_add_f16_e32 v5, v1, v4
	v_cndmask_b32_e64 v1, 0, 1, s[0:1]
	v_lshlrev_b32_e32 v1, 3, v1
	v_and_or_b32 v4, v4, s2, v5
	v_add_lshl_u32 v1, v1, v6, 2
	ds_bpermute_b32 v4, v1, v4
	v_cmp_gt_u32_e64 s[0:1], 60, v8
	s_waitcnt lgkmcnt(0)
	v_add_f16_e32 v5, v5, v4
	v_and_or_b32 v7, v4, s2, v5
	v_cndmask_b32_e64 v4, 0, 1, s[0:1]
	v_lshlrev_b32_e32 v4, 2, v4
	v_add_lshl_u32 v4, v4, v6, 2
	ds_bpermute_b32 v7, v4, v7
	v_cmp_gt_u32_e64 s[0:1], 62, v8
	s_waitcnt lgkmcnt(0)
	v_add_f16_e32 v9, v5, v7
	v_cndmask_b32_e64 v5, 0, 1, s[0:1]
	v_lshlrev_b32_e32 v5, 1, v5
	v_and_or_b32 v7, v7, s2, v9
	v_add_lshl_u32 v5, v5, v6, 2
	ds_bpermute_b32 v10, v5, v7
	v_cmp_ne_u32_e64 s[0:1], 63, v8
	v_addc_co_u32_e64 v6, s[0:1], 0, v6, s[0:1]
	v_lshlrev_b32_e32 v6, 2, v6
	s_waitcnt lgkmcnt(0)
	v_add_f16_e32 v7, v9, v10
	v_and_or_b32 v9, v10, s2, v7
	ds_bpermute_b32 v8, v6, v9
	v_cmp_eq_u32_e64 s[0:1], 0, v3
	s_and_saveexec_b64 s[2:3], s[0:1]
	s_cbranch_execz .LBB140_10
; %bb.9:
	s_waitcnt lgkmcnt(0)
	v_add_f16_e32 v3, v7, v8
	v_lshrrev_b32_e32 v7, 5, v0
	v_and_b32_e32 v7, 30, v7
	ds_write_b16 v7, v3
.LBB140_10:
	s_or_b64 exec, exec, s[2:3]
	v_cmp_gt_u32_e64 s[0:1], 16, v0
	v_mov_b32_e32 v3, 0
	s_waitcnt lgkmcnt(0)
	s_barrier
	s_and_saveexec_b64 s[2:3], s[0:1]
	s_cbranch_execnz .LBB140_14
; %bb.11:
	s_or_b64 exec, exec, s[2:3]
	s_and_saveexec_b64 s[0:1], vcc
	s_cbranch_execnz .LBB140_15
.LBB140_12:
	s_or_b64 exec, exec, s[0:1]
	v_cmp_eq_u32_e32 vcc, 0, v0
	s_and_saveexec_b64 s[0:1], vcc
	s_cbranch_execnz .LBB140_16
.LBB140_13:
	s_endpgm
.LBB140_14:
	ds_read_u16 v3, v2
	s_or_b64 exec, exec, s[2:3]
	s_and_saveexec_b64 s[0:1], vcc
	s_cbranch_execz .LBB140_12
.LBB140_15:
	s_waitcnt lgkmcnt(0)
	v_and_b32_e32 v2, 0xffff, v3
	ds_bpermute_b32 v1, v1, v2
	s_mov_b32 s2, 0xffff0000
	s_waitcnt lgkmcnt(0)
	v_add_f16_e32 v2, v3, v1
	v_and_or_b32 v1, v1, s2, v2
	ds_bpermute_b32 v1, v4, v1
	s_waitcnt lgkmcnt(0)
	v_add_f16_e32 v2, v2, v1
	v_and_or_b32 v1, v1, s2, v2
	ds_bpermute_b32 v1, v5, v1
	;; [unrolled: 4-line block ×3, first 2 shown]
	s_waitcnt lgkmcnt(0)
	v_add_f16_e32 v3, v2, v1
	s_or_b64 exec, exec, s[0:1]
	v_cmp_eq_u32_e32 vcc, 0, v0
	s_and_saveexec_b64 s[0:1], vcc
	s_cbranch_execz .LBB140_13
.LBB140_16:
	s_lshl_b64 s[0:1], s[6:7], 1
	s_add_u32 s0, s12, s0
	s_addc_u32 s1, s13, s1
	v_mov_b32_e32 v0, 0
	s_waitcnt lgkmcnt(0)
	global_store_short v0, v3, s[0:1]
	s_endpgm
	.section	.rodata,"a",@progbits
	.p2align	6, 0x0
	.amdhsa_kernel _ZL26rocblas_dot_kernel_inc1by2ILb1ELi1024ELi32ELb0EDF16_PKPKDF16_DF16_EviT4_llS4_lliPT5_PT3_
		.amdhsa_group_segment_fixed_size 128
		.amdhsa_private_segment_fixed_size 0
		.amdhsa_kernarg_size 80
		.amdhsa_user_sgpr_count 6
		.amdhsa_user_sgpr_private_segment_buffer 1
		.amdhsa_user_sgpr_dispatch_ptr 0
		.amdhsa_user_sgpr_queue_ptr 0
		.amdhsa_user_sgpr_kernarg_segment_ptr 1
		.amdhsa_user_sgpr_dispatch_id 0
		.amdhsa_user_sgpr_flat_scratch_init 0
		.amdhsa_user_sgpr_kernarg_preload_length 0
		.amdhsa_user_sgpr_kernarg_preload_offset 0
		.amdhsa_user_sgpr_private_segment_size 0
		.amdhsa_uses_dynamic_stack 0
		.amdhsa_system_sgpr_private_segment_wavefront_offset 0
		.amdhsa_system_sgpr_workgroup_id_x 1
		.amdhsa_system_sgpr_workgroup_id_y 0
		.amdhsa_system_sgpr_workgroup_id_z 1
		.amdhsa_system_sgpr_workgroup_info 0
		.amdhsa_system_vgpr_workitem_id 0
		.amdhsa_next_free_vgpr 11
		.amdhsa_next_free_sgpr 24
		.amdhsa_accum_offset 12
		.amdhsa_reserve_vcc 1
		.amdhsa_reserve_flat_scratch 0
		.amdhsa_float_round_mode_32 0
		.amdhsa_float_round_mode_16_64 0
		.amdhsa_float_denorm_mode_32 3
		.amdhsa_float_denorm_mode_16_64 3
		.amdhsa_dx10_clamp 1
		.amdhsa_ieee_mode 1
		.amdhsa_fp16_overflow 0
		.amdhsa_tg_split 0
		.amdhsa_exception_fp_ieee_invalid_op 0
		.amdhsa_exception_fp_denorm_src 0
		.amdhsa_exception_fp_ieee_div_zero 0
		.amdhsa_exception_fp_ieee_overflow 0
		.amdhsa_exception_fp_ieee_underflow 0
		.amdhsa_exception_fp_ieee_inexact 0
		.amdhsa_exception_int_div_zero 0
	.end_amdhsa_kernel
	.section	.text._ZL26rocblas_dot_kernel_inc1by2ILb1ELi1024ELi32ELb0EDF16_PKPKDF16_DF16_EviT4_llS4_lliPT5_PT3_,"axG",@progbits,_ZL26rocblas_dot_kernel_inc1by2ILb1ELi1024ELi32ELb0EDF16_PKPKDF16_DF16_EviT4_llS4_lliPT5_PT3_,comdat
.Lfunc_end140:
	.size	_ZL26rocblas_dot_kernel_inc1by2ILb1ELi1024ELi32ELb0EDF16_PKPKDF16_DF16_EviT4_llS4_lliPT5_PT3_, .Lfunc_end140-_ZL26rocblas_dot_kernel_inc1by2ILb1ELi1024ELi32ELb0EDF16_PKPKDF16_DF16_EviT4_llS4_lliPT5_PT3_
                                        ; -- End function
	.section	.AMDGPU.csdata,"",@progbits
; Kernel info:
; codeLenInByte = 1052
; NumSgprs: 28
; NumVgprs: 11
; NumAgprs: 0
; TotalNumVgprs: 11
; ScratchSize: 0
; MemoryBound: 0
; FloatMode: 240
; IeeeMode: 1
; LDSByteSize: 128 bytes/workgroup (compile time only)
; SGPRBlocks: 3
; VGPRBlocks: 1
; NumSGPRsForWavesPerEU: 28
; NumVGPRsForWavesPerEU: 11
; AccumOffset: 12
; Occupancy: 8
; WaveLimiterHint : 1
; COMPUTE_PGM_RSRC2:SCRATCH_EN: 0
; COMPUTE_PGM_RSRC2:USER_SGPR: 6
; COMPUTE_PGM_RSRC2:TRAP_HANDLER: 0
; COMPUTE_PGM_RSRC2:TGID_X_EN: 1
; COMPUTE_PGM_RSRC2:TGID_Y_EN: 0
; COMPUTE_PGM_RSRC2:TGID_Z_EN: 1
; COMPUTE_PGM_RSRC2:TIDIG_COMP_CNT: 0
; COMPUTE_PGM_RSRC3_GFX90A:ACCUM_OFFSET: 2
; COMPUTE_PGM_RSRC3_GFX90A:TG_SPLIT: 0
	.section	.text._ZL18rocblas_dot_kernelIiLb1ELi1024ELi32ELb0EDF16_PKPKDF16_DF16_EviT5_lT_lS4_lS5_liPT6_PT4_,"axG",@progbits,_ZL18rocblas_dot_kernelIiLb1ELi1024ELi32ELb0EDF16_PKPKDF16_DF16_EviT5_lT_lS4_lS5_liPT6_PT4_,comdat
	.globl	_ZL18rocblas_dot_kernelIiLb1ELi1024ELi32ELb0EDF16_PKPKDF16_DF16_EviT5_lT_lS4_lS5_liPT6_PT4_ ; -- Begin function _ZL18rocblas_dot_kernelIiLb1ELi1024ELi32ELb0EDF16_PKPKDF16_DF16_EviT5_lT_lS4_lS5_liPT6_PT4_
	.p2align	8
	.type	_ZL18rocblas_dot_kernelIiLb1ELi1024ELi32ELb0EDF16_PKPKDF16_DF16_EviT5_lT_lS4_lS5_liPT6_PT4_,@function
_ZL18rocblas_dot_kernelIiLb1ELi1024ELi32ELb0EDF16_PKPKDF16_DF16_EviT5_lT_lS4_lS5_liPT6_PT4_: ; @_ZL18rocblas_dot_kernelIiLb1ELi1024ELi32ELb0EDF16_PKPKDF16_DF16_EviT5_lT_lS4_lS5_liPT6_PT4_
; %bb.0:
	s_mov_b32 s2, s7
	s_load_dword s14, s[4:5], 0x0
	s_load_dwordx2 s[6:7], s[4:5], 0x58
	s_mov_b32 s3, 0
	v_mov_b32_e32 v1, 0
	s_waitcnt lgkmcnt(0)
	v_cmp_gt_i32_e32 vcc, s14, v0
	s_and_saveexec_b64 s[8:9], vcc
	s_cbranch_execz .LBB141_4
; %bb.1:
	s_load_dwordx4 s[16:19], s[4:5], 0x8
	s_load_dword s24, s[4:5], 0x18
	s_load_dwordx4 s[20:23], s[4:5], 0x28
	s_lshl_b64 s[0:1], s[2:3], 3
	s_waitcnt lgkmcnt(0)
	s_add_u32 s10, s16, s0
	s_addc_u32 s11, s17, s1
	s_load_dword s16, s[4:5], 0x38
	s_load_dword s15, s[4:5], 0x60
	s_load_dwordx2 s[12:13], s[10:11], 0x0
	s_add_u32 s0, s20, s0
	s_addc_u32 s1, s21, s1
	v_mad_i64_i32 v[2:3], s[4:5], s24, v0, 0
	s_load_dwordx2 s[0:1], s[0:1], 0x0
	s_waitcnt lgkmcnt(0)
	s_lshl_b32 s15, s15, 10
	s_lshl_b64 s[4:5], s[18:19], 1
	s_add_u32 s4, s12, s4
	v_lshlrev_b64 v[2:3], 1, v[2:3]
	s_addc_u32 s5, s13, s5
	v_mov_b32_e32 v1, s5
	v_add_co_u32_e32 v2, vcc, s4, v2
	s_mul_hi_i32 s5, s24, s15
	s_mul_i32 s4, s24, s15
	v_mad_i64_i32 v[4:5], s[10:11], s16, v0, 0
	s_lshl_b64 s[4:5], s[4:5], 1
	s_lshl_b64 s[10:11], s[22:23], 1
	s_add_u32 s0, s0, s10
	v_addc_co_u32_e32 v3, vcc, v1, v3, vcc
	v_lshlrev_b64 v[4:5], 1, v[4:5]
	s_addc_u32 s1, s1, s11
	v_mov_b32_e32 v1, s1
	v_add_co_u32_e32 v4, vcc, s0, v4
	s_mul_hi_i32 s1, s16, s15
	s_mul_i32 s0, s16, s15
	s_lshl_b64 s[12:13], s[0:1], 1
	v_or_b32_e32 v6, s15, v0
	v_addc_co_u32_e32 v5, vcc, v1, v5, vcc
	s_mov_b64 s[10:11], 0
	v_mov_b32_e32 v1, 0
	v_mov_b32_e32 v7, s5
	;; [unrolled: 1-line block ×3, first 2 shown]
	s_mov_b32 s5, s3
.LBB141_2:                              ; =>This Inner Loop Header: Depth=1
	global_load_ushort v9, v[4:5], off
	global_load_ushort v10, v[2:3], off
	v_add_co_u32_e64 v2, s[0:1], s4, v2
	v_addc_co_u32_e64 v3, s[0:1], v3, v7, s[0:1]
	s_add_i32 s13, s5, 1
	v_add_co_u32_e64 v4, s[0:1], s12, v4
	v_addc_co_u32_e64 v5, s[0:1], v5, v8, s[0:1]
	s_cmp_gt_u32 s5, 30
	v_cmp_le_i32_e32 vcc, s14, v6
	s_cselect_b64 s[0:1], -1, 0
	s_or_b64 s[0:1], s[0:1], vcc
	s_and_b64 s[0:1], exec, s[0:1]
	v_add_u32_e32 v6, s15, v6
	s_mov_b32 s5, s13
	s_or_b64 s[10:11], s[0:1], s[10:11]
	s_waitcnt vmcnt(0)
	v_fma_f16 v1, v9, v10, v1
	s_andn2_b64 exec, exec, s[10:11]
	s_cbranch_execnz .LBB141_2
; %bb.3:
	s_or_b64 exec, exec, s[10:11]
.LBB141_4:
	s_or_b64 exec, exec, s[8:9]
	v_and_b32_e32 v3, 63, v0
	v_cmp_gt_u32_e32 vcc, 64, v0
	v_lshlrev_b32_e32 v2, 1, v3
	s_and_saveexec_b64 s[0:1], vcc
	s_cbranch_execz .LBB141_6
; %bb.5:
	v_mov_b32_e32 v4, 0
	ds_write_b16 v2, v4
.LBB141_6:
	s_or_b64 exec, exec, s[0:1]
	v_mbcnt_lo_u32_b32 v4, -1, 0
	v_mbcnt_hi_u32_b32 v6, -1, v4
	v_and_b32_e32 v8, 63, v6
	v_cmp_gt_u32_e64 s[0:1], 32, v8
	v_cndmask_b32_e64 v5, 0, 1, s[0:1]
	v_lshlrev_b32_e32 v5, 5, v5
	v_and_b32_e32 v4, 0xffff, v1
	v_add_lshl_u32 v5, v5, v6, 2
	ds_bpermute_b32 v4, v5, v4
	v_cmp_gt_u32_e64 s[0:1], 48, v8
	v_cndmask_b32_e64 v5, 0, 1, s[0:1]
	s_mov_b32 s4, 0xffff0000
	v_lshlrev_b32_e32 v5, 4, v5
	s_waitcnt lgkmcnt(0)
	v_add_f16_e32 v1, v1, v4
	v_and_or_b32 v4, v4, s4, v1
	v_add_lshl_u32 v5, v5, v6, 2
	ds_bpermute_b32 v4, v5, v4
	v_cmp_gt_u32_e64 s[0:1], 56, v8
	s_waitcnt lgkmcnt(0)
	s_barrier
	v_add_f16_e32 v5, v1, v4
	v_cndmask_b32_e64 v1, 0, 1, s[0:1]
	v_lshlrev_b32_e32 v1, 3, v1
	v_and_or_b32 v4, v4, s4, v5
	v_add_lshl_u32 v1, v1, v6, 2
	ds_bpermute_b32 v4, v1, v4
	v_cmp_gt_u32_e64 s[0:1], 60, v8
	s_waitcnt lgkmcnt(0)
	v_add_f16_e32 v5, v5, v4
	v_and_or_b32 v7, v4, s4, v5
	v_cndmask_b32_e64 v4, 0, 1, s[0:1]
	v_lshlrev_b32_e32 v4, 2, v4
	v_add_lshl_u32 v4, v4, v6, 2
	ds_bpermute_b32 v7, v4, v7
	v_cmp_gt_u32_e64 s[0:1], 62, v8
	s_waitcnt lgkmcnt(0)
	v_add_f16_e32 v9, v5, v7
	v_cndmask_b32_e64 v5, 0, 1, s[0:1]
	v_lshlrev_b32_e32 v5, 1, v5
	v_and_or_b32 v7, v7, s4, v9
	v_add_lshl_u32 v5, v5, v6, 2
	ds_bpermute_b32 v10, v5, v7
	v_cmp_ne_u32_e64 s[0:1], 63, v8
	v_addc_co_u32_e64 v6, s[0:1], 0, v6, s[0:1]
	v_lshlrev_b32_e32 v6, 2, v6
	s_waitcnt lgkmcnt(0)
	v_add_f16_e32 v7, v9, v10
	v_and_or_b32 v9, v10, s4, v7
	ds_bpermute_b32 v8, v6, v9
	v_cmp_eq_u32_e64 s[0:1], 0, v3
	s_and_saveexec_b64 s[4:5], s[0:1]
	s_cbranch_execz .LBB141_8
; %bb.7:
	s_waitcnt lgkmcnt(0)
	v_add_f16_e32 v3, v7, v8
	v_lshrrev_b32_e32 v7, 5, v0
	v_and_b32_e32 v7, 30, v7
	ds_write_b16 v7, v3
.LBB141_8:
	s_or_b64 exec, exec, s[4:5]
	v_cmp_gt_u32_e64 s[0:1], 16, v0
	v_mov_b32_e32 v3, 0
	s_waitcnt lgkmcnt(0)
	s_barrier
	s_and_saveexec_b64 s[4:5], s[0:1]
	s_cbranch_execnz .LBB141_12
; %bb.9:
	s_or_b64 exec, exec, s[4:5]
	s_and_saveexec_b64 s[0:1], vcc
	s_cbranch_execnz .LBB141_13
.LBB141_10:
	s_or_b64 exec, exec, s[0:1]
	v_cmp_eq_u32_e32 vcc, 0, v0
	s_and_saveexec_b64 s[0:1], vcc
	s_cbranch_execnz .LBB141_14
.LBB141_11:
	s_endpgm
.LBB141_12:
	ds_read_u16 v3, v2
	s_or_b64 exec, exec, s[4:5]
	s_and_saveexec_b64 s[0:1], vcc
	s_cbranch_execz .LBB141_10
.LBB141_13:
	s_waitcnt lgkmcnt(0)
	v_and_b32_e32 v2, 0xffff, v3
	ds_bpermute_b32 v1, v1, v2
	s_mov_b32 s4, 0xffff0000
	s_waitcnt lgkmcnt(0)
	v_add_f16_e32 v2, v3, v1
	v_and_or_b32 v1, v1, s4, v2
	ds_bpermute_b32 v1, v4, v1
	s_waitcnt lgkmcnt(0)
	v_add_f16_e32 v2, v2, v1
	v_and_or_b32 v1, v1, s4, v2
	ds_bpermute_b32 v1, v5, v1
	;; [unrolled: 4-line block ×3, first 2 shown]
	s_waitcnt lgkmcnt(0)
	v_add_f16_e32 v3, v2, v1
	s_or_b64 exec, exec, s[0:1]
	v_cmp_eq_u32_e32 vcc, 0, v0
	s_and_saveexec_b64 s[0:1], vcc
	s_cbranch_execz .LBB141_11
.LBB141_14:
	s_lshl_b64 s[0:1], s[2:3], 1
	s_add_u32 s0, s6, s0
	s_addc_u32 s1, s7, s1
	v_mov_b32_e32 v0, 0
	s_waitcnt lgkmcnt(0)
	global_store_short v0, v3, s[0:1]
	s_endpgm
	.section	.rodata,"a",@progbits
	.p2align	6, 0x0
	.amdhsa_kernel _ZL18rocblas_dot_kernelIiLb1ELi1024ELi32ELb0EDF16_PKPKDF16_DF16_EviT5_lT_lS4_lS5_liPT6_PT4_
		.amdhsa_group_segment_fixed_size 128
		.amdhsa_private_segment_fixed_size 0
		.amdhsa_kernarg_size 352
		.amdhsa_user_sgpr_count 6
		.amdhsa_user_sgpr_private_segment_buffer 1
		.amdhsa_user_sgpr_dispatch_ptr 0
		.amdhsa_user_sgpr_queue_ptr 0
		.amdhsa_user_sgpr_kernarg_segment_ptr 1
		.amdhsa_user_sgpr_dispatch_id 0
		.amdhsa_user_sgpr_flat_scratch_init 0
		.amdhsa_user_sgpr_kernarg_preload_length 0
		.amdhsa_user_sgpr_kernarg_preload_offset 0
		.amdhsa_user_sgpr_private_segment_size 0
		.amdhsa_uses_dynamic_stack 0
		.amdhsa_system_sgpr_private_segment_wavefront_offset 0
		.amdhsa_system_sgpr_workgroup_id_x 1
		.amdhsa_system_sgpr_workgroup_id_y 0
		.amdhsa_system_sgpr_workgroup_id_z 1
		.amdhsa_system_sgpr_workgroup_info 0
		.amdhsa_system_vgpr_workitem_id 0
		.amdhsa_next_free_vgpr 11
		.amdhsa_next_free_sgpr 25
		.amdhsa_accum_offset 12
		.amdhsa_reserve_vcc 1
		.amdhsa_reserve_flat_scratch 0
		.amdhsa_float_round_mode_32 0
		.amdhsa_float_round_mode_16_64 0
		.amdhsa_float_denorm_mode_32 3
		.amdhsa_float_denorm_mode_16_64 3
		.amdhsa_dx10_clamp 1
		.amdhsa_ieee_mode 1
		.amdhsa_fp16_overflow 0
		.amdhsa_tg_split 0
		.amdhsa_exception_fp_ieee_invalid_op 0
		.amdhsa_exception_fp_denorm_src 0
		.amdhsa_exception_fp_ieee_div_zero 0
		.amdhsa_exception_fp_ieee_overflow 0
		.amdhsa_exception_fp_ieee_underflow 0
		.amdhsa_exception_fp_ieee_inexact 0
		.amdhsa_exception_int_div_zero 0
	.end_amdhsa_kernel
	.section	.text._ZL18rocblas_dot_kernelIiLb1ELi1024ELi32ELb0EDF16_PKPKDF16_DF16_EviT5_lT_lS4_lS5_liPT6_PT4_,"axG",@progbits,_ZL18rocblas_dot_kernelIiLb1ELi1024ELi32ELb0EDF16_PKPKDF16_DF16_EviT5_lT_lS4_lS5_liPT6_PT4_,comdat
.Lfunc_end141:
	.size	_ZL18rocblas_dot_kernelIiLb1ELi1024ELi32ELb0EDF16_PKPKDF16_DF16_EviT5_lT_lS4_lS5_liPT6_PT4_, .Lfunc_end141-_ZL18rocblas_dot_kernelIiLb1ELi1024ELi32ELb0EDF16_PKPKDF16_DF16_EviT5_lT_lS4_lS5_liPT6_PT4_
                                        ; -- End function
	.section	.AMDGPU.csdata,"",@progbits
; Kernel info:
; codeLenInByte = 1016
; NumSgprs: 29
; NumVgprs: 11
; NumAgprs: 0
; TotalNumVgprs: 11
; ScratchSize: 0
; MemoryBound: 0
; FloatMode: 240
; IeeeMode: 1
; LDSByteSize: 128 bytes/workgroup (compile time only)
; SGPRBlocks: 3
; VGPRBlocks: 1
; NumSGPRsForWavesPerEU: 29
; NumVGPRsForWavesPerEU: 11
; AccumOffset: 12
; Occupancy: 8
; WaveLimiterHint : 0
; COMPUTE_PGM_RSRC2:SCRATCH_EN: 0
; COMPUTE_PGM_RSRC2:USER_SGPR: 6
; COMPUTE_PGM_RSRC2:TRAP_HANDLER: 0
; COMPUTE_PGM_RSRC2:TGID_X_EN: 1
; COMPUTE_PGM_RSRC2:TGID_Y_EN: 0
; COMPUTE_PGM_RSRC2:TGID_Z_EN: 1
; COMPUTE_PGM_RSRC2:TIDIG_COMP_CNT: 0
; COMPUTE_PGM_RSRC3_GFX90A:ACCUM_OFFSET: 2
; COMPUTE_PGM_RSRC3_GFX90A:TG_SPLIT: 0
	.section	.text._ZL24rocblas_dot_kernel_magsqIiLb1ELi1024ELi32ELb0EDF16_PKPKDF16_DF16_EviT5_lT_liPT6_PT4_,"axG",@progbits,_ZL24rocblas_dot_kernel_magsqIiLb1ELi1024ELi32ELb0EDF16_PKPKDF16_DF16_EviT5_lT_liPT6_PT4_,comdat
	.globl	_ZL24rocblas_dot_kernel_magsqIiLb1ELi1024ELi32ELb0EDF16_PKPKDF16_DF16_EviT5_lT_liPT6_PT4_ ; -- Begin function _ZL24rocblas_dot_kernel_magsqIiLb1ELi1024ELi32ELb0EDF16_PKPKDF16_DF16_EviT5_lT_liPT6_PT4_
	.p2align	8
	.type	_ZL24rocblas_dot_kernel_magsqIiLb1ELi1024ELi32ELb0EDF16_PKPKDF16_DF16_EviT5_lT_liPT6_PT4_,@function
_ZL24rocblas_dot_kernel_magsqIiLb1ELi1024ELi32ELb0EDF16_PKPKDF16_DF16_EviT5_lT_liPT6_PT4_: ; @_ZL24rocblas_dot_kernel_magsqIiLb1ELi1024ELi32ELb0EDF16_PKPKDF16_DF16_EviT5_lT_liPT6_PT4_
; %bb.0:
	s_mov_b32 s2, s7
	s_load_dword s12, s[4:5], 0x0
	s_load_dwordx2 s[6:7], s[4:5], 0x38
	s_mov_b32 s3, 0
	v_mov_b32_e32 v4, 0
	s_waitcnt lgkmcnt(0)
	v_cmp_gt_i32_e32 vcc, s12, v0
	s_and_saveexec_b64 s[8:9], vcc
	s_cbranch_execz .LBB142_4
; %bb.1:
	s_load_dwordx4 s[16:19], s[4:5], 0x8
	s_load_dword s10, s[4:5], 0x40
	s_load_dword s11, s[4:5], 0x18
	s_lshl_b64 s[0:1], s[2:3], 3
	s_waitcnt lgkmcnt(0)
	s_add_u32 s0, s16, s0
	s_addc_u32 s1, s17, s1
	s_load_dwordx2 s[0:1], s[0:1], 0x0
	v_mad_i64_i32 v[2:3], s[4:5], s11, v0, 0
	s_lshl_b32 s13, s10, 10
	s_lshl_b64 s[4:5], s[18:19], 1
	s_waitcnt lgkmcnt(0)
	s_add_u32 s0, s0, s4
	v_lshlrev_b64 v[2:3], 1, v[2:3]
	s_addc_u32 s1, s1, s5
	v_mov_b32_e32 v4, s1
	v_add_co_u32_e32 v2, vcc, s0, v2
	s_mul_hi_i32 s1, s11, s13
	s_mul_i32 s0, s11, s13
	s_lshl_b64 s[10:11], s[0:1], 1
	v_or_b32_e32 v1, s13, v0
	v_addc_co_u32_e32 v3, vcc, v4, v3, vcc
	s_mov_b64 s[4:5], 0
	v_mov_b32_e32 v4, 0
	v_mov_b32_e32 v5, s11
	s_mov_b32 s11, s3
.LBB142_2:                              ; =>This Inner Loop Header: Depth=1
	global_load_ushort v6, v[2:3], off
	s_add_i32 s14, s11, 1
	v_add_co_u32_e64 v2, s[0:1], s10, v2
	v_addc_co_u32_e64 v3, s[0:1], v3, v5, s[0:1]
	s_cmp_gt_u32 s11, 30
	v_cmp_le_i32_e32 vcc, s12, v1
	s_cselect_b64 s[0:1], -1, 0
	s_or_b64 s[0:1], s[0:1], vcc
	s_and_b64 s[0:1], exec, s[0:1]
	v_add_u32_e32 v1, s13, v1
	s_mov_b32 s11, s14
	s_or_b64 s[4:5], s[0:1], s[4:5]
	s_waitcnt vmcnt(0)
	v_fma_f16 v4, v6, v6, v4
	s_andn2_b64 exec, exec, s[4:5]
	s_cbranch_execnz .LBB142_2
; %bb.3:
	s_or_b64 exec, exec, s[4:5]
.LBB142_4:
	s_or_b64 exec, exec, s[8:9]
	v_and_b32_e32 v2, 63, v0
	v_cmp_gt_u32_e32 vcc, 64, v0
	v_lshlrev_b32_e32 v1, 1, v2
	s_and_saveexec_b64 s[0:1], vcc
	s_cbranch_execz .LBB142_6
; %bb.5:
	v_mov_b32_e32 v3, 0
	ds_write_b16 v1, v3
.LBB142_6:
	s_or_b64 exec, exec, s[0:1]
	v_mbcnt_lo_u32_b32 v3, -1, 0
	v_mbcnt_hi_u32_b32 v6, -1, v3
	v_and_b32_e32 v8, 63, v6
	v_cmp_gt_u32_e64 s[0:1], 32, v8
	v_cndmask_b32_e64 v5, 0, 1, s[0:1]
	v_lshlrev_b32_e32 v5, 5, v5
	v_and_b32_e32 v3, 0xffff, v4
	v_add_lshl_u32 v5, v5, v6, 2
	ds_bpermute_b32 v3, v5, v3
	v_cmp_gt_u32_e64 s[0:1], 48, v8
	v_cndmask_b32_e64 v5, 0, 1, s[0:1]
	s_mov_b32 s4, 0xffff0000
	v_lshlrev_b32_e32 v5, 4, v5
	s_waitcnt lgkmcnt(0)
	v_add_f16_e32 v4, v4, v3
	v_and_or_b32 v3, v3, s4, v4
	v_add_lshl_u32 v5, v5, v6, 2
	ds_bpermute_b32 v3, v5, v3
	v_cmp_gt_u32_e64 s[0:1], 56, v8
	s_waitcnt lgkmcnt(0)
	s_barrier
	v_add_f16_e32 v4, v4, v3
	v_and_or_b32 v5, v3, s4, v4
	v_cndmask_b32_e64 v3, 0, 1, s[0:1]
	v_lshlrev_b32_e32 v3, 3, v3
	v_add_lshl_u32 v3, v3, v6, 2
	ds_bpermute_b32 v5, v3, v5
	v_cmp_gt_u32_e64 s[0:1], 60, v8
	s_waitcnt lgkmcnt(0)
	v_add_f16_e32 v7, v4, v5
	v_cndmask_b32_e64 v4, 0, 1, s[0:1]
	v_lshlrev_b32_e32 v4, 2, v4
	v_and_or_b32 v5, v5, s4, v7
	v_add_lshl_u32 v4, v4, v6, 2
	ds_bpermute_b32 v5, v4, v5
	v_cmp_gt_u32_e64 s[0:1], 62, v8
	s_waitcnt lgkmcnt(0)
	v_add_f16_e32 v7, v7, v5
	v_and_or_b32 v9, v5, s4, v7
	v_cndmask_b32_e64 v5, 0, 1, s[0:1]
	v_lshlrev_b32_e32 v5, 1, v5
	v_add_lshl_u32 v5, v5, v6, 2
	ds_bpermute_b32 v9, v5, v9
	v_cmp_ne_u32_e64 s[0:1], 63, v8
	v_addc_co_u32_e64 v6, s[0:1], 0, v6, s[0:1]
	v_lshlrev_b32_e32 v6, 2, v6
	s_waitcnt lgkmcnt(0)
	v_add_f16_e32 v7, v7, v9
	v_and_or_b32 v9, v9, s4, v7
	ds_bpermute_b32 v8, v6, v9
	v_cmp_eq_u32_e64 s[0:1], 0, v2
	s_and_saveexec_b64 s[4:5], s[0:1]
	s_cbranch_execz .LBB142_8
; %bb.7:
	s_waitcnt lgkmcnt(0)
	v_add_f16_e32 v2, v7, v8
	v_lshrrev_b32_e32 v7, 5, v0
	v_and_b32_e32 v7, 30, v7
	ds_write_b16 v7, v2
.LBB142_8:
	s_or_b64 exec, exec, s[4:5]
	v_cmp_gt_u32_e64 s[0:1], 16, v0
	v_mov_b32_e32 v2, 0
	s_waitcnt lgkmcnt(0)
	s_barrier
	s_and_saveexec_b64 s[4:5], s[0:1]
	s_cbranch_execnz .LBB142_12
; %bb.9:
	s_or_b64 exec, exec, s[4:5]
	s_and_saveexec_b64 s[0:1], vcc
	s_cbranch_execnz .LBB142_13
.LBB142_10:
	s_or_b64 exec, exec, s[0:1]
	v_cmp_eq_u32_e32 vcc, 0, v0
	s_and_saveexec_b64 s[0:1], vcc
	s_cbranch_execnz .LBB142_14
.LBB142_11:
	s_endpgm
.LBB142_12:
	ds_read_u16 v2, v1
	s_or_b64 exec, exec, s[4:5]
	s_and_saveexec_b64 s[0:1], vcc
	s_cbranch_execz .LBB142_10
.LBB142_13:
	s_waitcnt lgkmcnt(0)
	v_and_b32_e32 v1, 0xffff, v2
	ds_bpermute_b32 v1, v3, v1
	s_mov_b32 s4, 0xffff0000
	s_waitcnt lgkmcnt(0)
	v_add_f16_e32 v2, v2, v1
	v_and_or_b32 v1, v1, s4, v2
	ds_bpermute_b32 v1, v4, v1
	s_waitcnt lgkmcnt(0)
	v_add_f16_e32 v2, v2, v1
	v_and_or_b32 v1, v1, s4, v2
	ds_bpermute_b32 v1, v5, v1
	;; [unrolled: 4-line block ×3, first 2 shown]
	s_waitcnt lgkmcnt(0)
	v_add_f16_e32 v2, v2, v1
	s_or_b64 exec, exec, s[0:1]
	v_cmp_eq_u32_e32 vcc, 0, v0
	s_and_saveexec_b64 s[0:1], vcc
	s_cbranch_execz .LBB142_11
.LBB142_14:
	s_lshl_b64 s[0:1], s[2:3], 1
	s_add_u32 s0, s6, s0
	s_addc_u32 s1, s7, s1
	v_mov_b32_e32 v0, 0
	s_waitcnt lgkmcnt(0)
	global_store_short v0, v2, s[0:1]
	s_endpgm
	.section	.rodata,"a",@progbits
	.p2align	6, 0x0
	.amdhsa_kernel _ZL24rocblas_dot_kernel_magsqIiLb1ELi1024ELi32ELb0EDF16_PKPKDF16_DF16_EviT5_lT_liPT6_PT4_
		.amdhsa_group_segment_fixed_size 128
		.amdhsa_private_segment_fixed_size 0
		.amdhsa_kernarg_size 320
		.amdhsa_user_sgpr_count 6
		.amdhsa_user_sgpr_private_segment_buffer 1
		.amdhsa_user_sgpr_dispatch_ptr 0
		.amdhsa_user_sgpr_queue_ptr 0
		.amdhsa_user_sgpr_kernarg_segment_ptr 1
		.amdhsa_user_sgpr_dispatch_id 0
		.amdhsa_user_sgpr_flat_scratch_init 0
		.amdhsa_user_sgpr_kernarg_preload_length 0
		.amdhsa_user_sgpr_kernarg_preload_offset 0
		.amdhsa_user_sgpr_private_segment_size 0
		.amdhsa_uses_dynamic_stack 0
		.amdhsa_system_sgpr_private_segment_wavefront_offset 0
		.amdhsa_system_sgpr_workgroup_id_x 1
		.amdhsa_system_sgpr_workgroup_id_y 0
		.amdhsa_system_sgpr_workgroup_id_z 1
		.amdhsa_system_sgpr_workgroup_info 0
		.amdhsa_system_vgpr_workitem_id 0
		.amdhsa_next_free_vgpr 10
		.amdhsa_next_free_sgpr 20
		.amdhsa_accum_offset 12
		.amdhsa_reserve_vcc 1
		.amdhsa_reserve_flat_scratch 0
		.amdhsa_float_round_mode_32 0
		.amdhsa_float_round_mode_16_64 0
		.amdhsa_float_denorm_mode_32 3
		.amdhsa_float_denorm_mode_16_64 3
		.amdhsa_dx10_clamp 1
		.amdhsa_ieee_mode 1
		.amdhsa_fp16_overflow 0
		.amdhsa_tg_split 0
		.amdhsa_exception_fp_ieee_invalid_op 0
		.amdhsa_exception_fp_denorm_src 0
		.amdhsa_exception_fp_ieee_div_zero 0
		.amdhsa_exception_fp_ieee_overflow 0
		.amdhsa_exception_fp_ieee_underflow 0
		.amdhsa_exception_fp_ieee_inexact 0
		.amdhsa_exception_int_div_zero 0
	.end_amdhsa_kernel
	.section	.text._ZL24rocblas_dot_kernel_magsqIiLb1ELi1024ELi32ELb0EDF16_PKPKDF16_DF16_EviT5_lT_liPT6_PT4_,"axG",@progbits,_ZL24rocblas_dot_kernel_magsqIiLb1ELi1024ELi32ELb0EDF16_PKPKDF16_DF16_EviT5_lT_liPT6_PT4_,comdat
.Lfunc_end142:
	.size	_ZL24rocblas_dot_kernel_magsqIiLb1ELi1024ELi32ELb0EDF16_PKPKDF16_DF16_EviT5_lT_liPT6_PT4_, .Lfunc_end142-_ZL24rocblas_dot_kernel_magsqIiLb1ELi1024ELi32ELb0EDF16_PKPKDF16_DF16_EviT5_lT_liPT6_PT4_
                                        ; -- End function
	.section	.AMDGPU.csdata,"",@progbits
; Kernel info:
; codeLenInByte = 904
; NumSgprs: 24
; NumVgprs: 10
; NumAgprs: 0
; TotalNumVgprs: 10
; ScratchSize: 0
; MemoryBound: 0
; FloatMode: 240
; IeeeMode: 1
; LDSByteSize: 128 bytes/workgroup (compile time only)
; SGPRBlocks: 2
; VGPRBlocks: 1
; NumSGPRsForWavesPerEU: 24
; NumVGPRsForWavesPerEU: 10
; AccumOffset: 12
; Occupancy: 8
; WaveLimiterHint : 0
; COMPUTE_PGM_RSRC2:SCRATCH_EN: 0
; COMPUTE_PGM_RSRC2:USER_SGPR: 6
; COMPUTE_PGM_RSRC2:TRAP_HANDLER: 0
; COMPUTE_PGM_RSRC2:TGID_X_EN: 1
; COMPUTE_PGM_RSRC2:TGID_Y_EN: 0
; COMPUTE_PGM_RSRC2:TGID_Z_EN: 1
; COMPUTE_PGM_RSRC2:TIDIG_COMP_CNT: 0
; COMPUTE_PGM_RSRC3_GFX90A:ACCUM_OFFSET: 2
; COMPUTE_PGM_RSRC3_GFX90A:TG_SPLIT: 0
	.section	.text._ZL38rocblas_dot_kernel_gfx942_float_doubleIiLi1024EDF16_PKPKDF16_DF16_EviT2_lT_lS4_lS5_lPT3_PT1_,"axG",@progbits,_ZL38rocblas_dot_kernel_gfx942_float_doubleIiLi1024EDF16_PKPKDF16_DF16_EviT2_lT_lS4_lS5_lPT3_PT1_,comdat
	.globl	_ZL38rocblas_dot_kernel_gfx942_float_doubleIiLi1024EDF16_PKPKDF16_DF16_EviT2_lT_lS4_lS5_lPT3_PT1_ ; -- Begin function _ZL38rocblas_dot_kernel_gfx942_float_doubleIiLi1024EDF16_PKPKDF16_DF16_EviT2_lT_lS4_lS5_lPT3_PT1_
	.p2align	8
	.type	_ZL38rocblas_dot_kernel_gfx942_float_doubleIiLi1024EDF16_PKPKDF16_DF16_EviT2_lT_lS4_lS5_lPT3_PT1_,@function
_ZL38rocblas_dot_kernel_gfx942_float_doubleIiLi1024EDF16_PKPKDF16_DF16_EviT2_lT_lS4_lS5_lPT3_PT1_: ; @_ZL38rocblas_dot_kernel_gfx942_float_doubleIiLi1024EDF16_PKPKDF16_DF16_EviT2_lT_lS4_lS5_lPT3_PT1_
; %bb.0:
	s_endpgm
	.section	.rodata,"a",@progbits
	.p2align	6, 0x0
	.amdhsa_kernel _ZL38rocblas_dot_kernel_gfx942_float_doubleIiLi1024EDF16_PKPKDF16_DF16_EviT2_lT_lS4_lS5_lPT3_PT1_
		.amdhsa_group_segment_fixed_size 0
		.amdhsa_private_segment_fixed_size 0
		.amdhsa_kernarg_size 88
		.amdhsa_user_sgpr_count 6
		.amdhsa_user_sgpr_private_segment_buffer 1
		.amdhsa_user_sgpr_dispatch_ptr 0
		.amdhsa_user_sgpr_queue_ptr 0
		.amdhsa_user_sgpr_kernarg_segment_ptr 1
		.amdhsa_user_sgpr_dispatch_id 0
		.amdhsa_user_sgpr_flat_scratch_init 0
		.amdhsa_user_sgpr_kernarg_preload_length 0
		.amdhsa_user_sgpr_kernarg_preload_offset 0
		.amdhsa_user_sgpr_private_segment_size 0
		.amdhsa_uses_dynamic_stack 0
		.amdhsa_system_sgpr_private_segment_wavefront_offset 0
		.amdhsa_system_sgpr_workgroup_id_x 1
		.amdhsa_system_sgpr_workgroup_id_y 0
		.amdhsa_system_sgpr_workgroup_id_z 0
		.amdhsa_system_sgpr_workgroup_info 0
		.amdhsa_system_vgpr_workitem_id 0
		.amdhsa_next_free_vgpr 1
		.amdhsa_next_free_sgpr 0
		.amdhsa_accum_offset 4
		.amdhsa_reserve_vcc 0
		.amdhsa_reserve_flat_scratch 0
		.amdhsa_float_round_mode_32 0
		.amdhsa_float_round_mode_16_64 0
		.amdhsa_float_denorm_mode_32 3
		.amdhsa_float_denorm_mode_16_64 3
		.amdhsa_dx10_clamp 1
		.amdhsa_ieee_mode 1
		.amdhsa_fp16_overflow 0
		.amdhsa_tg_split 0
		.amdhsa_exception_fp_ieee_invalid_op 0
		.amdhsa_exception_fp_denorm_src 0
		.amdhsa_exception_fp_ieee_div_zero 0
		.amdhsa_exception_fp_ieee_overflow 0
		.amdhsa_exception_fp_ieee_underflow 0
		.amdhsa_exception_fp_ieee_inexact 0
		.amdhsa_exception_int_div_zero 0
	.end_amdhsa_kernel
	.section	.text._ZL38rocblas_dot_kernel_gfx942_float_doubleIiLi1024EDF16_PKPKDF16_DF16_EviT2_lT_lS4_lS5_lPT3_PT1_,"axG",@progbits,_ZL38rocblas_dot_kernel_gfx942_float_doubleIiLi1024EDF16_PKPKDF16_DF16_EviT2_lT_lS4_lS5_lPT3_PT1_,comdat
.Lfunc_end143:
	.size	_ZL38rocblas_dot_kernel_gfx942_float_doubleIiLi1024EDF16_PKPKDF16_DF16_EviT2_lT_lS4_lS5_lPT3_PT1_, .Lfunc_end143-_ZL38rocblas_dot_kernel_gfx942_float_doubleIiLi1024EDF16_PKPKDF16_DF16_EviT2_lT_lS4_lS5_lPT3_PT1_
                                        ; -- End function
	.section	.AMDGPU.csdata,"",@progbits
; Kernel info:
; codeLenInByte = 4
; NumSgprs: 4
; NumVgprs: 0
; NumAgprs: 0
; TotalNumVgprs: 0
; ScratchSize: 0
; MemoryBound: 0
; FloatMode: 240
; IeeeMode: 1
; LDSByteSize: 0 bytes/workgroup (compile time only)
; SGPRBlocks: 0
; VGPRBlocks: 0
; NumSGPRsForWavesPerEU: 4
; NumVGPRsForWavesPerEU: 1
; AccumOffset: 4
; Occupancy: 8
; WaveLimiterHint : 0
; COMPUTE_PGM_RSRC2:SCRATCH_EN: 0
; COMPUTE_PGM_RSRC2:USER_SGPR: 6
; COMPUTE_PGM_RSRC2:TRAP_HANDLER: 0
; COMPUTE_PGM_RSRC2:TGID_X_EN: 1
; COMPUTE_PGM_RSRC2:TGID_Y_EN: 0
; COMPUTE_PGM_RSRC2:TGID_Z_EN: 0
; COMPUTE_PGM_RSRC2:TIDIG_COMP_CNT: 0
; COMPUTE_PGM_RSRC3_GFX90A:ACCUM_OFFSET: 0
; COMPUTE_PGM_RSRC3_GFX90A:TG_SPLIT: 0
	.section	.text._ZL23rocblas_dot_kernel_inc1ILb0ELi512ELi8ELb0EDF16_PKPKDF16_DF16_EviT4_llS4_lliPT5_PT3_,"axG",@progbits,_ZL23rocblas_dot_kernel_inc1ILb0ELi512ELi8ELb0EDF16_PKPKDF16_DF16_EviT4_llS4_lliPT5_PT3_,comdat
	.globl	_ZL23rocblas_dot_kernel_inc1ILb0ELi512ELi8ELb0EDF16_PKPKDF16_DF16_EviT4_llS4_lliPT5_PT3_ ; -- Begin function _ZL23rocblas_dot_kernel_inc1ILb0ELi512ELi8ELb0EDF16_PKPKDF16_DF16_EviT4_llS4_lliPT5_PT3_
	.p2align	8
	.type	_ZL23rocblas_dot_kernel_inc1ILb0ELi512ELi8ELb0EDF16_PKPKDF16_DF16_EviT4_llS4_lliPT5_PT3_,@function
_ZL23rocblas_dot_kernel_inc1ILb0ELi512ELi8ELb0EDF16_PKPKDF16_DF16_EviT4_llS4_lliPT5_PT3_: ; @_ZL23rocblas_dot_kernel_inc1ILb0ELi512ELi8ELb0EDF16_PKPKDF16_DF16_EviT4_llS4_lliPT5_PT3_
; %bb.0:
	s_mov_b32 s2, s7
	s_load_dword s18, s[4:5], 0x50
	s_load_dword s7, s[4:5], 0x0
	s_load_dwordx4 s[8:11], s[4:5], 0x40
	v_lshl_or_b32 v4, s6, 9, v0
	s_mov_b32 s3, 0
	v_mov_b32_e32 v1, 0
	s_waitcnt lgkmcnt(0)
	v_cmp_gt_i32_e32 vcc, s7, v4
	s_and_saveexec_b64 s[12:13], vcc
	s_cbranch_execz .LBB144_4
; %bb.1:
	s_load_dwordx4 s[20:23], s[4:5], 0x8
	s_load_dwordx4 s[24:27], s[4:5], 0x20
	s_lshl_b64 s[0:1], s[2:3], 3
	v_ashrrev_i32_e32 v5, 31, v4
	v_lshlrev_b64 v[2:3], 1, v[4:5]
	s_waitcnt lgkmcnt(0)
	s_add_u32 s4, s20, s0
	s_addc_u32 s5, s21, s1
	s_load_dwordx2 s[14:15], s[4:5], 0x0
	s_lshl_b64 s[16:17], s[22:23], 1
	s_mov_b64 s[4:5], 0
	v_mov_b32_e32 v1, 0
	s_waitcnt lgkmcnt(0)
	s_add_u32 s19, s14, s16
	s_addc_u32 s14, s15, s17
	s_add_u32 s0, s24, s0
	s_addc_u32 s1, s25, s1
	s_load_dwordx2 s[0:1], s[0:1], 0x0
	v_mov_b32_e32 v5, s14
	s_lshl_b64 s[14:15], s[26:27], 1
	s_waitcnt lgkmcnt(0)
	s_add_u32 s20, s0, s14
	s_addc_u32 s0, s1, s15
	s_lshl_b32 s14, s18, 9
	s_ashr_i32 s15, s14, 31
	s_lshl_b64 s[16:17], s[14:15], 1
	v_add_u32_e32 v4, s14, v4
	v_mov_b32_e32 v6, s0
	v_mov_b32_e32 v7, s17
	s_mov_b32 s15, s3
.LBB144_2:                              ; =>This Inner Loop Header: Depth=1
	v_add_co_u32_e32 v8, vcc, s20, v2
	v_addc_co_u32_e32 v9, vcc, v6, v3, vcc
	v_add_co_u32_e32 v10, vcc, s19, v2
	v_addc_co_u32_e32 v11, vcc, v5, v3, vcc
	global_load_ushort v12, v[8:9], off
	global_load_ushort v13, v[10:11], off
	s_add_i32 s17, s15, 1
	v_add_co_u32_e64 v2, s[0:1], s16, v2
	v_addc_co_u32_e64 v3, s[0:1], v3, v7, s[0:1]
	s_cmp_gt_u32 s15, 6
	v_cmp_le_i32_e32 vcc, s7, v4
	s_cselect_b64 s[0:1], -1, 0
	s_or_b64 s[0:1], s[0:1], vcc
	s_and_b64 s[0:1], exec, s[0:1]
	v_add_u32_e32 v4, s14, v4
	s_mov_b32 s15, s17
	s_or_b64 s[4:5], s[0:1], s[4:5]
	s_waitcnt vmcnt(0)
	v_fma_f16 v1, v12, v13, v1
	s_andn2_b64 exec, exec, s[4:5]
	s_cbranch_execnz .LBB144_2
; %bb.3:
	s_or_b64 exec, exec, s[4:5]
.LBB144_4:
	s_or_b64 exec, exec, s[12:13]
	v_and_b32_e32 v3, 63, v0
	v_cmp_gt_u32_e32 vcc, 64, v0
	v_lshlrev_b32_e32 v2, 1, v3
	s_and_saveexec_b64 s[0:1], vcc
	s_cbranch_execz .LBB144_6
; %bb.5:
	v_mov_b32_e32 v4, 0
	ds_write_b16 v2, v4
.LBB144_6:
	s_or_b64 exec, exec, s[0:1]
	v_mbcnt_lo_u32_b32 v4, -1, 0
	v_mbcnt_hi_u32_b32 v6, -1, v4
	v_and_b32_e32 v7, 63, v6
	v_cmp_gt_u32_e64 s[0:1], 32, v7
	v_cndmask_b32_e64 v5, 0, 1, s[0:1]
	v_lshlrev_b32_e32 v5, 5, v5
	v_and_b32_e32 v4, 0xffff, v1
	v_add_lshl_u32 v5, v5, v6, 2
	ds_bpermute_b32 v4, v5, v4
	v_cmp_gt_u32_e64 s[0:1], 48, v7
	v_cndmask_b32_e64 v5, 0, 1, s[0:1]
	s_mov_b32 s4, 0xffff0000
	v_lshlrev_b32_e32 v5, 4, v5
	s_waitcnt lgkmcnt(0)
	v_add_f16_e32 v1, v1, v4
	v_and_or_b32 v4, v4, s4, v1
	v_add_lshl_u32 v5, v5, v6, 2
	ds_bpermute_b32 v4, v5, v4
	v_cmp_gt_u32_e64 s[0:1], 56, v7
	v_cndmask_b32_e64 v5, 0, 1, s[0:1]
	v_lshlrev_b32_e32 v5, 3, v5
	v_add_lshl_u32 v5, v5, v6, 2
	s_waitcnt lgkmcnt(0)
	v_add_f16_e32 v1, v1, v4
	v_and_or_b32 v4, v4, s4, v1
	ds_bpermute_b32 v4, v5, v4
	v_cmp_gt_u32_e64 s[0:1], 60, v7
	s_waitcnt lgkmcnt(0)
	s_barrier
	v_add_f16_e32 v1, v1, v4
	v_and_or_b32 v5, v4, s4, v1
	v_cndmask_b32_e64 v4, 0, 1, s[0:1]
	v_lshlrev_b32_e32 v4, 2, v4
	v_add_lshl_u32 v4, v4, v6, 2
	ds_bpermute_b32 v5, v4, v5
	v_cmp_gt_u32_e64 s[0:1], 62, v7
	s_waitcnt lgkmcnt(0)
	v_add_f16_e32 v1, v1, v5
	v_and_or_b32 v8, v5, s4, v1
	v_cndmask_b32_e64 v5, 0, 1, s[0:1]
	v_lshlrev_b32_e32 v5, 1, v5
	v_add_lshl_u32 v5, v5, v6, 2
	ds_bpermute_b32 v8, v5, v8
	v_cmp_ne_u32_e64 s[0:1], 63, v7
	v_addc_co_u32_e64 v6, s[0:1], 0, v6, s[0:1]
	v_lshlrev_b32_e32 v6, 2, v6
	s_waitcnt lgkmcnt(0)
	v_add_f16_e32 v1, v1, v8
	v_and_or_b32 v8, v8, s4, v1
	ds_bpermute_b32 v7, v6, v8
	v_cmp_eq_u32_e64 s[0:1], 0, v3
	s_and_saveexec_b64 s[4:5], s[0:1]
	s_cbranch_execz .LBB144_8
; %bb.7:
	v_lshrrev_b32_e32 v3, 5, v0
	s_waitcnt lgkmcnt(0)
	v_add_f16_e32 v1, v1, v7
	v_and_b32_e32 v3, 14, v3
	ds_write_b16 v3, v1
.LBB144_8:
	s_or_b64 exec, exec, s[4:5]
	v_cmp_gt_u32_e64 s[0:1], 8, v0
	v_mov_b32_e32 v1, 0
	s_waitcnt lgkmcnt(0)
	s_barrier
	s_and_saveexec_b64 s[4:5], s[0:1]
	s_cbranch_execnz .LBB144_12
; %bb.9:
	s_or_b64 exec, exec, s[4:5]
	s_and_saveexec_b64 s[0:1], vcc
	s_cbranch_execnz .LBB144_13
.LBB144_10:
	s_or_b64 exec, exec, s[0:1]
	v_cmp_eq_u32_e32 vcc, 0, v0
	s_and_saveexec_b64 s[0:1], vcc
	s_cbranch_execnz .LBB144_14
.LBB144_11:
	s_endpgm
.LBB144_12:
	ds_read_u16 v1, v2
	s_or_b64 exec, exec, s[4:5]
	s_and_saveexec_b64 s[0:1], vcc
	s_cbranch_execz .LBB144_10
.LBB144_13:
	s_waitcnt lgkmcnt(0)
	v_and_b32_e32 v2, 0xffff, v1
	ds_bpermute_b32 v2, v4, v2
	s_mov_b32 s4, 0xffff0000
	s_waitcnt lgkmcnt(0)
	v_add_f16_e32 v1, v1, v2
	v_and_or_b32 v2, v2, s4, v1
	ds_bpermute_b32 v2, v5, v2
	s_waitcnt lgkmcnt(0)
	v_add_f16_e32 v1, v1, v2
	v_and_or_b32 v2, v2, s4, v1
	ds_bpermute_b32 v2, v6, v2
	s_waitcnt lgkmcnt(0)
	v_add_f16_e32 v1, v1, v2
	s_or_b64 exec, exec, s[0:1]
	v_cmp_eq_u32_e32 vcc, 0, v0
	s_and_saveexec_b64 s[0:1], vcc
	s_cbranch_execz .LBB144_11
.LBB144_14:
	s_cmp_lg_u32 s18, 1
	s_cbranch_scc0 .LBB144_16
; %bb.15:
	s_mul_hi_u32 s1, s18, s2
	s_mul_i32 s0, s18, s2
	s_lshl_b64 s[0:1], s[0:1], 1
	s_mov_b32 s7, 0
	s_add_u32 s4, s8, s0
	s_addc_u32 s5, s9, s1
	s_lshl_b64 s[0:1], s[6:7], 1
	s_add_u32 s0, s4, s0
	s_addc_u32 s1, s5, s1
	s_cbranch_execz .LBB144_17
	s_branch .LBB144_18
.LBB144_16:
                                        ; implicit-def: $sgpr0_sgpr1
.LBB144_17:
	s_lshl_b64 s[0:1], s[2:3], 1
	s_add_u32 s0, s10, s0
	s_addc_u32 s1, s11, s1
.LBB144_18:
	v_mov_b32_e32 v0, 0
	s_waitcnt lgkmcnt(0)
	global_store_short v0, v1, s[0:1]
	s_endpgm
	.section	.rodata,"a",@progbits
	.p2align	6, 0x0
	.amdhsa_kernel _ZL23rocblas_dot_kernel_inc1ILb0ELi512ELi8ELb0EDF16_PKPKDF16_DF16_EviT4_llS4_lliPT5_PT3_
		.amdhsa_group_segment_fixed_size 128
		.amdhsa_private_segment_fixed_size 0
		.amdhsa_kernarg_size 336
		.amdhsa_user_sgpr_count 6
		.amdhsa_user_sgpr_private_segment_buffer 1
		.amdhsa_user_sgpr_dispatch_ptr 0
		.amdhsa_user_sgpr_queue_ptr 0
		.amdhsa_user_sgpr_kernarg_segment_ptr 1
		.amdhsa_user_sgpr_dispatch_id 0
		.amdhsa_user_sgpr_flat_scratch_init 0
		.amdhsa_user_sgpr_kernarg_preload_length 0
		.amdhsa_user_sgpr_kernarg_preload_offset 0
		.amdhsa_user_sgpr_private_segment_size 0
		.amdhsa_uses_dynamic_stack 0
		.amdhsa_system_sgpr_private_segment_wavefront_offset 0
		.amdhsa_system_sgpr_workgroup_id_x 1
		.amdhsa_system_sgpr_workgroup_id_y 0
		.amdhsa_system_sgpr_workgroup_id_z 1
		.amdhsa_system_sgpr_workgroup_info 0
		.amdhsa_system_vgpr_workitem_id 0
		.amdhsa_next_free_vgpr 14
		.amdhsa_next_free_sgpr 28
		.amdhsa_accum_offset 16
		.amdhsa_reserve_vcc 1
		.amdhsa_reserve_flat_scratch 0
		.amdhsa_float_round_mode_32 0
		.amdhsa_float_round_mode_16_64 0
		.amdhsa_float_denorm_mode_32 3
		.amdhsa_float_denorm_mode_16_64 3
		.amdhsa_dx10_clamp 1
		.amdhsa_ieee_mode 1
		.amdhsa_fp16_overflow 0
		.amdhsa_tg_split 0
		.amdhsa_exception_fp_ieee_invalid_op 0
		.amdhsa_exception_fp_denorm_src 0
		.amdhsa_exception_fp_ieee_div_zero 0
		.amdhsa_exception_fp_ieee_overflow 0
		.amdhsa_exception_fp_ieee_underflow 0
		.amdhsa_exception_fp_ieee_inexact 0
		.amdhsa_exception_int_div_zero 0
	.end_amdhsa_kernel
	.section	.text._ZL23rocblas_dot_kernel_inc1ILb0ELi512ELi8ELb0EDF16_PKPKDF16_DF16_EviT4_llS4_lliPT5_PT3_,"axG",@progbits,_ZL23rocblas_dot_kernel_inc1ILb0ELi512ELi8ELb0EDF16_PKPKDF16_DF16_EviT4_llS4_lliPT5_PT3_,comdat
.Lfunc_end144:
	.size	_ZL23rocblas_dot_kernel_inc1ILb0ELi512ELi8ELb0EDF16_PKPKDF16_DF16_EviT4_llS4_lliPT5_PT3_, .Lfunc_end144-_ZL23rocblas_dot_kernel_inc1ILb0ELi512ELi8ELb0EDF16_PKPKDF16_DF16_EviT4_llS4_lliPT5_PT3_
                                        ; -- End function
	.section	.AMDGPU.csdata,"",@progbits
; Kernel info:
; codeLenInByte = 984
; NumSgprs: 32
; NumVgprs: 14
; NumAgprs: 0
; TotalNumVgprs: 14
; ScratchSize: 0
; MemoryBound: 0
; FloatMode: 240
; IeeeMode: 1
; LDSByteSize: 128 bytes/workgroup (compile time only)
; SGPRBlocks: 3
; VGPRBlocks: 1
; NumSGPRsForWavesPerEU: 32
; NumVGPRsForWavesPerEU: 14
; AccumOffset: 16
; Occupancy: 8
; WaveLimiterHint : 1
; COMPUTE_PGM_RSRC2:SCRATCH_EN: 0
; COMPUTE_PGM_RSRC2:USER_SGPR: 6
; COMPUTE_PGM_RSRC2:TRAP_HANDLER: 0
; COMPUTE_PGM_RSRC2:TGID_X_EN: 1
; COMPUTE_PGM_RSRC2:TGID_Y_EN: 0
; COMPUTE_PGM_RSRC2:TGID_Z_EN: 1
; COMPUTE_PGM_RSRC2:TIDIG_COMP_CNT: 0
; COMPUTE_PGM_RSRC3_GFX90A:ACCUM_OFFSET: 3
; COMPUTE_PGM_RSRC3_GFX90A:TG_SPLIT: 0
	.section	.text._ZL18rocblas_dot_kernelIiLb0ELi512ELi8ELb0EDF16_PKPKDF16_DF16_EviT5_lT_lS4_lS5_liPT6_PT4_,"axG",@progbits,_ZL18rocblas_dot_kernelIiLb0ELi512ELi8ELb0EDF16_PKPKDF16_DF16_EviT5_lT_lS4_lS5_liPT6_PT4_,comdat
	.globl	_ZL18rocblas_dot_kernelIiLb0ELi512ELi8ELb0EDF16_PKPKDF16_DF16_EviT5_lT_lS4_lS5_liPT6_PT4_ ; -- Begin function _ZL18rocblas_dot_kernelIiLb0ELi512ELi8ELb0EDF16_PKPKDF16_DF16_EviT5_lT_lS4_lS5_liPT6_PT4_
	.p2align	8
	.type	_ZL18rocblas_dot_kernelIiLb0ELi512ELi8ELb0EDF16_PKPKDF16_DF16_EviT5_lT_lS4_lS5_liPT6_PT4_,@function
_ZL18rocblas_dot_kernelIiLb0ELi512ELi8ELb0EDF16_PKPKDF16_DF16_EviT5_lT_lS4_lS5_liPT6_PT4_: ; @_ZL18rocblas_dot_kernelIiLb0ELi512ELi8ELb0EDF16_PKPKDF16_DF16_EviT5_lT_lS4_lS5_liPT6_PT4_
; %bb.0:
	s_mov_b32 s2, s7
	s_load_dword s18, s[4:5], 0x60
	s_load_dword s7, s[4:5], 0x0
	s_load_dwordx4 s[8:11], s[4:5], 0x50
	v_lshl_or_b32 v4, s6, 9, v0
	s_mov_b32 s3, 0
	v_mov_b32_e32 v1, 0
	s_waitcnt lgkmcnt(0)
	v_cmp_gt_i32_e32 vcc, s7, v4
	s_and_saveexec_b64 s[12:13], vcc
	s_cbranch_execz .LBB145_4
; %bb.1:
	s_load_dwordx4 s[20:23], s[4:5], 0x8
	s_load_dword s16, s[4:5], 0x18
	s_load_dwordx4 s[24:27], s[4:5], 0x28
	s_load_dword s17, s[4:5], 0x38
	s_lshl_b64 s[0:1], s[2:3], 3
	s_waitcnt lgkmcnt(0)
	s_add_u32 s4, s20, s0
	s_addc_u32 s5, s21, s1
	s_load_dwordx2 s[4:5], s[4:5], 0x0
	s_add_u32 s0, s24, s0
	s_addc_u32 s1, s25, s1
	v_mad_i64_i32 v[2:3], s[14:15], s16, v4, 0
	s_load_dwordx2 s[0:1], s[0:1], 0x0
	s_lshl_b32 s19, s18, 9
	s_lshl_b64 s[14:15], s[22:23], 1
	s_waitcnt lgkmcnt(0)
	s_add_u32 s4, s4, s14
	v_lshlrev_b64 v[2:3], 1, v[2:3]
	s_addc_u32 s5, s5, s15
	v_add_u32_e32 v6, s19, v4
	v_mov_b32_e32 v1, s5
	v_add_co_u32_e32 v2, vcc, s4, v2
	s_mul_hi_i32 s5, s16, s19
	s_mul_i32 s4, s16, s19
	v_mad_i64_i32 v[4:5], s[14:15], s17, v4, 0
	s_lshl_b64 s[4:5], s[4:5], 1
	s_lshl_b64 s[14:15], s[26:27], 1
	s_add_u32 s0, s0, s14
	v_addc_co_u32_e32 v3, vcc, v1, v3, vcc
	v_lshlrev_b64 v[4:5], 1, v[4:5]
	s_addc_u32 s1, s1, s15
	v_mov_b32_e32 v1, s1
	v_add_co_u32_e32 v4, vcc, s0, v4
	s_mul_hi_i32 s1, s17, s19
	s_mul_i32 s0, s17, s19
	s_lshl_b64 s[16:17], s[0:1], 1
	v_addc_co_u32_e32 v5, vcc, v1, v5, vcc
	s_mov_b64 s[14:15], 0
	v_mov_b32_e32 v1, 0
	v_mov_b32_e32 v7, s5
	;; [unrolled: 1-line block ×3, first 2 shown]
	s_mov_b32 s5, s3
.LBB145_2:                              ; =>This Inner Loop Header: Depth=1
	global_load_ushort v9, v[4:5], off
	global_load_ushort v10, v[2:3], off
	v_add_co_u32_e64 v2, s[0:1], s4, v2
	v_addc_co_u32_e64 v3, s[0:1], v3, v7, s[0:1]
	s_add_i32 s17, s5, 1
	v_add_co_u32_e64 v4, s[0:1], s16, v4
	v_addc_co_u32_e64 v5, s[0:1], v5, v8, s[0:1]
	s_cmp_gt_u32 s5, 6
	v_cmp_le_i32_e32 vcc, s7, v6
	s_cselect_b64 s[0:1], -1, 0
	s_or_b64 s[0:1], s[0:1], vcc
	s_and_b64 s[0:1], exec, s[0:1]
	v_add_u32_e32 v6, s19, v6
	s_mov_b32 s5, s17
	s_or_b64 s[14:15], s[0:1], s[14:15]
	s_waitcnt vmcnt(0)
	v_fma_f16 v1, v9, v10, v1
	s_andn2_b64 exec, exec, s[14:15]
	s_cbranch_execnz .LBB145_2
; %bb.3:
	s_or_b64 exec, exec, s[14:15]
.LBB145_4:
	s_or_b64 exec, exec, s[12:13]
	v_and_b32_e32 v3, 63, v0
	v_cmp_gt_u32_e32 vcc, 64, v0
	v_lshlrev_b32_e32 v2, 1, v3
	s_and_saveexec_b64 s[0:1], vcc
	s_cbranch_execz .LBB145_6
; %bb.5:
	v_mov_b32_e32 v4, 0
	ds_write_b16 v2, v4
.LBB145_6:
	s_or_b64 exec, exec, s[0:1]
	v_mbcnt_lo_u32_b32 v4, -1, 0
	v_mbcnt_hi_u32_b32 v6, -1, v4
	v_and_b32_e32 v7, 63, v6
	v_cmp_gt_u32_e64 s[0:1], 32, v7
	v_cndmask_b32_e64 v5, 0, 1, s[0:1]
	v_lshlrev_b32_e32 v5, 5, v5
	v_and_b32_e32 v4, 0xffff, v1
	v_add_lshl_u32 v5, v5, v6, 2
	ds_bpermute_b32 v4, v5, v4
	v_cmp_gt_u32_e64 s[0:1], 48, v7
	v_cndmask_b32_e64 v5, 0, 1, s[0:1]
	s_mov_b32 s4, 0xffff0000
	v_lshlrev_b32_e32 v5, 4, v5
	s_waitcnt lgkmcnt(0)
	v_add_f16_e32 v1, v1, v4
	v_and_or_b32 v4, v4, s4, v1
	v_add_lshl_u32 v5, v5, v6, 2
	ds_bpermute_b32 v4, v5, v4
	v_cmp_gt_u32_e64 s[0:1], 56, v7
	v_cndmask_b32_e64 v5, 0, 1, s[0:1]
	v_lshlrev_b32_e32 v5, 3, v5
	v_add_lshl_u32 v5, v5, v6, 2
	s_waitcnt lgkmcnt(0)
	v_add_f16_e32 v1, v1, v4
	v_and_or_b32 v4, v4, s4, v1
	ds_bpermute_b32 v4, v5, v4
	v_cmp_gt_u32_e64 s[0:1], 60, v7
	s_waitcnt lgkmcnt(0)
	s_barrier
	v_add_f16_e32 v1, v1, v4
	v_and_or_b32 v5, v4, s4, v1
	v_cndmask_b32_e64 v4, 0, 1, s[0:1]
	v_lshlrev_b32_e32 v4, 2, v4
	v_add_lshl_u32 v4, v4, v6, 2
	ds_bpermute_b32 v5, v4, v5
	v_cmp_gt_u32_e64 s[0:1], 62, v7
	s_waitcnt lgkmcnt(0)
	v_add_f16_e32 v1, v1, v5
	v_and_or_b32 v8, v5, s4, v1
	v_cndmask_b32_e64 v5, 0, 1, s[0:1]
	v_lshlrev_b32_e32 v5, 1, v5
	v_add_lshl_u32 v5, v5, v6, 2
	ds_bpermute_b32 v8, v5, v8
	v_cmp_ne_u32_e64 s[0:1], 63, v7
	v_addc_co_u32_e64 v6, s[0:1], 0, v6, s[0:1]
	v_lshlrev_b32_e32 v6, 2, v6
	s_waitcnt lgkmcnt(0)
	v_add_f16_e32 v1, v1, v8
	v_and_or_b32 v8, v8, s4, v1
	ds_bpermute_b32 v7, v6, v8
	v_cmp_eq_u32_e64 s[0:1], 0, v3
	s_and_saveexec_b64 s[4:5], s[0:1]
	s_cbranch_execz .LBB145_8
; %bb.7:
	v_lshrrev_b32_e32 v3, 5, v0
	s_waitcnt lgkmcnt(0)
	v_add_f16_e32 v1, v1, v7
	v_and_b32_e32 v3, 14, v3
	ds_write_b16 v3, v1
.LBB145_8:
	s_or_b64 exec, exec, s[4:5]
	v_cmp_gt_u32_e64 s[0:1], 8, v0
	v_mov_b32_e32 v1, 0
	s_waitcnt lgkmcnt(0)
	s_barrier
	s_and_saveexec_b64 s[4:5], s[0:1]
	s_cbranch_execnz .LBB145_12
; %bb.9:
	s_or_b64 exec, exec, s[4:5]
	s_and_saveexec_b64 s[0:1], vcc
	s_cbranch_execnz .LBB145_13
.LBB145_10:
	s_or_b64 exec, exec, s[0:1]
	v_cmp_eq_u32_e32 vcc, 0, v0
	s_and_saveexec_b64 s[0:1], vcc
	s_cbranch_execnz .LBB145_14
.LBB145_11:
	s_endpgm
.LBB145_12:
	ds_read_u16 v1, v2
	s_or_b64 exec, exec, s[4:5]
	s_and_saveexec_b64 s[0:1], vcc
	s_cbranch_execz .LBB145_10
.LBB145_13:
	s_waitcnt lgkmcnt(0)
	v_and_b32_e32 v2, 0xffff, v1
	ds_bpermute_b32 v2, v4, v2
	s_mov_b32 s4, 0xffff0000
	s_waitcnt lgkmcnt(0)
	v_add_f16_e32 v1, v1, v2
	v_and_or_b32 v2, v2, s4, v1
	ds_bpermute_b32 v2, v5, v2
	s_waitcnt lgkmcnt(0)
	v_add_f16_e32 v1, v1, v2
	v_and_or_b32 v2, v2, s4, v1
	ds_bpermute_b32 v2, v6, v2
	s_waitcnt lgkmcnt(0)
	v_add_f16_e32 v1, v1, v2
	s_or_b64 exec, exec, s[0:1]
	v_cmp_eq_u32_e32 vcc, 0, v0
	s_and_saveexec_b64 s[0:1], vcc
	s_cbranch_execz .LBB145_11
.LBB145_14:
	s_cmp_lg_u32 s18, 1
	s_cbranch_scc0 .LBB145_16
; %bb.15:
	s_mul_hi_u32 s1, s18, s2
	s_mul_i32 s0, s18, s2
	s_lshl_b64 s[0:1], s[0:1], 1
	s_mov_b32 s7, 0
	s_add_u32 s4, s8, s0
	s_addc_u32 s5, s9, s1
	s_lshl_b64 s[0:1], s[6:7], 1
	s_add_u32 s0, s4, s0
	s_addc_u32 s1, s5, s1
	s_cbranch_execz .LBB145_17
	s_branch .LBB145_18
.LBB145_16:
                                        ; implicit-def: $sgpr0_sgpr1
.LBB145_17:
	s_lshl_b64 s[0:1], s[2:3], 1
	s_add_u32 s0, s10, s0
	s_addc_u32 s1, s11, s1
.LBB145_18:
	v_mov_b32_e32 v0, 0
	s_waitcnt lgkmcnt(0)
	global_store_short v0, v1, s[0:1]
	s_endpgm
	.section	.rodata,"a",@progbits
	.p2align	6, 0x0
	.amdhsa_kernel _ZL18rocblas_dot_kernelIiLb0ELi512ELi8ELb0EDF16_PKPKDF16_DF16_EviT5_lT_lS4_lS5_liPT6_PT4_
		.amdhsa_group_segment_fixed_size 128
		.amdhsa_private_segment_fixed_size 0
		.amdhsa_kernarg_size 352
		.amdhsa_user_sgpr_count 6
		.amdhsa_user_sgpr_private_segment_buffer 1
		.amdhsa_user_sgpr_dispatch_ptr 0
		.amdhsa_user_sgpr_queue_ptr 0
		.amdhsa_user_sgpr_kernarg_segment_ptr 1
		.amdhsa_user_sgpr_dispatch_id 0
		.amdhsa_user_sgpr_flat_scratch_init 0
		.amdhsa_user_sgpr_kernarg_preload_length 0
		.amdhsa_user_sgpr_kernarg_preload_offset 0
		.amdhsa_user_sgpr_private_segment_size 0
		.amdhsa_uses_dynamic_stack 0
		.amdhsa_system_sgpr_private_segment_wavefront_offset 0
		.amdhsa_system_sgpr_workgroup_id_x 1
		.amdhsa_system_sgpr_workgroup_id_y 0
		.amdhsa_system_sgpr_workgroup_id_z 1
		.amdhsa_system_sgpr_workgroup_info 0
		.amdhsa_system_vgpr_workitem_id 0
		.amdhsa_next_free_vgpr 11
		.amdhsa_next_free_sgpr 28
		.amdhsa_accum_offset 12
		.amdhsa_reserve_vcc 1
		.amdhsa_reserve_flat_scratch 0
		.amdhsa_float_round_mode_32 0
		.amdhsa_float_round_mode_16_64 0
		.amdhsa_float_denorm_mode_32 3
		.amdhsa_float_denorm_mode_16_64 3
		.amdhsa_dx10_clamp 1
		.amdhsa_ieee_mode 1
		.amdhsa_fp16_overflow 0
		.amdhsa_tg_split 0
		.amdhsa_exception_fp_ieee_invalid_op 0
		.amdhsa_exception_fp_denorm_src 0
		.amdhsa_exception_fp_ieee_div_zero 0
		.amdhsa_exception_fp_ieee_overflow 0
		.amdhsa_exception_fp_ieee_underflow 0
		.amdhsa_exception_fp_ieee_inexact 0
		.amdhsa_exception_int_div_zero 0
	.end_amdhsa_kernel
	.section	.text._ZL18rocblas_dot_kernelIiLb0ELi512ELi8ELb0EDF16_PKPKDF16_DF16_EviT5_lT_lS4_lS5_liPT6_PT4_,"axG",@progbits,_ZL18rocblas_dot_kernelIiLb0ELi512ELi8ELb0EDF16_PKPKDF16_DF16_EviT5_lT_lS4_lS5_liPT6_PT4_,comdat
.Lfunc_end145:
	.size	_ZL18rocblas_dot_kernelIiLb0ELi512ELi8ELb0EDF16_PKPKDF16_DF16_EviT5_lT_lS4_lS5_liPT6_PT4_, .Lfunc_end145-_ZL18rocblas_dot_kernelIiLb0ELi512ELi8ELb0EDF16_PKPKDF16_DF16_EviT5_lT_lS4_lS5_liPT6_PT4_
                                        ; -- End function
	.section	.AMDGPU.csdata,"",@progbits
; Kernel info:
; codeLenInByte = 1052
; NumSgprs: 32
; NumVgprs: 11
; NumAgprs: 0
; TotalNumVgprs: 11
; ScratchSize: 0
; MemoryBound: 0
; FloatMode: 240
; IeeeMode: 1
; LDSByteSize: 128 bytes/workgroup (compile time only)
; SGPRBlocks: 3
; VGPRBlocks: 1
; NumSGPRsForWavesPerEU: 32
; NumVGPRsForWavesPerEU: 11
; AccumOffset: 12
; Occupancy: 8
; WaveLimiterHint : 0
; COMPUTE_PGM_RSRC2:SCRATCH_EN: 0
; COMPUTE_PGM_RSRC2:USER_SGPR: 6
; COMPUTE_PGM_RSRC2:TRAP_HANDLER: 0
; COMPUTE_PGM_RSRC2:TGID_X_EN: 1
; COMPUTE_PGM_RSRC2:TGID_Y_EN: 0
; COMPUTE_PGM_RSRC2:TGID_Z_EN: 1
; COMPUTE_PGM_RSRC2:TIDIG_COMP_CNT: 0
; COMPUTE_PGM_RSRC3_GFX90A:ACCUM_OFFSET: 2
; COMPUTE_PGM_RSRC3_GFX90A:TG_SPLIT: 0
	.section	.text._ZL24rocblas_dot_kernel_magsqIiLb0ELi512ELi8ELb0EDF16_PKPKDF16_DF16_EviT5_lT_liPT6_PT4_,"axG",@progbits,_ZL24rocblas_dot_kernel_magsqIiLb0ELi512ELi8ELb0EDF16_PKPKDF16_DF16_EviT5_lT_liPT6_PT4_,comdat
	.globl	_ZL24rocblas_dot_kernel_magsqIiLb0ELi512ELi8ELb0EDF16_PKPKDF16_DF16_EviT5_lT_liPT6_PT4_ ; -- Begin function _ZL24rocblas_dot_kernel_magsqIiLb0ELi512ELi8ELb0EDF16_PKPKDF16_DF16_EviT5_lT_liPT6_PT4_
	.p2align	8
	.type	_ZL24rocblas_dot_kernel_magsqIiLb0ELi512ELi8ELb0EDF16_PKPKDF16_DF16_EviT5_lT_liPT6_PT4_,@function
_ZL24rocblas_dot_kernel_magsqIiLb0ELi512ELi8ELb0EDF16_PKPKDF16_DF16_EviT5_lT_liPT6_PT4_: ; @_ZL24rocblas_dot_kernel_magsqIiLb0ELi512ELi8ELb0EDF16_PKPKDF16_DF16_EviT5_lT_liPT6_PT4_
; %bb.0:
	s_mov_b32 s2, s7
	s_load_dword s7, s[4:5], 0x0
	s_load_dwordx4 s[8:11], s[4:5], 0x30
	s_load_dword s16, s[4:5], 0x40
	v_lshl_or_b32 v1, s6, 9, v0
	s_mov_b32 s3, 0
	s_waitcnt lgkmcnt(0)
	v_cmp_gt_i32_e32 vcc, s7, v1
	v_mov_b32_e32 v4, 0
	s_and_saveexec_b64 s[12:13], vcc
	s_cbranch_execz .LBB146_4
; %bb.1:
	s_load_dwordx4 s[20:23], s[4:5], 0x8
	s_load_dword s14, s[4:5], 0x18
	s_lshl_b64 s[0:1], s[2:3], 3
	s_waitcnt lgkmcnt(0)
	s_add_u32 s0, s20, s0
	s_addc_u32 s1, s21, s1
	s_load_dwordx2 s[0:1], s[0:1], 0x0
	v_mad_i64_i32 v[2:3], s[4:5], s14, v1, 0
	s_lshl_b32 s17, s16, 9
	s_lshl_b64 s[4:5], s[22:23], 1
	s_waitcnt lgkmcnt(0)
	s_add_u32 s0, s0, s4
	v_lshlrev_b64 v[2:3], 1, v[2:3]
	s_addc_u32 s1, s1, s5
	v_mov_b32_e32 v4, s1
	v_add_co_u32_e32 v2, vcc, s0, v2
	s_mul_hi_i32 s1, s14, s17
	s_mul_i32 s0, s14, s17
	s_lshl_b64 s[14:15], s[0:1], 1
	v_add_u32_e32 v1, s17, v1
	v_addc_co_u32_e32 v3, vcc, v4, v3, vcc
	s_mov_b64 s[4:5], 0
	v_mov_b32_e32 v4, 0
	v_mov_b32_e32 v5, s15
	s_mov_b32 s15, s3
.LBB146_2:                              ; =>This Inner Loop Header: Depth=1
	global_load_ushort v6, v[2:3], off
	s_add_i32 s18, s15, 1
	v_add_co_u32_e64 v2, s[0:1], s14, v2
	v_addc_co_u32_e64 v3, s[0:1], v3, v5, s[0:1]
	s_cmp_gt_u32 s15, 6
	v_cmp_le_i32_e32 vcc, s7, v1
	s_cselect_b64 s[0:1], -1, 0
	s_or_b64 s[0:1], s[0:1], vcc
	s_and_b64 s[0:1], exec, s[0:1]
	v_add_u32_e32 v1, s17, v1
	s_mov_b32 s15, s18
	s_or_b64 s[4:5], s[0:1], s[4:5]
	s_waitcnt vmcnt(0)
	v_fma_f16 v4, v6, v6, v4
	s_andn2_b64 exec, exec, s[4:5]
	s_cbranch_execnz .LBB146_2
; %bb.3:
	s_or_b64 exec, exec, s[4:5]
.LBB146_4:
	s_or_b64 exec, exec, s[12:13]
	v_and_b32_e32 v2, 63, v0
	v_cmp_gt_u32_e32 vcc, 64, v0
	v_lshlrev_b32_e32 v1, 1, v2
	s_and_saveexec_b64 s[0:1], vcc
	s_cbranch_execz .LBB146_6
; %bb.5:
	v_mov_b32_e32 v3, 0
	ds_write_b16 v1, v3
.LBB146_6:
	s_or_b64 exec, exec, s[0:1]
	v_mbcnt_lo_u32_b32 v3, -1, 0
	v_mbcnt_hi_u32_b32 v5, -1, v3
	v_and_b32_e32 v7, 63, v5
	v_cmp_gt_u32_e64 s[0:1], 32, v7
	v_cndmask_b32_e64 v6, 0, 1, s[0:1]
	v_lshlrev_b32_e32 v6, 5, v6
	v_and_b32_e32 v3, 0xffff, v4
	v_add_lshl_u32 v6, v6, v5, 2
	ds_bpermute_b32 v3, v6, v3
	v_cmp_gt_u32_e64 s[0:1], 48, v7
	v_cndmask_b32_e64 v6, 0, 1, s[0:1]
	s_mov_b32 s4, 0xffff0000
	v_lshlrev_b32_e32 v6, 4, v6
	s_waitcnt lgkmcnt(0)
	v_add_f16_e32 v4, v4, v3
	v_and_or_b32 v3, v3, s4, v4
	v_add_lshl_u32 v6, v6, v5, 2
	ds_bpermute_b32 v3, v6, v3
	v_cmp_gt_u32_e64 s[0:1], 56, v7
	v_cndmask_b32_e64 v6, 0, 1, s[0:1]
	v_lshlrev_b32_e32 v6, 3, v6
	v_add_lshl_u32 v6, v6, v5, 2
	s_waitcnt lgkmcnt(0)
	v_add_f16_e32 v4, v4, v3
	v_and_or_b32 v3, v3, s4, v4
	ds_bpermute_b32 v3, v6, v3
	v_cmp_gt_u32_e64 s[0:1], 60, v7
	s_waitcnt lgkmcnt(0)
	s_barrier
	v_add_f16_e32 v4, v4, v3
	v_and_or_b32 v6, v3, s4, v4
	v_cndmask_b32_e64 v3, 0, 1, s[0:1]
	v_lshlrev_b32_e32 v3, 2, v3
	v_add_lshl_u32 v3, v3, v5, 2
	ds_bpermute_b32 v6, v3, v6
	v_cmp_gt_u32_e64 s[0:1], 62, v7
	s_waitcnt lgkmcnt(0)
	v_add_f16_e32 v8, v4, v6
	v_cndmask_b32_e64 v4, 0, 1, s[0:1]
	v_lshlrev_b32_e32 v4, 1, v4
	v_and_or_b32 v6, v6, s4, v8
	v_add_lshl_u32 v4, v4, v5, 2
	ds_bpermute_b32 v9, v4, v6
	v_cmp_ne_u32_e64 s[0:1], 63, v7
	v_addc_co_u32_e64 v5, s[0:1], 0, v5, s[0:1]
	v_lshlrev_b32_e32 v5, 2, v5
	s_waitcnt lgkmcnt(0)
	v_add_f16_e32 v6, v8, v9
	v_and_or_b32 v8, v9, s4, v6
	ds_bpermute_b32 v7, v5, v8
	v_cmp_eq_u32_e64 s[0:1], 0, v2
	s_and_saveexec_b64 s[4:5], s[0:1]
	s_cbranch_execz .LBB146_8
; %bb.7:
	s_waitcnt lgkmcnt(0)
	v_add_f16_e32 v2, v6, v7
	v_lshrrev_b32_e32 v6, 5, v0
	v_and_b32_e32 v6, 14, v6
	ds_write_b16 v6, v2
.LBB146_8:
	s_or_b64 exec, exec, s[4:5]
	v_cmp_gt_u32_e64 s[0:1], 8, v0
	v_mov_b32_e32 v2, 0
	s_waitcnt lgkmcnt(0)
	s_barrier
	s_and_saveexec_b64 s[4:5], s[0:1]
	s_cbranch_execnz .LBB146_12
; %bb.9:
	s_or_b64 exec, exec, s[4:5]
	s_and_saveexec_b64 s[0:1], vcc
	s_cbranch_execnz .LBB146_13
.LBB146_10:
	s_or_b64 exec, exec, s[0:1]
	v_cmp_eq_u32_e32 vcc, 0, v0
	s_and_saveexec_b64 s[0:1], vcc
	s_cbranch_execnz .LBB146_14
.LBB146_11:
	s_endpgm
.LBB146_12:
	ds_read_u16 v2, v1
	s_or_b64 exec, exec, s[4:5]
	s_and_saveexec_b64 s[0:1], vcc
	s_cbranch_execz .LBB146_10
.LBB146_13:
	s_waitcnt lgkmcnt(0)
	v_and_b32_e32 v1, 0xffff, v2
	ds_bpermute_b32 v1, v3, v1
	s_mov_b32 s4, 0xffff0000
	s_waitcnt lgkmcnt(0)
	v_add_f16_e32 v2, v2, v1
	v_and_or_b32 v1, v1, s4, v2
	ds_bpermute_b32 v1, v4, v1
	s_waitcnt lgkmcnt(0)
	v_add_f16_e32 v2, v2, v1
	v_and_or_b32 v1, v1, s4, v2
	ds_bpermute_b32 v1, v5, v1
	s_waitcnt lgkmcnt(0)
	v_add_f16_e32 v2, v2, v1
	s_or_b64 exec, exec, s[0:1]
	v_cmp_eq_u32_e32 vcc, 0, v0
	s_and_saveexec_b64 s[0:1], vcc
	s_cbranch_execz .LBB146_11
.LBB146_14:
	s_cmp_lg_u32 s16, 1
	s_cbranch_scc0 .LBB146_16
; %bb.15:
	s_mul_hi_u32 s1, s16, s2
	s_mul_i32 s0, s16, s2
	s_lshl_b64 s[0:1], s[0:1], 1
	s_mov_b32 s7, 0
	s_add_u32 s4, s8, s0
	s_addc_u32 s5, s9, s1
	s_lshl_b64 s[0:1], s[6:7], 1
	s_add_u32 s0, s4, s0
	s_addc_u32 s1, s5, s1
	s_cbranch_execz .LBB146_17
	s_branch .LBB146_18
.LBB146_16:
                                        ; implicit-def: $sgpr0_sgpr1
.LBB146_17:
	s_lshl_b64 s[0:1], s[2:3], 1
	s_add_u32 s0, s10, s0
	s_addc_u32 s1, s11, s1
.LBB146_18:
	v_mov_b32_e32 v0, 0
	s_waitcnt lgkmcnt(0)
	global_store_short v0, v2, s[0:1]
	s_endpgm
	.section	.rodata,"a",@progbits
	.p2align	6, 0x0
	.amdhsa_kernel _ZL24rocblas_dot_kernel_magsqIiLb0ELi512ELi8ELb0EDF16_PKPKDF16_DF16_EviT5_lT_liPT6_PT4_
		.amdhsa_group_segment_fixed_size 128
		.amdhsa_private_segment_fixed_size 0
		.amdhsa_kernarg_size 320
		.amdhsa_user_sgpr_count 6
		.amdhsa_user_sgpr_private_segment_buffer 1
		.amdhsa_user_sgpr_dispatch_ptr 0
		.amdhsa_user_sgpr_queue_ptr 0
		.amdhsa_user_sgpr_kernarg_segment_ptr 1
		.amdhsa_user_sgpr_dispatch_id 0
		.amdhsa_user_sgpr_flat_scratch_init 0
		.amdhsa_user_sgpr_kernarg_preload_length 0
		.amdhsa_user_sgpr_kernarg_preload_offset 0
		.amdhsa_user_sgpr_private_segment_size 0
		.amdhsa_uses_dynamic_stack 0
		.amdhsa_system_sgpr_private_segment_wavefront_offset 0
		.amdhsa_system_sgpr_workgroup_id_x 1
		.amdhsa_system_sgpr_workgroup_id_y 0
		.amdhsa_system_sgpr_workgroup_id_z 1
		.amdhsa_system_sgpr_workgroup_info 0
		.amdhsa_system_vgpr_workitem_id 0
		.amdhsa_next_free_vgpr 10
		.amdhsa_next_free_sgpr 24
		.amdhsa_accum_offset 12
		.amdhsa_reserve_vcc 1
		.amdhsa_reserve_flat_scratch 0
		.amdhsa_float_round_mode_32 0
		.amdhsa_float_round_mode_16_64 0
		.amdhsa_float_denorm_mode_32 3
		.amdhsa_float_denorm_mode_16_64 3
		.amdhsa_dx10_clamp 1
		.amdhsa_ieee_mode 1
		.amdhsa_fp16_overflow 0
		.amdhsa_tg_split 0
		.amdhsa_exception_fp_ieee_invalid_op 0
		.amdhsa_exception_fp_denorm_src 0
		.amdhsa_exception_fp_ieee_div_zero 0
		.amdhsa_exception_fp_ieee_overflow 0
		.amdhsa_exception_fp_ieee_underflow 0
		.amdhsa_exception_fp_ieee_inexact 0
		.amdhsa_exception_int_div_zero 0
	.end_amdhsa_kernel
	.section	.text._ZL24rocblas_dot_kernel_magsqIiLb0ELi512ELi8ELb0EDF16_PKPKDF16_DF16_EviT5_lT_liPT6_PT4_,"axG",@progbits,_ZL24rocblas_dot_kernel_magsqIiLb0ELi512ELi8ELb0EDF16_PKPKDF16_DF16_EviT5_lT_liPT6_PT4_,comdat
.Lfunc_end146:
	.size	_ZL24rocblas_dot_kernel_magsqIiLb0ELi512ELi8ELb0EDF16_PKPKDF16_DF16_EviT5_lT_liPT6_PT4_, .Lfunc_end146-_ZL24rocblas_dot_kernel_magsqIiLb0ELi512ELi8ELb0EDF16_PKPKDF16_DF16_EviT5_lT_liPT6_PT4_
                                        ; -- End function
	.section	.AMDGPU.csdata,"",@progbits
; Kernel info:
; codeLenInByte = 940
; NumSgprs: 28
; NumVgprs: 10
; NumAgprs: 0
; TotalNumVgprs: 10
; ScratchSize: 0
; MemoryBound: 0
; FloatMode: 240
; IeeeMode: 1
; LDSByteSize: 128 bytes/workgroup (compile time only)
; SGPRBlocks: 3
; VGPRBlocks: 1
; NumSGPRsForWavesPerEU: 28
; NumVGPRsForWavesPerEU: 10
; AccumOffset: 12
; Occupancy: 8
; WaveLimiterHint : 0
; COMPUTE_PGM_RSRC2:SCRATCH_EN: 0
; COMPUTE_PGM_RSRC2:USER_SGPR: 6
; COMPUTE_PGM_RSRC2:TRAP_HANDLER: 0
; COMPUTE_PGM_RSRC2:TGID_X_EN: 1
; COMPUTE_PGM_RSRC2:TGID_Y_EN: 0
; COMPUTE_PGM_RSRC2:TGID_Z_EN: 1
; COMPUTE_PGM_RSRC2:TIDIG_COMP_CNT: 0
; COMPUTE_PGM_RSRC3_GFX90A:ACCUM_OFFSET: 2
; COMPUTE_PGM_RSRC3_GFX90A:TG_SPLIT: 0
	.section	.text._ZL28rocblas_dot_batched_4_kernelIlLi32ELi4ELb0EDF16_DF16_PKPKDF16_EviT5_lT_lS4_lS5_liPT4_,"axG",@progbits,_ZL28rocblas_dot_batched_4_kernelIlLi32ELi4ELb0EDF16_DF16_PKPKDF16_EviT5_lT_lS4_lS5_liPT4_,comdat
	.globl	_ZL28rocblas_dot_batched_4_kernelIlLi32ELi4ELb0EDF16_DF16_PKPKDF16_EviT5_lT_lS4_lS5_liPT4_ ; -- Begin function _ZL28rocblas_dot_batched_4_kernelIlLi32ELi4ELb0EDF16_DF16_PKPKDF16_EviT5_lT_lS4_lS5_liPT4_
	.p2align	8
	.type	_ZL28rocblas_dot_batched_4_kernelIlLi32ELi4ELb0EDF16_DF16_PKPKDF16_EviT5_lT_lS4_lS5_liPT4_,@function
_ZL28rocblas_dot_batched_4_kernelIlLi32ELi4ELb0EDF16_DF16_PKPKDF16_EviT5_lT_lS4_lS5_liPT4_: ; @_ZL28rocblas_dot_batched_4_kernelIlLi32ELi4ELb0EDF16_DF16_PKPKDF16_EviT5_lT_lS4_lS5_liPT4_
; %bb.0:
	s_load_dword s0, s[4:5], 0x48
	v_bfe_u32 v1, v0, 10, 10
	v_lshl_add_u32 v2, s6, 2, v1
	s_waitcnt lgkmcnt(0)
	v_cmp_gt_u32_e32 vcc, s0, v2
	s_and_saveexec_b64 s[0:1], vcc
	s_cbranch_execz .LBB147_7
; %bb.1:
	s_load_dword s14, s[4:5], 0x0
	s_load_dwordx2 s[8:9], s[4:5], 0x50
	v_mov_b32_e32 v3, 0
	v_and_b32_e32 v6, 0x3ff, v0
	v_mov_b32_e32 v7, v3
	s_waitcnt lgkmcnt(0)
	v_cmp_gt_i32_e32 vcc, s14, v6
	s_and_saveexec_b64 s[10:11], vcc
	s_cbranch_execz .LBB147_5
; %bb.2:
	s_load_dwordx2 s[6:7], s[4:5], 0x8
	s_load_dwordx2 s[12:13], s[4:5], 0x28
	v_lshlrev_b64 v[0:1], 3, v[2:3]
	s_load_dwordx4 s[0:3], s[4:5], 0x10
	s_waitcnt lgkmcnt(0)
	v_mov_b32_e32 v5, s7
	v_add_co_u32_e32 v4, vcc, s6, v0
	v_addc_co_u32_e32 v5, vcc, v5, v1, vcc
	global_load_dwordx2 v[4:5], v[4:5], off
	v_mov_b32_e32 v7, s13
	v_add_co_u32_e32 v0, vcc, s12, v0
	v_addc_co_u32_e32 v1, vcc, v7, v1, vcc
	global_load_dwordx2 v[10:11], v[0:1], off
	s_load_dwordx4 s[4:7], s[4:5], 0x30
	v_mad_u64_u32 v[0:1], s[16:17], s2, v6, 0
	v_mov_b32_e32 v14, v1
	s_lshl_b64 s[16:17], s[0:1], 1
	s_lshl_b64 s[0:1], s[2:3], 6
	s_waitcnt lgkmcnt(0)
	v_mad_u64_u32 v[12:13], s[18:19], s6, v6, 0
	v_mad_u64_u32 v[14:15], s[2:3], s3, v6, v[14:15]
	v_mov_b32_e32 v16, v13
	v_mov_b32_e32 v1, v14
	v_mad_u64_u32 v[16:17], s[2:3], s7, v6, v[16:17]
	v_lshlrev_b64 v[0:1], 1, v[0:1]
	v_mov_b32_e32 v18, s17
	v_mov_b32_e32 v13, v16
	v_add_co_u32_e32 v0, vcc, s16, v0
	s_lshl_b64 s[18:19], s[4:5], 1
	v_lshlrev_b64 v[12:13], 1, v[12:13]
	v_addc_co_u32_e32 v1, vcc, v1, v18, vcc
	v_mov_b32_e32 v19, s19
	v_add_co_u32_e32 v12, vcc, s18, v12
	v_addc_co_u32_e32 v13, vcc, v13, v19, vcc
	s_lshl_b64 s[4:5], s[6:7], 6
	s_mov_b64 s[12:13], 0
	v_mov_b32_e32 v7, 0
	v_mov_b32_e32 v8, s1
	;; [unrolled: 1-line block ×3, first 2 shown]
	s_waitcnt vmcnt(1)
	v_add_co_u32_e32 v0, vcc, v4, v0
	v_addc_co_u32_e32 v1, vcc, v5, v1, vcc
	s_waitcnt vmcnt(0)
	v_add_co_u32_e32 v4, vcc, v10, v12
	v_addc_co_u32_e32 v5, vcc, v11, v13, vcc
	v_mov_b32_e32 v10, v6
.LBB147_3:                              ; =>This Inner Loop Header: Depth=1
	global_load_ushort v11, v[0:1], off
	global_load_ushort v12, v[4:5], off
	v_add_co_u32_e32 v0, vcc, s0, v0
	v_addc_co_u32_e32 v1, vcc, v1, v8, vcc
	v_add_co_u32_e32 v4, vcc, s4, v4
	v_add_u32_e32 v10, 32, v10
	v_addc_co_u32_e32 v5, vcc, v5, v9, vcc
	v_cmp_le_i32_e32 vcc, s14, v10
	s_or_b64 s[12:13], vcc, s[12:13]
	s_waitcnt vmcnt(0)
	v_fma_f16 v7, v11, v12, v7
	s_andn2_b64 exec, exec, s[12:13]
	s_cbranch_execnz .LBB147_3
; %bb.4:
	s_or_b64 exec, exec, s[12:13]
.LBB147_5:
	s_or_b64 exec, exec, s[10:11]
	v_mbcnt_lo_u32_b32 v0, -1, 0
	v_mbcnt_hi_u32_b32 v1, -1, v0
	v_and_b32_e32 v4, 63, v1
	v_cmp_gt_u32_e32 vcc, 48, v4
	v_cndmask_b32_e64 v5, 0, 1, vcc
	v_lshlrev_b32_e32 v5, 4, v5
	v_and_b32_e32 v0, 0xffff, v7
	v_add_lshl_u32 v5, v5, v1, 2
	ds_bpermute_b32 v0, v5, v0
	v_cmp_gt_u32_e32 vcc, 56, v4
	s_mov_b32 s0, 0xffff0000
	s_waitcnt lgkmcnt(0)
	s_barrier
	v_add_f16_e32 v5, v7, v0
	v_cndmask_b32_e64 v7, 0, 1, vcc
	v_lshlrev_b32_e32 v7, 3, v7
	v_and_or_b32 v0, v0, s0, v5
	v_add_lshl_u32 v7, v7, v1, 2
	ds_bpermute_b32 v0, v7, v0
	v_cmp_gt_u32_e32 vcc, 60, v4
	v_cndmask_b32_e64 v7, 0, 1, vcc
	v_lshlrev_b32_e32 v7, 2, v7
	v_add_lshl_u32 v7, v7, v1, 2
	s_waitcnt lgkmcnt(0)
	v_add_f16_e32 v5, v5, v0
	v_and_or_b32 v0, v0, s0, v5
	ds_bpermute_b32 v0, v7, v0
	v_cmp_gt_u32_e32 vcc, 62, v4
	v_cndmask_b32_e64 v7, 0, 1, vcc
	v_lshlrev_b32_e32 v7, 1, v7
	v_add_lshl_u32 v7, v7, v1, 2
	s_waitcnt lgkmcnt(0)
	v_add_f16_e32 v5, v5, v0
	v_and_or_b32 v0, v0, s0, v5
	ds_bpermute_b32 v7, v7, v0
	v_cmp_ne_u32_e32 vcc, 63, v4
	v_addc_co_u32_e32 v1, vcc, 0, v1, vcc
	v_lshlrev_b32_e32 v1, 2, v1
	s_waitcnt lgkmcnt(0)
	v_add_f16_e32 v0, v5, v7
	v_and_or_b32 v5, v7, s0, v0
	ds_bpermute_b32 v1, v1, v5
	v_cmp_eq_u32_e32 vcc, 0, v6
	s_waitcnt lgkmcnt(0)
	s_and_b64 exec, exec, vcc
	s_cbranch_execz .LBB147_7
; %bb.6:
	v_lshlrev_b64 v[2:3], 1, v[2:3]
	v_mov_b32_e32 v4, s9
	v_add_co_u32_e32 v2, vcc, s8, v2
	v_addc_co_u32_e32 v3, vcc, v4, v3, vcc
	v_add_f16_e32 v0, v0, v1
	global_store_short v[2:3], v0, off
.LBB147_7:
	s_endpgm
	.section	.rodata,"a",@progbits
	.p2align	6, 0x0
	.amdhsa_kernel _ZL28rocblas_dot_batched_4_kernelIlLi32ELi4ELb0EDF16_DF16_PKPKDF16_EviT5_lT_lS4_lS5_liPT4_
		.amdhsa_group_segment_fixed_size 0
		.amdhsa_private_segment_fixed_size 0
		.amdhsa_kernarg_size 88
		.amdhsa_user_sgpr_count 6
		.amdhsa_user_sgpr_private_segment_buffer 1
		.amdhsa_user_sgpr_dispatch_ptr 0
		.amdhsa_user_sgpr_queue_ptr 0
		.amdhsa_user_sgpr_kernarg_segment_ptr 1
		.amdhsa_user_sgpr_dispatch_id 0
		.amdhsa_user_sgpr_flat_scratch_init 0
		.amdhsa_user_sgpr_kernarg_preload_length 0
		.amdhsa_user_sgpr_kernarg_preload_offset 0
		.amdhsa_user_sgpr_private_segment_size 0
		.amdhsa_uses_dynamic_stack 0
		.amdhsa_system_sgpr_private_segment_wavefront_offset 0
		.amdhsa_system_sgpr_workgroup_id_x 1
		.amdhsa_system_sgpr_workgroup_id_y 0
		.amdhsa_system_sgpr_workgroup_id_z 0
		.amdhsa_system_sgpr_workgroup_info 0
		.amdhsa_system_vgpr_workitem_id 1
		.amdhsa_next_free_vgpr 20
		.amdhsa_next_free_sgpr 20
		.amdhsa_accum_offset 20
		.amdhsa_reserve_vcc 1
		.amdhsa_reserve_flat_scratch 0
		.amdhsa_float_round_mode_32 0
		.amdhsa_float_round_mode_16_64 0
		.amdhsa_float_denorm_mode_32 3
		.amdhsa_float_denorm_mode_16_64 3
		.amdhsa_dx10_clamp 1
		.amdhsa_ieee_mode 1
		.amdhsa_fp16_overflow 0
		.amdhsa_tg_split 0
		.amdhsa_exception_fp_ieee_invalid_op 0
		.amdhsa_exception_fp_denorm_src 0
		.amdhsa_exception_fp_ieee_div_zero 0
		.amdhsa_exception_fp_ieee_overflow 0
		.amdhsa_exception_fp_ieee_underflow 0
		.amdhsa_exception_fp_ieee_inexact 0
		.amdhsa_exception_int_div_zero 0
	.end_amdhsa_kernel
	.section	.text._ZL28rocblas_dot_batched_4_kernelIlLi32ELi4ELb0EDF16_DF16_PKPKDF16_EviT5_lT_lS4_lS5_liPT4_,"axG",@progbits,_ZL28rocblas_dot_batched_4_kernelIlLi32ELi4ELb0EDF16_DF16_PKPKDF16_EviT5_lT_lS4_lS5_liPT4_,comdat
.Lfunc_end147:
	.size	_ZL28rocblas_dot_batched_4_kernelIlLi32ELi4ELb0EDF16_DF16_PKPKDF16_EviT5_lT_lS4_lS5_liPT4_, .Lfunc_end147-_ZL28rocblas_dot_batched_4_kernelIlLi32ELi4ELb0EDF16_DF16_PKPKDF16_EviT5_lT_lS4_lS5_liPT4_
                                        ; -- End function
	.section	.AMDGPU.csdata,"",@progbits
; Kernel info:
; codeLenInByte = 700
; NumSgprs: 24
; NumVgprs: 20
; NumAgprs: 0
; TotalNumVgprs: 20
; ScratchSize: 0
; MemoryBound: 0
; FloatMode: 240
; IeeeMode: 1
; LDSByteSize: 0 bytes/workgroup (compile time only)
; SGPRBlocks: 2
; VGPRBlocks: 2
; NumSGPRsForWavesPerEU: 24
; NumVGPRsForWavesPerEU: 20
; AccumOffset: 20
; Occupancy: 8
; WaveLimiterHint : 0
; COMPUTE_PGM_RSRC2:SCRATCH_EN: 0
; COMPUTE_PGM_RSRC2:USER_SGPR: 6
; COMPUTE_PGM_RSRC2:TRAP_HANDLER: 0
; COMPUTE_PGM_RSRC2:TGID_X_EN: 1
; COMPUTE_PGM_RSRC2:TGID_Y_EN: 0
; COMPUTE_PGM_RSRC2:TGID_Z_EN: 0
; COMPUTE_PGM_RSRC2:TIDIG_COMP_CNT: 1
; COMPUTE_PGM_RSRC3_GFX90A:ACCUM_OFFSET: 4
; COMPUTE_PGM_RSRC3_GFX90A:TG_SPLIT: 0
	.section	.text._ZL28rocblas_dot_batched_4_kernelIlLi64ELi4ELb0EDF16_DF16_PKPKDF16_EviT5_lT_lS4_lS5_liPT4_,"axG",@progbits,_ZL28rocblas_dot_batched_4_kernelIlLi64ELi4ELb0EDF16_DF16_PKPKDF16_EviT5_lT_lS4_lS5_liPT4_,comdat
	.globl	_ZL28rocblas_dot_batched_4_kernelIlLi64ELi4ELb0EDF16_DF16_PKPKDF16_EviT5_lT_lS4_lS5_liPT4_ ; -- Begin function _ZL28rocblas_dot_batched_4_kernelIlLi64ELi4ELb0EDF16_DF16_PKPKDF16_EviT5_lT_lS4_lS5_liPT4_
	.p2align	8
	.type	_ZL28rocblas_dot_batched_4_kernelIlLi64ELi4ELb0EDF16_DF16_PKPKDF16_EviT5_lT_lS4_lS5_liPT4_,@function
_ZL28rocblas_dot_batched_4_kernelIlLi64ELi4ELb0EDF16_DF16_PKPKDF16_EviT5_lT_lS4_lS5_liPT4_: ; @_ZL28rocblas_dot_batched_4_kernelIlLi64ELi4ELb0EDF16_DF16_PKPKDF16_EviT5_lT_lS4_lS5_liPT4_
; %bb.0:
	s_load_dword s0, s[4:5], 0x48
	v_bfe_u32 v1, v0, 10, 10
	v_lshl_add_u32 v2, s6, 2, v1
	s_waitcnt lgkmcnt(0)
	v_cmp_gt_u32_e32 vcc, s0, v2
	s_and_saveexec_b64 s[0:1], vcc
	s_cbranch_execz .LBB148_7
; %bb.1:
	s_load_dword s14, s[4:5], 0x0
	s_load_dwordx2 s[8:9], s[4:5], 0x50
	v_mov_b32_e32 v3, 0
	v_and_b32_e32 v6, 0x3ff, v0
	v_mov_b32_e32 v7, v3
	s_waitcnt lgkmcnt(0)
	v_cmp_gt_i32_e32 vcc, s14, v6
	s_and_saveexec_b64 s[10:11], vcc
	s_cbranch_execz .LBB148_5
; %bb.2:
	s_load_dwordx2 s[6:7], s[4:5], 0x8
	s_load_dwordx2 s[12:13], s[4:5], 0x28
	v_lshlrev_b64 v[0:1], 3, v[2:3]
	s_load_dwordx4 s[0:3], s[4:5], 0x10
	s_waitcnt lgkmcnt(0)
	v_mov_b32_e32 v5, s7
	v_add_co_u32_e32 v4, vcc, s6, v0
	v_addc_co_u32_e32 v5, vcc, v5, v1, vcc
	global_load_dwordx2 v[4:5], v[4:5], off
	v_mov_b32_e32 v7, s13
	v_add_co_u32_e32 v0, vcc, s12, v0
	v_addc_co_u32_e32 v1, vcc, v7, v1, vcc
	global_load_dwordx2 v[10:11], v[0:1], off
	s_load_dwordx4 s[4:7], s[4:5], 0x30
	v_mad_u64_u32 v[0:1], s[16:17], s2, v6, 0
	v_mov_b32_e32 v14, v1
	s_lshl_b64 s[16:17], s[0:1], 1
	s_lshl_b64 s[0:1], s[2:3], 7
	s_waitcnt lgkmcnt(0)
	v_mad_u64_u32 v[12:13], s[18:19], s6, v6, 0
	v_mad_u64_u32 v[14:15], s[2:3], s3, v6, v[14:15]
	v_mov_b32_e32 v16, v13
	v_mov_b32_e32 v1, v14
	v_mad_u64_u32 v[16:17], s[2:3], s7, v6, v[16:17]
	v_lshlrev_b64 v[0:1], 1, v[0:1]
	v_mov_b32_e32 v18, s17
	v_mov_b32_e32 v13, v16
	v_add_co_u32_e32 v0, vcc, s16, v0
	s_lshl_b64 s[18:19], s[4:5], 1
	v_lshlrev_b64 v[12:13], 1, v[12:13]
	v_addc_co_u32_e32 v1, vcc, v1, v18, vcc
	v_mov_b32_e32 v19, s19
	v_add_co_u32_e32 v12, vcc, s18, v12
	v_addc_co_u32_e32 v13, vcc, v13, v19, vcc
	s_lshl_b64 s[4:5], s[6:7], 7
	s_mov_b64 s[12:13], 0
	v_mov_b32_e32 v7, 0
	v_mov_b32_e32 v8, s1
	;; [unrolled: 1-line block ×3, first 2 shown]
	s_waitcnt vmcnt(1)
	v_add_co_u32_e32 v0, vcc, v4, v0
	v_addc_co_u32_e32 v1, vcc, v5, v1, vcc
	s_waitcnt vmcnt(0)
	v_add_co_u32_e32 v4, vcc, v10, v12
	v_addc_co_u32_e32 v5, vcc, v11, v13, vcc
	v_mov_b32_e32 v10, v6
.LBB148_3:                              ; =>This Inner Loop Header: Depth=1
	global_load_ushort v11, v[0:1], off
	global_load_ushort v12, v[4:5], off
	v_add_co_u32_e32 v0, vcc, s0, v0
	v_addc_co_u32_e32 v1, vcc, v1, v8, vcc
	v_add_co_u32_e32 v4, vcc, s4, v4
	v_add_u32_e32 v10, 64, v10
	v_addc_co_u32_e32 v5, vcc, v5, v9, vcc
	v_cmp_le_i32_e32 vcc, s14, v10
	s_or_b64 s[12:13], vcc, s[12:13]
	s_waitcnt vmcnt(0)
	v_fma_f16 v7, v11, v12, v7
	s_andn2_b64 exec, exec, s[12:13]
	s_cbranch_execnz .LBB148_3
; %bb.4:
	s_or_b64 exec, exec, s[12:13]
.LBB148_5:
	s_or_b64 exec, exec, s[10:11]
	v_mbcnt_lo_u32_b32 v0, -1, 0
	v_mbcnt_hi_u32_b32 v1, -1, v0
	v_and_b32_e32 v4, 63, v1
	v_cmp_gt_u32_e32 vcc, 32, v4
	v_cndmask_b32_e64 v5, 0, 1, vcc
	v_lshlrev_b32_e32 v5, 5, v5
	v_and_b32_e32 v0, 0xffff, v7
	v_add_lshl_u32 v5, v5, v1, 2
	ds_bpermute_b32 v0, v5, v0
	v_cmp_gt_u32_e32 vcc, 48, v4
	s_mov_b32 s0, 0xffff0000
	s_waitcnt lgkmcnt(0)
	s_barrier
	v_add_f16_e32 v5, v7, v0
	v_cndmask_b32_e64 v7, 0, 1, vcc
	v_lshlrev_b32_e32 v7, 4, v7
	v_and_or_b32 v0, v0, s0, v5
	v_add_lshl_u32 v7, v7, v1, 2
	ds_bpermute_b32 v0, v7, v0
	v_cmp_gt_u32_e32 vcc, 56, v4
	v_cndmask_b32_e64 v7, 0, 1, vcc
	v_lshlrev_b32_e32 v7, 3, v7
	v_add_lshl_u32 v7, v7, v1, 2
	s_waitcnt lgkmcnt(0)
	v_add_f16_e32 v5, v5, v0
	v_and_or_b32 v0, v0, s0, v5
	ds_bpermute_b32 v0, v7, v0
	v_cmp_gt_u32_e32 vcc, 60, v4
	v_cndmask_b32_e64 v7, 0, 1, vcc
	v_lshlrev_b32_e32 v7, 2, v7
	v_add_lshl_u32 v7, v7, v1, 2
	s_waitcnt lgkmcnt(0)
	v_add_f16_e32 v5, v5, v0
	v_and_or_b32 v0, v0, s0, v5
	;; [unrolled: 8-line block ×3, first 2 shown]
	ds_bpermute_b32 v7, v7, v0
	v_cmp_ne_u32_e32 vcc, 63, v4
	v_addc_co_u32_e32 v1, vcc, 0, v1, vcc
	v_lshlrev_b32_e32 v1, 2, v1
	s_waitcnt lgkmcnt(0)
	v_add_f16_e32 v0, v5, v7
	v_and_or_b32 v5, v7, s0, v0
	ds_bpermute_b32 v1, v1, v5
	v_cmp_eq_u32_e32 vcc, 0, v6
	s_waitcnt lgkmcnt(0)
	s_and_b64 exec, exec, vcc
	s_cbranch_execz .LBB148_7
; %bb.6:
	v_lshlrev_b64 v[2:3], 1, v[2:3]
	v_mov_b32_e32 v4, s9
	v_add_co_u32_e32 v2, vcc, s8, v2
	v_addc_co_u32_e32 v3, vcc, v4, v3, vcc
	v_add_f16_e32 v0, v0, v1
	global_store_short v[2:3], v0, off
.LBB148_7:
	s_endpgm
	.section	.rodata,"a",@progbits
	.p2align	6, 0x0
	.amdhsa_kernel _ZL28rocblas_dot_batched_4_kernelIlLi64ELi4ELb0EDF16_DF16_PKPKDF16_EviT5_lT_lS4_lS5_liPT4_
		.amdhsa_group_segment_fixed_size 0
		.amdhsa_private_segment_fixed_size 0
		.amdhsa_kernarg_size 88
		.amdhsa_user_sgpr_count 6
		.amdhsa_user_sgpr_private_segment_buffer 1
		.amdhsa_user_sgpr_dispatch_ptr 0
		.amdhsa_user_sgpr_queue_ptr 0
		.amdhsa_user_sgpr_kernarg_segment_ptr 1
		.amdhsa_user_sgpr_dispatch_id 0
		.amdhsa_user_sgpr_flat_scratch_init 0
		.amdhsa_user_sgpr_kernarg_preload_length 0
		.amdhsa_user_sgpr_kernarg_preload_offset 0
		.amdhsa_user_sgpr_private_segment_size 0
		.amdhsa_uses_dynamic_stack 0
		.amdhsa_system_sgpr_private_segment_wavefront_offset 0
		.amdhsa_system_sgpr_workgroup_id_x 1
		.amdhsa_system_sgpr_workgroup_id_y 0
		.amdhsa_system_sgpr_workgroup_id_z 0
		.amdhsa_system_sgpr_workgroup_info 0
		.amdhsa_system_vgpr_workitem_id 1
		.amdhsa_next_free_vgpr 20
		.amdhsa_next_free_sgpr 20
		.amdhsa_accum_offset 20
		.amdhsa_reserve_vcc 1
		.amdhsa_reserve_flat_scratch 0
		.amdhsa_float_round_mode_32 0
		.amdhsa_float_round_mode_16_64 0
		.amdhsa_float_denorm_mode_32 3
		.amdhsa_float_denorm_mode_16_64 3
		.amdhsa_dx10_clamp 1
		.amdhsa_ieee_mode 1
		.amdhsa_fp16_overflow 0
		.amdhsa_tg_split 0
		.amdhsa_exception_fp_ieee_invalid_op 0
		.amdhsa_exception_fp_denorm_src 0
		.amdhsa_exception_fp_ieee_div_zero 0
		.amdhsa_exception_fp_ieee_overflow 0
		.amdhsa_exception_fp_ieee_underflow 0
		.amdhsa_exception_fp_ieee_inexact 0
		.amdhsa_exception_int_div_zero 0
	.end_amdhsa_kernel
	.section	.text._ZL28rocblas_dot_batched_4_kernelIlLi64ELi4ELb0EDF16_DF16_PKPKDF16_EviT5_lT_lS4_lS5_liPT4_,"axG",@progbits,_ZL28rocblas_dot_batched_4_kernelIlLi64ELi4ELb0EDF16_DF16_PKPKDF16_EviT5_lT_lS4_lS5_liPT4_,comdat
.Lfunc_end148:
	.size	_ZL28rocblas_dot_batched_4_kernelIlLi64ELi4ELb0EDF16_DF16_PKPKDF16_EviT5_lT_lS4_lS5_liPT4_, .Lfunc_end148-_ZL28rocblas_dot_batched_4_kernelIlLi64ELi4ELb0EDF16_DF16_PKPKDF16_EviT5_lT_lS4_lS5_liPT4_
                                        ; -- End function
	.section	.AMDGPU.csdata,"",@progbits
; Kernel info:
; codeLenInByte = 748
; NumSgprs: 24
; NumVgprs: 20
; NumAgprs: 0
; TotalNumVgprs: 20
; ScratchSize: 0
; MemoryBound: 0
; FloatMode: 240
; IeeeMode: 1
; LDSByteSize: 0 bytes/workgroup (compile time only)
; SGPRBlocks: 2
; VGPRBlocks: 2
; NumSGPRsForWavesPerEU: 24
; NumVGPRsForWavesPerEU: 20
; AccumOffset: 20
; Occupancy: 8
; WaveLimiterHint : 0
; COMPUTE_PGM_RSRC2:SCRATCH_EN: 0
; COMPUTE_PGM_RSRC2:USER_SGPR: 6
; COMPUTE_PGM_RSRC2:TRAP_HANDLER: 0
; COMPUTE_PGM_RSRC2:TGID_X_EN: 1
; COMPUTE_PGM_RSRC2:TGID_Y_EN: 0
; COMPUTE_PGM_RSRC2:TGID_Z_EN: 0
; COMPUTE_PGM_RSRC2:TIDIG_COMP_CNT: 1
; COMPUTE_PGM_RSRC3_GFX90A:ACCUM_OFFSET: 4
; COMPUTE_PGM_RSRC3_GFX90A:TG_SPLIT: 0
	.section	.text._ZL18rocblas_dot_kernelIlLb1ELi1024ELi32ELb0EDF16_PKPKDF16_DF16_EviT5_lT_lS4_lS5_liPT6_PT4_,"axG",@progbits,_ZL18rocblas_dot_kernelIlLb1ELi1024ELi32ELb0EDF16_PKPKDF16_DF16_EviT5_lT_lS4_lS5_liPT6_PT4_,comdat
	.globl	_ZL18rocblas_dot_kernelIlLb1ELi1024ELi32ELb0EDF16_PKPKDF16_DF16_EviT5_lT_lS4_lS5_liPT6_PT4_ ; -- Begin function _ZL18rocblas_dot_kernelIlLb1ELi1024ELi32ELb0EDF16_PKPKDF16_DF16_EviT5_lT_lS4_lS5_liPT6_PT4_
	.p2align	8
	.type	_ZL18rocblas_dot_kernelIlLb1ELi1024ELi32ELb0EDF16_PKPKDF16_DF16_EviT5_lT_lS4_lS5_liPT6_PT4_,@function
_ZL18rocblas_dot_kernelIlLb1ELi1024ELi32ELb0EDF16_PKPKDF16_DF16_EviT5_lT_lS4_lS5_liPT6_PT4_: ; @_ZL18rocblas_dot_kernelIlLb1ELi1024ELi32ELb0EDF16_PKPKDF16_DF16_EviT5_lT_lS4_lS5_liPT6_PT4_
; %bb.0:
	s_load_dword s16, s[4:5], 0x0
	s_load_dwordx2 s[12:13], s[4:5], 0x58
	s_mov_b32 s6, s7
	s_mov_b32 s7, 0
	v_mov_b32_e32 v6, 0
	s_waitcnt lgkmcnt(0)
	v_cmp_gt_i32_e32 vcc, s16, v0
	s_and_saveexec_b64 s[14:15], vcc
	s_cbranch_execz .LBB149_4
; %bb.1:
	s_load_dwordx2 s[18:19], s[4:5], 0x8
	s_load_dwordx4 s[8:11], s[4:5], 0x10
	s_load_dwordx2 s[20:21], s[4:5], 0x28
	s_load_dwordx4 s[0:3], s[4:5], 0x30
	s_lshl_b64 s[22:23], s[6:7], 3
	s_waitcnt lgkmcnt(0)
	s_add_u32 s18, s18, s22
	s_addc_u32 s19, s19, s23
	s_load_dword s17, s[4:5], 0x60
	s_load_dwordx2 s[24:25], s[18:19], 0x0
	s_add_u32 s4, s20, s22
	s_addc_u32 s5, s21, s23
	s_load_dwordx2 s[18:19], s[4:5], 0x0
	v_mad_u64_u32 v[2:3], s[4:5], s10, v0, 0
	v_mov_b32_e32 v4, v3
	v_mad_u64_u32 v[4:5], s[4:5], s11, v0, v[4:5]
	s_waitcnt lgkmcnt(0)
	s_lshl_b32 s17, s17, 10
	s_lshl_b64 s[4:5], s[8:9], 1
	v_mov_b32_e32 v3, v4
	s_add_u32 s4, s24, s4
	v_lshlrev_b64 v[2:3], 1, v[2:3]
	s_addc_u32 s5, s25, s5
	s_ashr_i32 s20, s17, 31
	v_mov_b32_e32 v4, s5
	v_add_co_u32_e32 v2, vcc, s4, v2
	s_mul_i32 s4, s10, s20
	s_mul_hi_u32 s5, s10, s17
	v_addc_co_u32_e32 v3, vcc, v4, v3, vcc
	s_add_i32 s4, s5, s4
	s_mul_i32 s5, s11, s17
	v_mad_u64_u32 v[4:5], s[8:9], s2, v0, 0
	s_add_i32 s5, s4, s5
	s_mul_i32 s4, s10, s17
	v_mov_b32_e32 v6, v5
	s_lshl_b64 s[4:5], s[4:5], 1
	v_mad_u64_u32 v[6:7], s[8:9], s3, v0, v[6:7]
	s_lshl_b64 s[0:1], s[0:1], 1
	v_mov_b32_e32 v5, v6
	s_add_u32 s0, s18, s0
	v_lshlrev_b64 v[4:5], 1, v[4:5]
	s_addc_u32 s1, s19, s1
	v_mov_b32_e32 v6, s1
	v_add_co_u32_e32 v4, vcc, s0, v4
	s_mul_i32 s0, s2, s20
	s_mul_hi_u32 s1, s2, s17
	s_add_i32 s0, s1, s0
	s_mul_i32 s1, s3, s17
	s_add_i32 s1, s0, s1
	s_mul_i32 s0, s2, s17
	s_lshl_b64 s[8:9], s[0:1], 1
	v_or_b32_e32 v1, s17, v0
	v_addc_co_u32_e32 v5, vcc, v6, v5, vcc
	s_mov_b64 s[2:3], 0
	v_mov_b32_e32 v6, 0
	v_mov_b32_e32 v7, s5
	;; [unrolled: 1-line block ×3, first 2 shown]
	s_mov_b32 s5, s7
.LBB149_2:                              ; =>This Inner Loop Header: Depth=1
	global_load_ushort v9, v[4:5], off
	global_load_ushort v10, v[2:3], off
	v_add_co_u32_e64 v2, s[0:1], s4, v2
	v_addc_co_u32_e64 v3, s[0:1], v3, v7, s[0:1]
	s_add_i32 s9, s5, 1
	v_add_co_u32_e64 v4, s[0:1], s8, v4
	v_addc_co_u32_e64 v5, s[0:1], v5, v8, s[0:1]
	s_cmp_gt_u32 s5, 30
	v_cmp_le_i32_e32 vcc, s16, v1
	s_cselect_b64 s[0:1], -1, 0
	s_or_b64 s[0:1], s[0:1], vcc
	s_and_b64 s[0:1], exec, s[0:1]
	v_add_u32_e32 v1, s17, v1
	s_mov_b32 s5, s9
	s_or_b64 s[2:3], s[0:1], s[2:3]
	s_waitcnt vmcnt(0)
	v_fma_f16 v6, v9, v10, v6
	s_andn2_b64 exec, exec, s[2:3]
	s_cbranch_execnz .LBB149_2
; %bb.3:
	s_or_b64 exec, exec, s[2:3]
.LBB149_4:
	s_or_b64 exec, exec, s[14:15]
	v_and_b32_e32 v2, 63, v0
	v_cmp_gt_u32_e32 vcc, 64, v0
	v_lshlrev_b32_e32 v1, 1, v2
	s_and_saveexec_b64 s[0:1], vcc
	s_cbranch_execz .LBB149_6
; %bb.5:
	v_mov_b32_e32 v3, 0
	ds_write_b16 v1, v3
.LBB149_6:
	s_or_b64 exec, exec, s[0:1]
	v_mbcnt_lo_u32_b32 v3, -1, 0
	v_mbcnt_hi_u32_b32 v8, -1, v3
	v_and_b32_e32 v9, 63, v8
	v_cmp_gt_u32_e64 s[0:1], 32, v9
	v_cndmask_b32_e64 v4, 0, 1, s[0:1]
	v_lshlrev_b32_e32 v4, 5, v4
	v_and_b32_e32 v3, 0xffff, v6
	v_add_lshl_u32 v4, v4, v8, 2
	ds_bpermute_b32 v3, v4, v3
	v_cmp_gt_u32_e64 s[0:1], 48, v9
	v_cndmask_b32_e64 v5, 0, 1, s[0:1]
	s_mov_b32 s2, 0xffff0000
	v_lshlrev_b32_e32 v5, 4, v5
	s_waitcnt lgkmcnt(0)
	v_add_f16_e32 v4, v6, v3
	v_and_or_b32 v3, v3, s2, v4
	v_add_lshl_u32 v5, v5, v8, 2
	ds_bpermute_b32 v3, v5, v3
	v_cmp_gt_u32_e64 s[0:1], 56, v9
	s_waitcnt lgkmcnt(0)
	s_barrier
	v_add_f16_e32 v4, v4, v3
	v_and_or_b32 v5, v3, s2, v4
	v_cndmask_b32_e64 v3, 0, 1, s[0:1]
	v_lshlrev_b32_e32 v3, 3, v3
	v_add_lshl_u32 v3, v3, v8, 2
	ds_bpermute_b32 v5, v3, v5
	v_cmp_gt_u32_e64 s[0:1], 60, v9
	s_waitcnt lgkmcnt(0)
	v_add_f16_e32 v6, v4, v5
	v_cndmask_b32_e64 v4, 0, 1, s[0:1]
	v_lshlrev_b32_e32 v4, 2, v4
	v_and_or_b32 v5, v5, s2, v6
	v_add_lshl_u32 v4, v4, v8, 2
	ds_bpermute_b32 v5, v4, v5
	v_cmp_gt_u32_e64 s[0:1], 62, v9
	s_waitcnt lgkmcnt(0)
	v_add_f16_e32 v6, v6, v5
	v_and_or_b32 v7, v5, s2, v6
	v_cndmask_b32_e64 v5, 0, 1, s[0:1]
	v_lshlrev_b32_e32 v5, 1, v5
	v_add_lshl_u32 v5, v5, v8, 2
	ds_bpermute_b32 v10, v5, v7
	v_cmp_ne_u32_e64 s[0:1], 63, v9
	s_waitcnt lgkmcnt(0)
	v_add_f16_e32 v7, v6, v10
	v_addc_co_u32_e64 v6, s[0:1], 0, v8, s[0:1]
	v_and_or_b32 v10, v10, s2, v7
	v_lshlrev_b32_e32 v6, 2, v6
	ds_bpermute_b32 v8, v6, v10
	v_cmp_eq_u32_e64 s[0:1], 0, v2
	s_and_saveexec_b64 s[2:3], s[0:1]
	s_cbranch_execz .LBB149_8
; %bb.7:
	s_waitcnt lgkmcnt(0)
	v_add_f16_e32 v2, v7, v8
	v_lshrrev_b32_e32 v7, 5, v0
	v_and_b32_e32 v7, 30, v7
	ds_write_b16 v7, v2
.LBB149_8:
	s_or_b64 exec, exec, s[2:3]
	v_cmp_gt_u32_e64 s[0:1], 16, v0
	v_mov_b32_e32 v2, 0
	s_waitcnt lgkmcnt(0)
	s_barrier
	s_and_saveexec_b64 s[2:3], s[0:1]
	s_cbranch_execnz .LBB149_12
; %bb.9:
	s_or_b64 exec, exec, s[2:3]
	s_and_saveexec_b64 s[0:1], vcc
	s_cbranch_execnz .LBB149_13
.LBB149_10:
	s_or_b64 exec, exec, s[0:1]
	v_cmp_eq_u32_e32 vcc, 0, v0
	s_and_saveexec_b64 s[0:1], vcc
	s_cbranch_execnz .LBB149_14
.LBB149_11:
	s_endpgm
.LBB149_12:
	ds_read_u16 v2, v1
	s_or_b64 exec, exec, s[2:3]
	s_and_saveexec_b64 s[0:1], vcc
	s_cbranch_execz .LBB149_10
.LBB149_13:
	s_waitcnt lgkmcnt(0)
	v_and_b32_e32 v1, 0xffff, v2
	ds_bpermute_b32 v1, v3, v1
	s_mov_b32 s2, 0xffff0000
	s_waitcnt lgkmcnt(0)
	v_add_f16_e32 v2, v2, v1
	v_and_or_b32 v1, v1, s2, v2
	ds_bpermute_b32 v1, v4, v1
	s_waitcnt lgkmcnt(0)
	v_add_f16_e32 v2, v2, v1
	v_and_or_b32 v1, v1, s2, v2
	ds_bpermute_b32 v1, v5, v1
	;; [unrolled: 4-line block ×3, first 2 shown]
	s_waitcnt lgkmcnt(0)
	v_add_f16_e32 v2, v2, v1
	s_or_b64 exec, exec, s[0:1]
	v_cmp_eq_u32_e32 vcc, 0, v0
	s_and_saveexec_b64 s[0:1], vcc
	s_cbranch_execz .LBB149_11
.LBB149_14:
	s_lshl_b64 s[0:1], s[6:7], 1
	s_add_u32 s0, s12, s0
	s_addc_u32 s1, s13, s1
	v_mov_b32_e32 v0, 0
	s_waitcnt lgkmcnt(0)
	global_store_short v0, v2, s[0:1]
	s_endpgm
	.section	.rodata,"a",@progbits
	.p2align	6, 0x0
	.amdhsa_kernel _ZL18rocblas_dot_kernelIlLb1ELi1024ELi32ELb0EDF16_PKPKDF16_DF16_EviT5_lT_lS4_lS5_liPT6_PT4_
		.amdhsa_group_segment_fixed_size 128
		.amdhsa_private_segment_fixed_size 0
		.amdhsa_kernarg_size 352
		.amdhsa_user_sgpr_count 6
		.amdhsa_user_sgpr_private_segment_buffer 1
		.amdhsa_user_sgpr_dispatch_ptr 0
		.amdhsa_user_sgpr_queue_ptr 0
		.amdhsa_user_sgpr_kernarg_segment_ptr 1
		.amdhsa_user_sgpr_dispatch_id 0
		.amdhsa_user_sgpr_flat_scratch_init 0
		.amdhsa_user_sgpr_kernarg_preload_length 0
		.amdhsa_user_sgpr_kernarg_preload_offset 0
		.amdhsa_user_sgpr_private_segment_size 0
		.amdhsa_uses_dynamic_stack 0
		.amdhsa_system_sgpr_private_segment_wavefront_offset 0
		.amdhsa_system_sgpr_workgroup_id_x 1
		.amdhsa_system_sgpr_workgroup_id_y 0
		.amdhsa_system_sgpr_workgroup_id_z 1
		.amdhsa_system_sgpr_workgroup_info 0
		.amdhsa_system_vgpr_workitem_id 0
		.amdhsa_next_free_vgpr 11
		.amdhsa_next_free_sgpr 26
		.amdhsa_accum_offset 12
		.amdhsa_reserve_vcc 1
		.amdhsa_reserve_flat_scratch 0
		.amdhsa_float_round_mode_32 0
		.amdhsa_float_round_mode_16_64 0
		.amdhsa_float_denorm_mode_32 3
		.amdhsa_float_denorm_mode_16_64 3
		.amdhsa_dx10_clamp 1
		.amdhsa_ieee_mode 1
		.amdhsa_fp16_overflow 0
		.amdhsa_tg_split 0
		.amdhsa_exception_fp_ieee_invalid_op 0
		.amdhsa_exception_fp_denorm_src 0
		.amdhsa_exception_fp_ieee_div_zero 0
		.amdhsa_exception_fp_ieee_overflow 0
		.amdhsa_exception_fp_ieee_underflow 0
		.amdhsa_exception_fp_ieee_inexact 0
		.amdhsa_exception_int_div_zero 0
	.end_amdhsa_kernel
	.section	.text._ZL18rocblas_dot_kernelIlLb1ELi1024ELi32ELb0EDF16_PKPKDF16_DF16_EviT5_lT_lS4_lS5_liPT6_PT4_,"axG",@progbits,_ZL18rocblas_dot_kernelIlLb1ELi1024ELi32ELb0EDF16_PKPKDF16_DF16_EviT5_lT_lS4_lS5_liPT6_PT4_,comdat
.Lfunc_end149:
	.size	_ZL18rocblas_dot_kernelIlLb1ELi1024ELi32ELb0EDF16_PKPKDF16_DF16_EviT5_lT_lS4_lS5_liPT6_PT4_, .Lfunc_end149-_ZL18rocblas_dot_kernelIlLb1ELi1024ELi32ELb0EDF16_PKPKDF16_DF16_EviT5_lT_lS4_lS5_liPT6_PT4_
                                        ; -- End function
	.section	.AMDGPU.csdata,"",@progbits
; Kernel info:
; codeLenInByte = 1084
; NumSgprs: 30
; NumVgprs: 11
; NumAgprs: 0
; TotalNumVgprs: 11
; ScratchSize: 0
; MemoryBound: 0
; FloatMode: 240
; IeeeMode: 1
; LDSByteSize: 128 bytes/workgroup (compile time only)
; SGPRBlocks: 3
; VGPRBlocks: 1
; NumSGPRsForWavesPerEU: 30
; NumVGPRsForWavesPerEU: 11
; AccumOffset: 12
; Occupancy: 8
; WaveLimiterHint : 0
; COMPUTE_PGM_RSRC2:SCRATCH_EN: 0
; COMPUTE_PGM_RSRC2:USER_SGPR: 6
; COMPUTE_PGM_RSRC2:TRAP_HANDLER: 0
; COMPUTE_PGM_RSRC2:TGID_X_EN: 1
; COMPUTE_PGM_RSRC2:TGID_Y_EN: 0
; COMPUTE_PGM_RSRC2:TGID_Z_EN: 1
; COMPUTE_PGM_RSRC2:TIDIG_COMP_CNT: 0
; COMPUTE_PGM_RSRC3_GFX90A:ACCUM_OFFSET: 2
; COMPUTE_PGM_RSRC3_GFX90A:TG_SPLIT: 0
	.section	.text._ZL24rocblas_dot_kernel_magsqIlLb1ELi1024ELi32ELb0EDF16_PKPKDF16_DF16_EviT5_lT_liPT6_PT4_,"axG",@progbits,_ZL24rocblas_dot_kernel_magsqIlLb1ELi1024ELi32ELb0EDF16_PKPKDF16_DF16_EviT5_lT_liPT6_PT4_,comdat
	.globl	_ZL24rocblas_dot_kernel_magsqIlLb1ELi1024ELi32ELb0EDF16_PKPKDF16_DF16_EviT5_lT_liPT6_PT4_ ; -- Begin function _ZL24rocblas_dot_kernel_magsqIlLb1ELi1024ELi32ELb0EDF16_PKPKDF16_DF16_EviT5_lT_liPT6_PT4_
	.p2align	8
	.type	_ZL24rocblas_dot_kernel_magsqIlLb1ELi1024ELi32ELb0EDF16_PKPKDF16_DF16_EviT5_lT_liPT6_PT4_,@function
_ZL24rocblas_dot_kernel_magsqIlLb1ELi1024ELi32ELb0EDF16_PKPKDF16_DF16_EviT5_lT_liPT6_PT4_: ; @_ZL24rocblas_dot_kernel_magsqIlLb1ELi1024ELi32ELb0EDF16_PKPKDF16_DF16_EviT5_lT_liPT6_PT4_
; %bb.0:
	s_mov_b32 s2, s7
	s_load_dword s12, s[4:5], 0x0
	s_load_dwordx2 s[6:7], s[4:5], 0x38
	s_mov_b32 s3, 0
	v_mov_b32_e32 v4, 0
	s_waitcnt lgkmcnt(0)
	v_cmp_gt_i32_e32 vcc, s12, v0
	s_and_saveexec_b64 s[8:9], vcc
	s_cbranch_execz .LBB150_4
; %bb.1:
	s_load_dwordx2 s[0:1], s[4:5], 0x8
	s_load_dword s10, s[4:5], 0x40
	s_load_dwordx4 s[16:19], s[4:5], 0x10
	s_lshl_b64 s[4:5], s[2:3], 3
	s_waitcnt lgkmcnt(0)
	s_add_u32 s0, s0, s4
	s_addc_u32 s1, s1, s5
	s_load_dwordx2 s[0:1], s[0:1], 0x0
	v_mad_u64_u32 v[2:3], s[4:5], s18, v0, 0
	v_mov_b32_e32 v4, v3
	v_mad_u64_u32 v[4:5], s[4:5], s19, v0, v[4:5]
	s_lshl_b32 s13, s10, 10
	v_mov_b32_e32 v3, v4
	s_lshl_b64 s[4:5], s[16:17], 1
	v_lshlrev_b64 v[2:3], 1, v[2:3]
	s_waitcnt lgkmcnt(0)
	s_add_u32 s0, s0, s4
	s_addc_u32 s1, s1, s5
	v_add_co_u32_e32 v2, vcc, s0, v2
	s_ashr_i32 s0, s13, 31
	v_mov_b32_e32 v4, s1
	s_mul_i32 s0, s18, s0
	s_mul_hi_u32 s1, s18, s13
	s_add_i32 s0, s1, s0
	s_mul_i32 s1, s19, s13
	s_add_i32 s1, s0, s1
	s_mul_i32 s0, s18, s13
	s_lshl_b64 s[10:11], s[0:1], 1
	v_or_b32_e32 v1, s13, v0
	v_addc_co_u32_e32 v3, vcc, v4, v3, vcc
	s_mov_b64 s[4:5], 0
	v_mov_b32_e32 v4, 0
	v_mov_b32_e32 v5, s11
	s_mov_b32 s11, s3
.LBB150_2:                              ; =>This Inner Loop Header: Depth=1
	global_load_ushort v6, v[2:3], off
	s_add_i32 s14, s11, 1
	v_add_co_u32_e64 v2, s[0:1], s10, v2
	v_addc_co_u32_e64 v3, s[0:1], v3, v5, s[0:1]
	s_cmp_gt_u32 s11, 30
	v_cmp_le_i32_e32 vcc, s12, v1
	s_cselect_b64 s[0:1], -1, 0
	s_or_b64 s[0:1], s[0:1], vcc
	s_and_b64 s[0:1], exec, s[0:1]
	v_add_u32_e32 v1, s13, v1
	s_mov_b32 s11, s14
	s_or_b64 s[4:5], s[0:1], s[4:5]
	s_waitcnt vmcnt(0)
	v_fma_f16 v4, v6, v6, v4
	s_andn2_b64 exec, exec, s[4:5]
	s_cbranch_execnz .LBB150_2
; %bb.3:
	s_or_b64 exec, exec, s[4:5]
.LBB150_4:
	s_or_b64 exec, exec, s[8:9]
	v_and_b32_e32 v2, 63, v0
	v_cmp_gt_u32_e32 vcc, 64, v0
	v_lshlrev_b32_e32 v1, 1, v2
	s_and_saveexec_b64 s[0:1], vcc
	s_cbranch_execz .LBB150_6
; %bb.5:
	v_mov_b32_e32 v3, 0
	ds_write_b16 v1, v3
.LBB150_6:
	s_or_b64 exec, exec, s[0:1]
	v_mbcnt_lo_u32_b32 v3, -1, 0
	v_mbcnt_hi_u32_b32 v6, -1, v3
	v_and_b32_e32 v8, 63, v6
	v_cmp_gt_u32_e64 s[0:1], 32, v8
	v_cndmask_b32_e64 v5, 0, 1, s[0:1]
	v_lshlrev_b32_e32 v5, 5, v5
	v_and_b32_e32 v3, 0xffff, v4
	v_add_lshl_u32 v5, v5, v6, 2
	ds_bpermute_b32 v3, v5, v3
	v_cmp_gt_u32_e64 s[0:1], 48, v8
	v_cndmask_b32_e64 v5, 0, 1, s[0:1]
	s_mov_b32 s4, 0xffff0000
	v_lshlrev_b32_e32 v5, 4, v5
	s_waitcnt lgkmcnt(0)
	v_add_f16_e32 v4, v4, v3
	v_and_or_b32 v3, v3, s4, v4
	v_add_lshl_u32 v5, v5, v6, 2
	ds_bpermute_b32 v3, v5, v3
	v_cmp_gt_u32_e64 s[0:1], 56, v8
	s_waitcnt lgkmcnt(0)
	s_barrier
	v_add_f16_e32 v4, v4, v3
	v_and_or_b32 v5, v3, s4, v4
	v_cndmask_b32_e64 v3, 0, 1, s[0:1]
	v_lshlrev_b32_e32 v3, 3, v3
	v_add_lshl_u32 v3, v3, v6, 2
	ds_bpermute_b32 v5, v3, v5
	v_cmp_gt_u32_e64 s[0:1], 60, v8
	s_waitcnt lgkmcnt(0)
	v_add_f16_e32 v7, v4, v5
	v_cndmask_b32_e64 v4, 0, 1, s[0:1]
	v_lshlrev_b32_e32 v4, 2, v4
	v_and_or_b32 v5, v5, s4, v7
	v_add_lshl_u32 v4, v4, v6, 2
	ds_bpermute_b32 v5, v4, v5
	v_cmp_gt_u32_e64 s[0:1], 62, v8
	s_waitcnt lgkmcnt(0)
	v_add_f16_e32 v7, v7, v5
	v_and_or_b32 v9, v5, s4, v7
	v_cndmask_b32_e64 v5, 0, 1, s[0:1]
	v_lshlrev_b32_e32 v5, 1, v5
	v_add_lshl_u32 v5, v5, v6, 2
	ds_bpermute_b32 v9, v5, v9
	v_cmp_ne_u32_e64 s[0:1], 63, v8
	v_addc_co_u32_e64 v6, s[0:1], 0, v6, s[0:1]
	v_lshlrev_b32_e32 v6, 2, v6
	s_waitcnt lgkmcnt(0)
	v_add_f16_e32 v7, v7, v9
	v_and_or_b32 v9, v9, s4, v7
	ds_bpermute_b32 v8, v6, v9
	v_cmp_eq_u32_e64 s[0:1], 0, v2
	s_and_saveexec_b64 s[4:5], s[0:1]
	s_cbranch_execz .LBB150_8
; %bb.7:
	s_waitcnt lgkmcnt(0)
	v_add_f16_e32 v2, v7, v8
	v_lshrrev_b32_e32 v7, 5, v0
	v_and_b32_e32 v7, 30, v7
	ds_write_b16 v7, v2
.LBB150_8:
	s_or_b64 exec, exec, s[4:5]
	v_cmp_gt_u32_e64 s[0:1], 16, v0
	v_mov_b32_e32 v2, 0
	s_waitcnt lgkmcnt(0)
	s_barrier
	s_and_saveexec_b64 s[4:5], s[0:1]
	s_cbranch_execnz .LBB150_12
; %bb.9:
	s_or_b64 exec, exec, s[4:5]
	s_and_saveexec_b64 s[0:1], vcc
	s_cbranch_execnz .LBB150_13
.LBB150_10:
	s_or_b64 exec, exec, s[0:1]
	v_cmp_eq_u32_e32 vcc, 0, v0
	s_and_saveexec_b64 s[0:1], vcc
	s_cbranch_execnz .LBB150_14
.LBB150_11:
	s_endpgm
.LBB150_12:
	ds_read_u16 v2, v1
	s_or_b64 exec, exec, s[4:5]
	s_and_saveexec_b64 s[0:1], vcc
	s_cbranch_execz .LBB150_10
.LBB150_13:
	s_waitcnt lgkmcnt(0)
	v_and_b32_e32 v1, 0xffff, v2
	ds_bpermute_b32 v1, v3, v1
	s_mov_b32 s4, 0xffff0000
	s_waitcnt lgkmcnt(0)
	v_add_f16_e32 v2, v2, v1
	v_and_or_b32 v1, v1, s4, v2
	ds_bpermute_b32 v1, v4, v1
	s_waitcnt lgkmcnt(0)
	v_add_f16_e32 v2, v2, v1
	v_and_or_b32 v1, v1, s4, v2
	ds_bpermute_b32 v1, v5, v1
	;; [unrolled: 4-line block ×3, first 2 shown]
	s_waitcnt lgkmcnt(0)
	v_add_f16_e32 v2, v2, v1
	s_or_b64 exec, exec, s[0:1]
	v_cmp_eq_u32_e32 vcc, 0, v0
	s_and_saveexec_b64 s[0:1], vcc
	s_cbranch_execz .LBB150_11
.LBB150_14:
	s_lshl_b64 s[0:1], s[2:3], 1
	s_add_u32 s0, s6, s0
	s_addc_u32 s1, s7, s1
	v_mov_b32_e32 v0, 0
	s_waitcnt lgkmcnt(0)
	global_store_short v0, v2, s[0:1]
	s_endpgm
	.section	.rodata,"a",@progbits
	.p2align	6, 0x0
	.amdhsa_kernel _ZL24rocblas_dot_kernel_magsqIlLb1ELi1024ELi32ELb0EDF16_PKPKDF16_DF16_EviT5_lT_liPT6_PT4_
		.amdhsa_group_segment_fixed_size 128
		.amdhsa_private_segment_fixed_size 0
		.amdhsa_kernarg_size 320
		.amdhsa_user_sgpr_count 6
		.amdhsa_user_sgpr_private_segment_buffer 1
		.amdhsa_user_sgpr_dispatch_ptr 0
		.amdhsa_user_sgpr_queue_ptr 0
		.amdhsa_user_sgpr_kernarg_segment_ptr 1
		.amdhsa_user_sgpr_dispatch_id 0
		.amdhsa_user_sgpr_flat_scratch_init 0
		.amdhsa_user_sgpr_kernarg_preload_length 0
		.amdhsa_user_sgpr_kernarg_preload_offset 0
		.amdhsa_user_sgpr_private_segment_size 0
		.amdhsa_uses_dynamic_stack 0
		.amdhsa_system_sgpr_private_segment_wavefront_offset 0
		.amdhsa_system_sgpr_workgroup_id_x 1
		.amdhsa_system_sgpr_workgroup_id_y 0
		.amdhsa_system_sgpr_workgroup_id_z 1
		.amdhsa_system_sgpr_workgroup_info 0
		.amdhsa_system_vgpr_workitem_id 0
		.amdhsa_next_free_vgpr 10
		.amdhsa_next_free_sgpr 20
		.amdhsa_accum_offset 12
		.amdhsa_reserve_vcc 1
		.amdhsa_reserve_flat_scratch 0
		.amdhsa_float_round_mode_32 0
		.amdhsa_float_round_mode_16_64 0
		.amdhsa_float_denorm_mode_32 3
		.amdhsa_float_denorm_mode_16_64 3
		.amdhsa_dx10_clamp 1
		.amdhsa_ieee_mode 1
		.amdhsa_fp16_overflow 0
		.amdhsa_tg_split 0
		.amdhsa_exception_fp_ieee_invalid_op 0
		.amdhsa_exception_fp_denorm_src 0
		.amdhsa_exception_fp_ieee_div_zero 0
		.amdhsa_exception_fp_ieee_overflow 0
		.amdhsa_exception_fp_ieee_underflow 0
		.amdhsa_exception_fp_ieee_inexact 0
		.amdhsa_exception_int_div_zero 0
	.end_amdhsa_kernel
	.section	.text._ZL24rocblas_dot_kernel_magsqIlLb1ELi1024ELi32ELb0EDF16_PKPKDF16_DF16_EviT5_lT_liPT6_PT4_,"axG",@progbits,_ZL24rocblas_dot_kernel_magsqIlLb1ELi1024ELi32ELb0EDF16_PKPKDF16_DF16_EviT5_lT_liPT6_PT4_,comdat
.Lfunc_end150:
	.size	_ZL24rocblas_dot_kernel_magsqIlLb1ELi1024ELi32ELb0EDF16_PKPKDF16_DF16_EviT5_lT_liPT6_PT4_, .Lfunc_end150-_ZL24rocblas_dot_kernel_magsqIlLb1ELi1024ELi32ELb0EDF16_PKPKDF16_DF16_EviT5_lT_liPT6_PT4_
                                        ; -- End function
	.section	.AMDGPU.csdata,"",@progbits
; Kernel info:
; codeLenInByte = 940
; NumSgprs: 24
; NumVgprs: 10
; NumAgprs: 0
; TotalNumVgprs: 10
; ScratchSize: 0
; MemoryBound: 0
; FloatMode: 240
; IeeeMode: 1
; LDSByteSize: 128 bytes/workgroup (compile time only)
; SGPRBlocks: 2
; VGPRBlocks: 1
; NumSGPRsForWavesPerEU: 24
; NumVGPRsForWavesPerEU: 10
; AccumOffset: 12
; Occupancy: 8
; WaveLimiterHint : 0
; COMPUTE_PGM_RSRC2:SCRATCH_EN: 0
; COMPUTE_PGM_RSRC2:USER_SGPR: 6
; COMPUTE_PGM_RSRC2:TRAP_HANDLER: 0
; COMPUTE_PGM_RSRC2:TGID_X_EN: 1
; COMPUTE_PGM_RSRC2:TGID_Y_EN: 0
; COMPUTE_PGM_RSRC2:TGID_Z_EN: 1
; COMPUTE_PGM_RSRC2:TIDIG_COMP_CNT: 0
; COMPUTE_PGM_RSRC3_GFX90A:ACCUM_OFFSET: 2
; COMPUTE_PGM_RSRC3_GFX90A:TG_SPLIT: 0
	.section	.text._ZL38rocblas_dot_kernel_gfx942_float_doubleIlLi1024EDF16_PKPKDF16_DF16_EviT2_lT_lS4_lS5_lPT3_PT1_,"axG",@progbits,_ZL38rocblas_dot_kernel_gfx942_float_doubleIlLi1024EDF16_PKPKDF16_DF16_EviT2_lT_lS4_lS5_lPT3_PT1_,comdat
	.globl	_ZL38rocblas_dot_kernel_gfx942_float_doubleIlLi1024EDF16_PKPKDF16_DF16_EviT2_lT_lS4_lS5_lPT3_PT1_ ; -- Begin function _ZL38rocblas_dot_kernel_gfx942_float_doubleIlLi1024EDF16_PKPKDF16_DF16_EviT2_lT_lS4_lS5_lPT3_PT1_
	.p2align	8
	.type	_ZL38rocblas_dot_kernel_gfx942_float_doubleIlLi1024EDF16_PKPKDF16_DF16_EviT2_lT_lS4_lS5_lPT3_PT1_,@function
_ZL38rocblas_dot_kernel_gfx942_float_doubleIlLi1024EDF16_PKPKDF16_DF16_EviT2_lT_lS4_lS5_lPT3_PT1_: ; @_ZL38rocblas_dot_kernel_gfx942_float_doubleIlLi1024EDF16_PKPKDF16_DF16_EviT2_lT_lS4_lS5_lPT3_PT1_
; %bb.0:
	s_endpgm
	.section	.rodata,"a",@progbits
	.p2align	6, 0x0
	.amdhsa_kernel _ZL38rocblas_dot_kernel_gfx942_float_doubleIlLi1024EDF16_PKPKDF16_DF16_EviT2_lT_lS4_lS5_lPT3_PT1_
		.amdhsa_group_segment_fixed_size 0
		.amdhsa_private_segment_fixed_size 0
		.amdhsa_kernarg_size 88
		.amdhsa_user_sgpr_count 6
		.amdhsa_user_sgpr_private_segment_buffer 1
		.amdhsa_user_sgpr_dispatch_ptr 0
		.amdhsa_user_sgpr_queue_ptr 0
		.amdhsa_user_sgpr_kernarg_segment_ptr 1
		.amdhsa_user_sgpr_dispatch_id 0
		.amdhsa_user_sgpr_flat_scratch_init 0
		.amdhsa_user_sgpr_kernarg_preload_length 0
		.amdhsa_user_sgpr_kernarg_preload_offset 0
		.amdhsa_user_sgpr_private_segment_size 0
		.amdhsa_uses_dynamic_stack 0
		.amdhsa_system_sgpr_private_segment_wavefront_offset 0
		.amdhsa_system_sgpr_workgroup_id_x 1
		.amdhsa_system_sgpr_workgroup_id_y 0
		.amdhsa_system_sgpr_workgroup_id_z 0
		.amdhsa_system_sgpr_workgroup_info 0
		.amdhsa_system_vgpr_workitem_id 0
		.amdhsa_next_free_vgpr 1
		.amdhsa_next_free_sgpr 0
		.amdhsa_accum_offset 4
		.amdhsa_reserve_vcc 0
		.amdhsa_reserve_flat_scratch 0
		.amdhsa_float_round_mode_32 0
		.amdhsa_float_round_mode_16_64 0
		.amdhsa_float_denorm_mode_32 3
		.amdhsa_float_denorm_mode_16_64 3
		.amdhsa_dx10_clamp 1
		.amdhsa_ieee_mode 1
		.amdhsa_fp16_overflow 0
		.amdhsa_tg_split 0
		.amdhsa_exception_fp_ieee_invalid_op 0
		.amdhsa_exception_fp_denorm_src 0
		.amdhsa_exception_fp_ieee_div_zero 0
		.amdhsa_exception_fp_ieee_overflow 0
		.amdhsa_exception_fp_ieee_underflow 0
		.amdhsa_exception_fp_ieee_inexact 0
		.amdhsa_exception_int_div_zero 0
	.end_amdhsa_kernel
	.section	.text._ZL38rocblas_dot_kernel_gfx942_float_doubleIlLi1024EDF16_PKPKDF16_DF16_EviT2_lT_lS4_lS5_lPT3_PT1_,"axG",@progbits,_ZL38rocblas_dot_kernel_gfx942_float_doubleIlLi1024EDF16_PKPKDF16_DF16_EviT2_lT_lS4_lS5_lPT3_PT1_,comdat
.Lfunc_end151:
	.size	_ZL38rocblas_dot_kernel_gfx942_float_doubleIlLi1024EDF16_PKPKDF16_DF16_EviT2_lT_lS4_lS5_lPT3_PT1_, .Lfunc_end151-_ZL38rocblas_dot_kernel_gfx942_float_doubleIlLi1024EDF16_PKPKDF16_DF16_EviT2_lT_lS4_lS5_lPT3_PT1_
                                        ; -- End function
	.section	.AMDGPU.csdata,"",@progbits
; Kernel info:
; codeLenInByte = 4
; NumSgprs: 4
; NumVgprs: 0
; NumAgprs: 0
; TotalNumVgprs: 0
; ScratchSize: 0
; MemoryBound: 0
; FloatMode: 240
; IeeeMode: 1
; LDSByteSize: 0 bytes/workgroup (compile time only)
; SGPRBlocks: 0
; VGPRBlocks: 0
; NumSGPRsForWavesPerEU: 4
; NumVGPRsForWavesPerEU: 1
; AccumOffset: 4
; Occupancy: 8
; WaveLimiterHint : 0
; COMPUTE_PGM_RSRC2:SCRATCH_EN: 0
; COMPUTE_PGM_RSRC2:USER_SGPR: 6
; COMPUTE_PGM_RSRC2:TRAP_HANDLER: 0
; COMPUTE_PGM_RSRC2:TGID_X_EN: 1
; COMPUTE_PGM_RSRC2:TGID_Y_EN: 0
; COMPUTE_PGM_RSRC2:TGID_Z_EN: 0
; COMPUTE_PGM_RSRC2:TIDIG_COMP_CNT: 0
; COMPUTE_PGM_RSRC3_GFX90A:ACCUM_OFFSET: 0
; COMPUTE_PGM_RSRC3_GFX90A:TG_SPLIT: 0
	.section	.text._ZL18rocblas_dot_kernelIlLb0ELi512ELi8ELb0EDF16_PKPKDF16_DF16_EviT5_lT_lS4_lS5_liPT6_PT4_,"axG",@progbits,_ZL18rocblas_dot_kernelIlLb0ELi512ELi8ELb0EDF16_PKPKDF16_DF16_EviT5_lT_lS4_lS5_liPT6_PT4_,comdat
	.globl	_ZL18rocblas_dot_kernelIlLb0ELi512ELi8ELb0EDF16_PKPKDF16_DF16_EviT5_lT_lS4_lS5_liPT6_PT4_ ; -- Begin function _ZL18rocblas_dot_kernelIlLb0ELi512ELi8ELb0EDF16_PKPKDF16_DF16_EviT5_lT_lS4_lS5_liPT6_PT4_
	.p2align	8
	.type	_ZL18rocblas_dot_kernelIlLb0ELi512ELi8ELb0EDF16_PKPKDF16_DF16_EviT5_lT_lS4_lS5_liPT6_PT4_,@function
_ZL18rocblas_dot_kernelIlLb0ELi512ELi8ELb0EDF16_PKPKDF16_DF16_EviT5_lT_lS4_lS5_liPT6_PT4_: ; @_ZL18rocblas_dot_kernelIlLb0ELi512ELi8ELb0EDF16_PKPKDF16_DF16_EviT5_lT_lS4_lS5_liPT6_PT4_
; %bb.0:
	s_mov_b32 s16, s7
	s_load_dword s20, s[4:5], 0x60
	s_load_dword s7, s[4:5], 0x0
	s_load_dwordx4 s[8:11], s[4:5], 0x50
	v_lshl_or_b32 v4, s6, 9, v0
	s_mov_b32 s17, 0
	v_mov_b32_e32 v6, 0
	s_waitcnt lgkmcnt(0)
	v_cmp_gt_i32_e32 vcc, s7, v4
	s_and_saveexec_b64 s[18:19], vcc
	s_cbranch_execz .LBB152_4
; %bb.1:
	s_load_dwordx2 s[22:23], s[4:5], 0x8
	s_load_dwordx4 s[12:15], s[4:5], 0x10
	s_load_dwordx2 s[24:25], s[4:5], 0x28
	s_load_dwordx4 s[0:3], s[4:5], 0x30
	s_lshl_b64 s[4:5], s[16:17], 3
	s_waitcnt lgkmcnt(0)
	s_add_u32 s22, s22, s4
	s_addc_u32 s23, s23, s5
	s_load_dwordx2 s[22:23], s[22:23], 0x0
	s_add_u32 s4, s24, s4
	s_addc_u32 s5, s25, s5
	s_load_dwordx2 s[24:25], s[4:5], 0x0
	v_ashrrev_i32_e32 v5, 31, v4
	v_mad_u64_u32 v[2:3], s[4:5], s14, v4, 0
	s_lshl_b32 s21, s20, 9
	v_mul_lo_u32 v6, s15, v4
	v_mul_lo_u32 v7, s14, v5
	s_lshl_b64 s[4:5], s[12:13], 1
	v_add3_u32 v3, v3, v7, v6
	s_waitcnt lgkmcnt(0)
	s_add_u32 s4, s22, s4
	v_lshlrev_b64 v[2:3], 1, v[2:3]
	s_addc_u32 s5, s23, s5
	s_ashr_i32 s22, s21, 31
	v_mov_b32_e32 v6, s5
	v_add_co_u32_e32 v2, vcc, s4, v2
	s_mul_i32 s4, s14, s22
	s_mul_hi_u32 s5, s14, s21
	s_add_i32 s4, s5, s4
	s_mul_i32 s5, s15, s21
	s_add_i32 s5, s4, s5
	s_mul_i32 s4, s14, s21
	v_add_u32_e32 v1, s21, v4
	v_addc_co_u32_e32 v3, vcc, v6, v3, vcc
	s_lshl_b64 s[4:5], s[4:5], 1
	v_mul_lo_u32 v6, s3, v4
	v_mul_lo_u32 v7, s2, v5
	v_mad_u64_u32 v[4:5], s[12:13], s2, v4, 0
	s_lshl_b64 s[0:1], s[0:1], 1
	v_add3_u32 v5, v5, v7, v6
	s_add_u32 s0, s24, s0
	v_lshlrev_b64 v[4:5], 1, v[4:5]
	s_addc_u32 s1, s25, s1
	v_mov_b32_e32 v6, s1
	v_add_co_u32_e32 v4, vcc, s0, v4
	s_mul_i32 s0, s2, s22
	s_mul_hi_u32 s1, s2, s21
	s_add_i32 s0, s1, s0
	s_mul_i32 s1, s3, s21
	s_add_i32 s1, s0, s1
	s_mul_i32 s0, s2, s21
	s_lshl_b64 s[12:13], s[0:1], 1
	v_addc_co_u32_e32 v5, vcc, v6, v5, vcc
	s_mov_b64 s[2:3], 0
	v_mov_b32_e32 v6, 0
	v_mov_b32_e32 v7, s5
	;; [unrolled: 1-line block ×3, first 2 shown]
	s_mov_b32 s5, s17
.LBB152_2:                              ; =>This Inner Loop Header: Depth=1
	global_load_ushort v9, v[4:5], off
	global_load_ushort v10, v[2:3], off
	v_add_co_u32_e64 v2, s[0:1], s4, v2
	v_addc_co_u32_e64 v3, s[0:1], v3, v7, s[0:1]
	s_add_i32 s13, s5, 1
	v_add_co_u32_e64 v4, s[0:1], s12, v4
	v_addc_co_u32_e64 v5, s[0:1], v5, v8, s[0:1]
	s_cmp_gt_u32 s5, 6
	v_cmp_le_i32_e32 vcc, s7, v1
	s_cselect_b64 s[0:1], -1, 0
	s_or_b64 s[0:1], s[0:1], vcc
	s_and_b64 s[0:1], exec, s[0:1]
	v_add_u32_e32 v1, s21, v1
	s_mov_b32 s5, s13
	s_or_b64 s[2:3], s[0:1], s[2:3]
	s_waitcnt vmcnt(0)
	v_fma_f16 v6, v9, v10, v6
	s_andn2_b64 exec, exec, s[2:3]
	s_cbranch_execnz .LBB152_2
; %bb.3:
	s_or_b64 exec, exec, s[2:3]
.LBB152_4:
	s_or_b64 exec, exec, s[18:19]
	v_and_b32_e32 v2, 63, v0
	v_cmp_gt_u32_e32 vcc, 64, v0
	v_lshlrev_b32_e32 v1, 1, v2
	s_and_saveexec_b64 s[0:1], vcc
	s_cbranch_execz .LBB152_6
; %bb.5:
	v_mov_b32_e32 v3, 0
	ds_write_b16 v1, v3
.LBB152_6:
	s_or_b64 exec, exec, s[0:1]
	v_mbcnt_lo_u32_b32 v3, -1, 0
	v_mbcnt_hi_u32_b32 v5, -1, v3
	v_and_b32_e32 v7, 63, v5
	v_cmp_gt_u32_e64 s[0:1], 32, v7
	v_cndmask_b32_e64 v4, 0, 1, s[0:1]
	v_lshlrev_b32_e32 v4, 5, v4
	v_and_b32_e32 v3, 0xffff, v6
	v_add_lshl_u32 v4, v4, v5, 2
	ds_bpermute_b32 v3, v4, v3
	v_cmp_gt_u32_e64 s[0:1], 48, v7
	s_mov_b32 s2, 0xffff0000
	s_waitcnt lgkmcnt(0)
	s_barrier
	v_add_f16_e32 v4, v6, v3
	v_cndmask_b32_e64 v6, 0, 1, s[0:1]
	v_lshlrev_b32_e32 v6, 4, v6
	v_and_or_b32 v3, v3, s2, v4
	v_add_lshl_u32 v6, v6, v5, 2
	ds_bpermute_b32 v3, v6, v3
	v_cmp_gt_u32_e64 s[0:1], 56, v7
	v_cndmask_b32_e64 v6, 0, 1, s[0:1]
	v_lshlrev_b32_e32 v6, 3, v6
	v_add_lshl_u32 v6, v6, v5, 2
	s_waitcnt lgkmcnt(0)
	v_add_f16_e32 v4, v4, v3
	v_and_or_b32 v3, v3, s2, v4
	ds_bpermute_b32 v3, v6, v3
	v_cmp_gt_u32_e64 s[0:1], 60, v7
	s_waitcnt lgkmcnt(0)
	v_add_f16_e32 v4, v4, v3
	v_and_or_b32 v6, v3, s2, v4
	v_cndmask_b32_e64 v3, 0, 1, s[0:1]
	v_lshlrev_b32_e32 v3, 2, v3
	v_add_lshl_u32 v3, v3, v5, 2
	ds_bpermute_b32 v6, v3, v6
	v_cmp_gt_u32_e64 s[0:1], 62, v7
	s_waitcnt lgkmcnt(0)
	v_add_f16_e32 v8, v4, v6
	v_cndmask_b32_e64 v4, 0, 1, s[0:1]
	v_lshlrev_b32_e32 v4, 1, v4
	v_and_or_b32 v6, v6, s2, v8
	v_add_lshl_u32 v4, v4, v5, 2
	ds_bpermute_b32 v9, v4, v6
	v_cmp_ne_u32_e64 s[0:1], 63, v7
	v_addc_co_u32_e64 v5, s[0:1], 0, v5, s[0:1]
	v_lshlrev_b32_e32 v5, 2, v5
	s_waitcnt lgkmcnt(0)
	v_add_f16_e32 v6, v8, v9
	v_and_or_b32 v8, v9, s2, v6
	ds_bpermute_b32 v7, v5, v8
	v_cmp_eq_u32_e64 s[0:1], 0, v2
	s_and_saveexec_b64 s[2:3], s[0:1]
	s_cbranch_execz .LBB152_8
; %bb.7:
	s_waitcnt lgkmcnt(0)
	v_add_f16_e32 v2, v6, v7
	v_lshrrev_b32_e32 v6, 5, v0
	v_and_b32_e32 v6, 14, v6
	ds_write_b16 v6, v2
.LBB152_8:
	s_or_b64 exec, exec, s[2:3]
	v_cmp_gt_u32_e64 s[0:1], 8, v0
	v_mov_b32_e32 v2, 0
	s_waitcnt lgkmcnt(0)
	s_barrier
	s_and_saveexec_b64 s[2:3], s[0:1]
	s_cbranch_execnz .LBB152_12
; %bb.9:
	s_or_b64 exec, exec, s[2:3]
	s_and_saveexec_b64 s[0:1], vcc
	s_cbranch_execnz .LBB152_13
.LBB152_10:
	s_or_b64 exec, exec, s[0:1]
	v_cmp_eq_u32_e32 vcc, 0, v0
	s_and_saveexec_b64 s[0:1], vcc
	s_cbranch_execnz .LBB152_14
.LBB152_11:
	s_endpgm
.LBB152_12:
	ds_read_u16 v2, v1
	s_or_b64 exec, exec, s[2:3]
	s_and_saveexec_b64 s[0:1], vcc
	s_cbranch_execz .LBB152_10
.LBB152_13:
	s_waitcnt lgkmcnt(0)
	v_and_b32_e32 v1, 0xffff, v2
	ds_bpermute_b32 v1, v3, v1
	s_mov_b32 s2, 0xffff0000
	s_waitcnt lgkmcnt(0)
	v_add_f16_e32 v2, v2, v1
	v_and_or_b32 v1, v1, s2, v2
	ds_bpermute_b32 v1, v4, v1
	s_waitcnt lgkmcnt(0)
	v_add_f16_e32 v2, v2, v1
	v_and_or_b32 v1, v1, s2, v2
	ds_bpermute_b32 v1, v5, v1
	s_waitcnt lgkmcnt(0)
	v_add_f16_e32 v2, v2, v1
	s_or_b64 exec, exec, s[0:1]
	v_cmp_eq_u32_e32 vcc, 0, v0
	s_and_saveexec_b64 s[0:1], vcc
	s_cbranch_execz .LBB152_11
.LBB152_14:
	s_cmp_lg_u32 s20, 1
	s_cbranch_scc0 .LBB152_16
; %bb.15:
	s_mul_hi_u32 s1, s20, s16
	s_mul_i32 s0, s20, s16
	s_lshl_b64 s[0:1], s[0:1], 1
	s_mov_b32 s7, 0
	s_add_u32 s2, s8, s0
	s_addc_u32 s3, s9, s1
	s_lshl_b64 s[0:1], s[6:7], 1
	s_add_u32 s0, s2, s0
	s_addc_u32 s1, s3, s1
	s_cbranch_execz .LBB152_17
	s_branch .LBB152_18
.LBB152_16:
                                        ; implicit-def: $sgpr0_sgpr1
.LBB152_17:
	s_lshl_b64 s[0:1], s[16:17], 1
	s_add_u32 s0, s10, s0
	s_addc_u32 s1, s11, s1
.LBB152_18:
	v_mov_b32_e32 v0, 0
	s_waitcnt lgkmcnt(0)
	global_store_short v0, v2, s[0:1]
	s_endpgm
	.section	.rodata,"a",@progbits
	.p2align	6, 0x0
	.amdhsa_kernel _ZL18rocblas_dot_kernelIlLb0ELi512ELi8ELb0EDF16_PKPKDF16_DF16_EviT5_lT_lS4_lS5_liPT6_PT4_
		.amdhsa_group_segment_fixed_size 128
		.amdhsa_private_segment_fixed_size 0
		.amdhsa_kernarg_size 352
		.amdhsa_user_sgpr_count 6
		.amdhsa_user_sgpr_private_segment_buffer 1
		.amdhsa_user_sgpr_dispatch_ptr 0
		.amdhsa_user_sgpr_queue_ptr 0
		.amdhsa_user_sgpr_kernarg_segment_ptr 1
		.amdhsa_user_sgpr_dispatch_id 0
		.amdhsa_user_sgpr_flat_scratch_init 0
		.amdhsa_user_sgpr_kernarg_preload_length 0
		.amdhsa_user_sgpr_kernarg_preload_offset 0
		.amdhsa_user_sgpr_private_segment_size 0
		.amdhsa_uses_dynamic_stack 0
		.amdhsa_system_sgpr_private_segment_wavefront_offset 0
		.amdhsa_system_sgpr_workgroup_id_x 1
		.amdhsa_system_sgpr_workgroup_id_y 0
		.amdhsa_system_sgpr_workgroup_id_z 1
		.amdhsa_system_sgpr_workgroup_info 0
		.amdhsa_system_vgpr_workitem_id 0
		.amdhsa_next_free_vgpr 11
		.amdhsa_next_free_sgpr 26
		.amdhsa_accum_offset 12
		.amdhsa_reserve_vcc 1
		.amdhsa_reserve_flat_scratch 0
		.amdhsa_float_round_mode_32 0
		.amdhsa_float_round_mode_16_64 0
		.amdhsa_float_denorm_mode_32 3
		.amdhsa_float_denorm_mode_16_64 3
		.amdhsa_dx10_clamp 1
		.amdhsa_ieee_mode 1
		.amdhsa_fp16_overflow 0
		.amdhsa_tg_split 0
		.amdhsa_exception_fp_ieee_invalid_op 0
		.amdhsa_exception_fp_denorm_src 0
		.amdhsa_exception_fp_ieee_div_zero 0
		.amdhsa_exception_fp_ieee_overflow 0
		.amdhsa_exception_fp_ieee_underflow 0
		.amdhsa_exception_fp_ieee_inexact 0
		.amdhsa_exception_int_div_zero 0
	.end_amdhsa_kernel
	.section	.text._ZL18rocblas_dot_kernelIlLb0ELi512ELi8ELb0EDF16_PKPKDF16_DF16_EviT5_lT_lS4_lS5_liPT6_PT4_,"axG",@progbits,_ZL18rocblas_dot_kernelIlLb0ELi512ELi8ELb0EDF16_PKPKDF16_DF16_EviT5_lT_lS4_lS5_liPT6_PT4_,comdat
.Lfunc_end152:
	.size	_ZL18rocblas_dot_kernelIlLb0ELi512ELi8ELb0EDF16_PKPKDF16_DF16_EviT5_lT_lS4_lS5_liPT6_PT4_, .Lfunc_end152-_ZL18rocblas_dot_kernelIlLb0ELi512ELi8ELb0EDF16_PKPKDF16_DF16_EviT5_lT_lS4_lS5_liPT6_PT4_
                                        ; -- End function
	.section	.AMDGPU.csdata,"",@progbits
; Kernel info:
; codeLenInByte = 1140
; NumSgprs: 30
; NumVgprs: 11
; NumAgprs: 0
; TotalNumVgprs: 11
; ScratchSize: 0
; MemoryBound: 0
; FloatMode: 240
; IeeeMode: 1
; LDSByteSize: 128 bytes/workgroup (compile time only)
; SGPRBlocks: 3
; VGPRBlocks: 1
; NumSGPRsForWavesPerEU: 30
; NumVGPRsForWavesPerEU: 11
; AccumOffset: 12
; Occupancy: 8
; WaveLimiterHint : 0
; COMPUTE_PGM_RSRC2:SCRATCH_EN: 0
; COMPUTE_PGM_RSRC2:USER_SGPR: 6
; COMPUTE_PGM_RSRC2:TRAP_HANDLER: 0
; COMPUTE_PGM_RSRC2:TGID_X_EN: 1
; COMPUTE_PGM_RSRC2:TGID_Y_EN: 0
; COMPUTE_PGM_RSRC2:TGID_Z_EN: 1
; COMPUTE_PGM_RSRC2:TIDIG_COMP_CNT: 0
; COMPUTE_PGM_RSRC3_GFX90A:ACCUM_OFFSET: 2
; COMPUTE_PGM_RSRC3_GFX90A:TG_SPLIT: 0
	.section	.text._ZL24rocblas_dot_kernel_magsqIlLb0ELi512ELi8ELb0EDF16_PKPKDF16_DF16_EviT5_lT_liPT6_PT4_,"axG",@progbits,_ZL24rocblas_dot_kernel_magsqIlLb0ELi512ELi8ELb0EDF16_PKPKDF16_DF16_EviT5_lT_liPT6_PT4_,comdat
	.globl	_ZL24rocblas_dot_kernel_magsqIlLb0ELi512ELi8ELb0EDF16_PKPKDF16_DF16_EviT5_lT_liPT6_PT4_ ; -- Begin function _ZL24rocblas_dot_kernel_magsqIlLb0ELi512ELi8ELb0EDF16_PKPKDF16_DF16_EviT5_lT_liPT6_PT4_
	.p2align	8
	.type	_ZL24rocblas_dot_kernel_magsqIlLb0ELi512ELi8ELb0EDF16_PKPKDF16_DF16_EviT5_lT_liPT6_PT4_,@function
_ZL24rocblas_dot_kernel_magsqIlLb0ELi512ELi8ELb0EDF16_PKPKDF16_DF16_EviT5_lT_liPT6_PT4_: ; @_ZL24rocblas_dot_kernel_magsqIlLb0ELi512ELi8ELb0EDF16_PKPKDF16_DF16_EviT5_lT_liPT6_PT4_
; %bb.0:
	s_mov_b32 s2, s7
	s_load_dword s7, s[4:5], 0x0
	s_load_dwordx4 s[8:11], s[4:5], 0x30
	s_load_dword s16, s[4:5], 0x40
	v_lshl_or_b32 v2, s6, 9, v0
	s_mov_b32 s3, 0
	s_waitcnt lgkmcnt(0)
	v_cmp_gt_i32_e32 vcc, s7, v2
	v_mov_b32_e32 v4, 0
	s_and_saveexec_b64 s[12:13], vcc
	s_cbranch_execz .LBB153_4
; %bb.1:
	s_load_dwordx2 s[0:1], s[4:5], 0x8
	s_load_dwordx4 s[20:23], s[4:5], 0x10
	s_lshl_b64 s[4:5], s[2:3], 3
	v_ashrrev_i32_e32 v3, 31, v2
	s_waitcnt lgkmcnt(0)
	s_add_u32 s0, s0, s4
	s_addc_u32 s1, s1, s5
	s_load_dwordx2 s[0:1], s[0:1], 0x0
	s_lshl_b32 s17, s16, 9
	v_add_u32_e32 v1, s17, v2
	v_mul_lo_u32 v4, s23, v2
	v_mul_lo_u32 v5, s22, v3
	v_mad_u64_u32 v[2:3], s[4:5], s22, v2, 0
	v_add3_u32 v3, v3, v5, v4
	s_lshl_b64 s[4:5], s[20:21], 1
	v_lshlrev_b64 v[2:3], 1, v[2:3]
	s_waitcnt lgkmcnt(0)
	s_add_u32 s0, s0, s4
	s_addc_u32 s1, s1, s5
	v_add_co_u32_e32 v2, vcc, s0, v2
	s_ashr_i32 s0, s17, 31
	v_mov_b32_e32 v4, s1
	s_mul_i32 s0, s22, s0
	s_mul_hi_u32 s1, s22, s17
	s_add_i32 s0, s1, s0
	s_mul_i32 s1, s23, s17
	s_add_i32 s1, s0, s1
	s_mul_i32 s0, s22, s17
	s_lshl_b64 s[14:15], s[0:1], 1
	v_addc_co_u32_e32 v3, vcc, v4, v3, vcc
	s_mov_b64 s[4:5], 0
	v_mov_b32_e32 v4, 0
	v_mov_b32_e32 v5, s15
	s_mov_b32 s15, s3
.LBB153_2:                              ; =>This Inner Loop Header: Depth=1
	global_load_ushort v6, v[2:3], off
	s_add_i32 s18, s15, 1
	v_add_co_u32_e64 v2, s[0:1], s14, v2
	v_addc_co_u32_e64 v3, s[0:1], v3, v5, s[0:1]
	s_cmp_gt_u32 s15, 6
	v_cmp_le_i32_e32 vcc, s7, v1
	s_cselect_b64 s[0:1], -1, 0
	s_or_b64 s[0:1], s[0:1], vcc
	s_and_b64 s[0:1], exec, s[0:1]
	v_add_u32_e32 v1, s17, v1
	s_mov_b32 s15, s18
	s_or_b64 s[4:5], s[0:1], s[4:5]
	s_waitcnt vmcnt(0)
	v_fma_f16 v4, v6, v6, v4
	s_andn2_b64 exec, exec, s[4:5]
	s_cbranch_execnz .LBB153_2
; %bb.3:
	s_or_b64 exec, exec, s[4:5]
.LBB153_4:
	s_or_b64 exec, exec, s[12:13]
	v_and_b32_e32 v2, 63, v0
	v_cmp_gt_u32_e32 vcc, 64, v0
	v_lshlrev_b32_e32 v1, 1, v2
	s_and_saveexec_b64 s[0:1], vcc
	s_cbranch_execz .LBB153_6
; %bb.5:
	v_mov_b32_e32 v3, 0
	ds_write_b16 v1, v3
.LBB153_6:
	s_or_b64 exec, exec, s[0:1]
	v_mbcnt_lo_u32_b32 v3, -1, 0
	v_mbcnt_hi_u32_b32 v5, -1, v3
	v_and_b32_e32 v7, 63, v5
	v_cmp_gt_u32_e64 s[0:1], 32, v7
	v_cndmask_b32_e64 v6, 0, 1, s[0:1]
	v_lshlrev_b32_e32 v6, 5, v6
	v_and_b32_e32 v3, 0xffff, v4
	v_add_lshl_u32 v6, v6, v5, 2
	ds_bpermute_b32 v3, v6, v3
	v_cmp_gt_u32_e64 s[0:1], 48, v7
	v_cndmask_b32_e64 v6, 0, 1, s[0:1]
	s_mov_b32 s4, 0xffff0000
	v_lshlrev_b32_e32 v6, 4, v6
	s_waitcnt lgkmcnt(0)
	v_add_f16_e32 v4, v4, v3
	v_and_or_b32 v3, v3, s4, v4
	v_add_lshl_u32 v6, v6, v5, 2
	ds_bpermute_b32 v3, v6, v3
	v_cmp_gt_u32_e64 s[0:1], 56, v7
	v_cndmask_b32_e64 v6, 0, 1, s[0:1]
	v_lshlrev_b32_e32 v6, 3, v6
	v_add_lshl_u32 v6, v6, v5, 2
	s_waitcnt lgkmcnt(0)
	v_add_f16_e32 v4, v4, v3
	v_and_or_b32 v3, v3, s4, v4
	ds_bpermute_b32 v3, v6, v3
	v_cmp_gt_u32_e64 s[0:1], 60, v7
	s_waitcnt lgkmcnt(0)
	s_barrier
	v_add_f16_e32 v4, v4, v3
	v_and_or_b32 v6, v3, s4, v4
	v_cndmask_b32_e64 v3, 0, 1, s[0:1]
	v_lshlrev_b32_e32 v3, 2, v3
	v_add_lshl_u32 v3, v3, v5, 2
	ds_bpermute_b32 v6, v3, v6
	v_cmp_gt_u32_e64 s[0:1], 62, v7
	s_waitcnt lgkmcnt(0)
	v_add_f16_e32 v8, v4, v6
	v_cndmask_b32_e64 v4, 0, 1, s[0:1]
	v_lshlrev_b32_e32 v4, 1, v4
	v_and_or_b32 v6, v6, s4, v8
	v_add_lshl_u32 v4, v4, v5, 2
	ds_bpermute_b32 v9, v4, v6
	v_cmp_ne_u32_e64 s[0:1], 63, v7
	v_addc_co_u32_e64 v5, s[0:1], 0, v5, s[0:1]
	v_lshlrev_b32_e32 v5, 2, v5
	s_waitcnt lgkmcnt(0)
	v_add_f16_e32 v6, v8, v9
	v_and_or_b32 v8, v9, s4, v6
	ds_bpermute_b32 v7, v5, v8
	v_cmp_eq_u32_e64 s[0:1], 0, v2
	s_and_saveexec_b64 s[4:5], s[0:1]
	s_cbranch_execz .LBB153_8
; %bb.7:
	s_waitcnt lgkmcnt(0)
	v_add_f16_e32 v2, v6, v7
	v_lshrrev_b32_e32 v6, 5, v0
	v_and_b32_e32 v6, 14, v6
	ds_write_b16 v6, v2
.LBB153_8:
	s_or_b64 exec, exec, s[4:5]
	v_cmp_gt_u32_e64 s[0:1], 8, v0
	v_mov_b32_e32 v2, 0
	s_waitcnt lgkmcnt(0)
	s_barrier
	s_and_saveexec_b64 s[4:5], s[0:1]
	s_cbranch_execnz .LBB153_12
; %bb.9:
	s_or_b64 exec, exec, s[4:5]
	s_and_saveexec_b64 s[0:1], vcc
	s_cbranch_execnz .LBB153_13
.LBB153_10:
	s_or_b64 exec, exec, s[0:1]
	v_cmp_eq_u32_e32 vcc, 0, v0
	s_and_saveexec_b64 s[0:1], vcc
	s_cbranch_execnz .LBB153_14
.LBB153_11:
	s_endpgm
.LBB153_12:
	ds_read_u16 v2, v1
	s_or_b64 exec, exec, s[4:5]
	s_and_saveexec_b64 s[0:1], vcc
	s_cbranch_execz .LBB153_10
.LBB153_13:
	s_waitcnt lgkmcnt(0)
	v_and_b32_e32 v1, 0xffff, v2
	ds_bpermute_b32 v1, v3, v1
	s_mov_b32 s4, 0xffff0000
	s_waitcnt lgkmcnt(0)
	v_add_f16_e32 v2, v2, v1
	v_and_or_b32 v1, v1, s4, v2
	ds_bpermute_b32 v1, v4, v1
	s_waitcnt lgkmcnt(0)
	v_add_f16_e32 v2, v2, v1
	v_and_or_b32 v1, v1, s4, v2
	ds_bpermute_b32 v1, v5, v1
	s_waitcnt lgkmcnt(0)
	v_add_f16_e32 v2, v2, v1
	s_or_b64 exec, exec, s[0:1]
	v_cmp_eq_u32_e32 vcc, 0, v0
	s_and_saveexec_b64 s[0:1], vcc
	s_cbranch_execz .LBB153_11
.LBB153_14:
	s_cmp_lg_u32 s16, 1
	s_cbranch_scc0 .LBB153_16
; %bb.15:
	s_mul_hi_u32 s1, s16, s2
	s_mul_i32 s0, s16, s2
	s_lshl_b64 s[0:1], s[0:1], 1
	s_mov_b32 s7, 0
	s_add_u32 s4, s8, s0
	s_addc_u32 s5, s9, s1
	s_lshl_b64 s[0:1], s[6:7], 1
	s_add_u32 s0, s4, s0
	s_addc_u32 s1, s5, s1
	s_cbranch_execz .LBB153_17
	s_branch .LBB153_18
.LBB153_16:
                                        ; implicit-def: $sgpr0_sgpr1
.LBB153_17:
	s_lshl_b64 s[0:1], s[2:3], 1
	s_add_u32 s0, s10, s0
	s_addc_u32 s1, s11, s1
.LBB153_18:
	v_mov_b32_e32 v0, 0
	s_waitcnt lgkmcnt(0)
	global_store_short v0, v2, s[0:1]
	s_endpgm
	.section	.rodata,"a",@progbits
	.p2align	6, 0x0
	.amdhsa_kernel _ZL24rocblas_dot_kernel_magsqIlLb0ELi512ELi8ELb0EDF16_PKPKDF16_DF16_EviT5_lT_liPT6_PT4_
		.amdhsa_group_segment_fixed_size 128
		.amdhsa_private_segment_fixed_size 0
		.amdhsa_kernarg_size 320
		.amdhsa_user_sgpr_count 6
		.amdhsa_user_sgpr_private_segment_buffer 1
		.amdhsa_user_sgpr_dispatch_ptr 0
		.amdhsa_user_sgpr_queue_ptr 0
		.amdhsa_user_sgpr_kernarg_segment_ptr 1
		.amdhsa_user_sgpr_dispatch_id 0
		.amdhsa_user_sgpr_flat_scratch_init 0
		.amdhsa_user_sgpr_kernarg_preload_length 0
		.amdhsa_user_sgpr_kernarg_preload_offset 0
		.amdhsa_user_sgpr_private_segment_size 0
		.amdhsa_uses_dynamic_stack 0
		.amdhsa_system_sgpr_private_segment_wavefront_offset 0
		.amdhsa_system_sgpr_workgroup_id_x 1
		.amdhsa_system_sgpr_workgroup_id_y 0
		.amdhsa_system_sgpr_workgroup_id_z 1
		.amdhsa_system_sgpr_workgroup_info 0
		.amdhsa_system_vgpr_workitem_id 0
		.amdhsa_next_free_vgpr 10
		.amdhsa_next_free_sgpr 24
		.amdhsa_accum_offset 12
		.amdhsa_reserve_vcc 1
		.amdhsa_reserve_flat_scratch 0
		.amdhsa_float_round_mode_32 0
		.amdhsa_float_round_mode_16_64 0
		.amdhsa_float_denorm_mode_32 3
		.amdhsa_float_denorm_mode_16_64 3
		.amdhsa_dx10_clamp 1
		.amdhsa_ieee_mode 1
		.amdhsa_fp16_overflow 0
		.amdhsa_tg_split 0
		.amdhsa_exception_fp_ieee_invalid_op 0
		.amdhsa_exception_fp_denorm_src 0
		.amdhsa_exception_fp_ieee_div_zero 0
		.amdhsa_exception_fp_ieee_overflow 0
		.amdhsa_exception_fp_ieee_underflow 0
		.amdhsa_exception_fp_ieee_inexact 0
		.amdhsa_exception_int_div_zero 0
	.end_amdhsa_kernel
	.section	.text._ZL24rocblas_dot_kernel_magsqIlLb0ELi512ELi8ELb0EDF16_PKPKDF16_DF16_EviT5_lT_liPT6_PT4_,"axG",@progbits,_ZL24rocblas_dot_kernel_magsqIlLb0ELi512ELi8ELb0EDF16_PKPKDF16_DF16_EviT5_lT_liPT6_PT4_,comdat
.Lfunc_end153:
	.size	_ZL24rocblas_dot_kernel_magsqIlLb0ELi512ELi8ELb0EDF16_PKPKDF16_DF16_EviT5_lT_liPT6_PT4_, .Lfunc_end153-_ZL24rocblas_dot_kernel_magsqIlLb0ELi512ELi8ELb0EDF16_PKPKDF16_DF16_EviT5_lT_liPT6_PT4_
                                        ; -- End function
	.section	.AMDGPU.csdata,"",@progbits
; Kernel info:
; codeLenInByte = 988
; NumSgprs: 28
; NumVgprs: 10
; NumAgprs: 0
; TotalNumVgprs: 10
; ScratchSize: 0
; MemoryBound: 0
; FloatMode: 240
; IeeeMode: 1
; LDSByteSize: 128 bytes/workgroup (compile time only)
; SGPRBlocks: 3
; VGPRBlocks: 1
; NumSGPRsForWavesPerEU: 28
; NumVGPRsForWavesPerEU: 10
; AccumOffset: 12
; Occupancy: 8
; WaveLimiterHint : 0
; COMPUTE_PGM_RSRC2:SCRATCH_EN: 0
; COMPUTE_PGM_RSRC2:USER_SGPR: 6
; COMPUTE_PGM_RSRC2:TRAP_HANDLER: 0
; COMPUTE_PGM_RSRC2:TGID_X_EN: 1
; COMPUTE_PGM_RSRC2:TGID_Y_EN: 0
; COMPUTE_PGM_RSRC2:TGID_Z_EN: 1
; COMPUTE_PGM_RSRC2:TIDIG_COMP_CNT: 0
; COMPUTE_PGM_RSRC3_GFX90A:ACCUM_OFFSET: 2
; COMPUTE_PGM_RSRC3_GFX90A:TG_SPLIT: 0
	.section	.text._ZL28rocblas_dot_batched_4_kernelIiLi32ELi4ELb0Ef16rocblas_bfloat16PKPKS0_EviT5_lT_lS5_lS6_liPT4_,"axG",@progbits,_ZL28rocblas_dot_batched_4_kernelIiLi32ELi4ELb0Ef16rocblas_bfloat16PKPKS0_EviT5_lT_lS5_lS6_liPT4_,comdat
	.globl	_ZL28rocblas_dot_batched_4_kernelIiLi32ELi4ELb0Ef16rocblas_bfloat16PKPKS0_EviT5_lT_lS5_lS6_liPT4_ ; -- Begin function _ZL28rocblas_dot_batched_4_kernelIiLi32ELi4ELb0Ef16rocblas_bfloat16PKPKS0_EviT5_lT_lS5_lS6_liPT4_
	.p2align	8
	.type	_ZL28rocblas_dot_batched_4_kernelIiLi32ELi4ELb0Ef16rocblas_bfloat16PKPKS0_EviT5_lT_lS5_lS6_liPT4_,@function
_ZL28rocblas_dot_batched_4_kernelIiLi32ELi4ELb0Ef16rocblas_bfloat16PKPKS0_EviT5_lT_lS5_lS6_liPT4_: ; @_ZL28rocblas_dot_batched_4_kernelIiLi32ELi4ELb0Ef16rocblas_bfloat16PKPKS0_EviT5_lT_lS5_lS6_liPT4_
; %bb.0:
	s_load_dword s0, s[4:5], 0x48
	v_bfe_u32 v1, v0, 10, 10
	v_lshl_add_u32 v2, s6, 2, v1
	s_waitcnt lgkmcnt(0)
	v_cmp_gt_u32_e32 vcc, s0, v2
	s_and_saveexec_b64 s[0:1], vcc
	s_cbranch_execz .LBB154_11
; %bb.1:
	s_load_dword s14, s[4:5], 0x0
	s_load_dwordx2 s[6:7], s[4:5], 0x50
	v_mov_b32_e32 v3, 0
	v_and_b32_e32 v6, 0x3ff, v0
	v_mov_b32_e32 v7, v3
	s_waitcnt lgkmcnt(0)
	v_cmp_gt_i32_e32 vcc, s14, v6
	s_and_saveexec_b64 s[12:13], vcc
	s_cbranch_execz .LBB154_5
; %bb.2:
	s_load_dwordx4 s[0:3], s[4:5], 0x8
	s_load_dwordx4 s[8:11], s[4:5], 0x28
	v_lshlrev_b64 v[0:1], 3, v[2:3]
	s_load_dword s16, s[4:5], 0x18
	s_waitcnt lgkmcnt(0)
	v_mov_b32_e32 v5, s1
	v_add_co_u32_e32 v4, vcc, s0, v0
	v_addc_co_u32_e32 v5, vcc, v5, v1, vcc
	global_load_dwordx2 v[4:5], v[4:5], off
	v_mov_b32_e32 v7, s9
	v_add_co_u32_e32 v0, vcc, s8, v0
	v_addc_co_u32_e32 v1, vcc, v7, v1, vcc
	global_load_dwordx2 v[10:11], v[0:1], off
	s_load_dword s4, s[4:5], 0x38
	v_mad_i64_i32 v[0:1], s[8:9], s16, v6, 0
	s_lshl_b64 s[8:9], s[2:3], 1
	v_lshlrev_b64 v[0:1], 1, v[0:1]
	s_waitcnt lgkmcnt(0)
	v_mad_i64_i32 v[8:9], s[2:3], s4, v6, 0
	v_mov_b32_e32 v12, s9
	v_add_co_u32_e32 v0, vcc, s8, v0
	s_lshl_b64 s[10:11], s[10:11], 1
	v_lshlrev_b64 v[8:9], 1, v[8:9]
	v_addc_co_u32_e32 v1, vcc, v1, v12, vcc
	v_mov_b32_e32 v13, s11
	v_add_co_u32_e32 v12, vcc, s10, v8
	v_addc_co_u32_e32 v13, vcc, v9, v13, vcc
	s_ashr_i32 s17, s16, 31
	s_ashr_i32 s5, s4, 31
	s_lshl_b64 s[2:3], s[16:17], 6
	s_lshl_b64 s[4:5], s[4:5], 6
	s_mov_b64 s[0:1], 0
	v_mov_b32_e32 v7, 0
	v_mov_b32_e32 v8, s3
	;; [unrolled: 1-line block ×3, first 2 shown]
	s_waitcnt vmcnt(1)
	v_add_co_u32_e32 v0, vcc, v4, v0
	v_addc_co_u32_e32 v1, vcc, v5, v1, vcc
	s_waitcnt vmcnt(0)
	v_add_co_u32_e32 v4, vcc, v10, v12
	v_addc_co_u32_e32 v5, vcc, v11, v13, vcc
	v_mov_b32_e32 v10, v6
.LBB154_3:                              ; =>This Inner Loop Header: Depth=1
	global_load_ushort v11, v[0:1], off
	global_load_ushort v12, v[4:5], off
	v_add_co_u32_e32 v0, vcc, s2, v0
	v_addc_co_u32_e32 v1, vcc, v1, v8, vcc
	v_add_co_u32_e32 v4, vcc, s4, v4
	v_add_u32_e32 v10, 32, v10
	v_addc_co_u32_e32 v5, vcc, v5, v9, vcc
	v_cmp_le_i32_e32 vcc, s14, v10
	s_or_b64 s[0:1], vcc, s[0:1]
	s_waitcnt vmcnt(1)
	v_lshlrev_b32_e32 v11, 16, v11
	s_waitcnt vmcnt(0)
	v_lshlrev_b32_e32 v12, 16, v12
	v_fmac_f32_e32 v7, v12, v11
	s_andn2_b64 exec, exec, s[0:1]
	s_cbranch_execnz .LBB154_3
; %bb.4:
	s_or_b64 exec, exec, s[0:1]
.LBB154_5:
	s_or_b64 exec, exec, s[12:13]
	v_mbcnt_lo_u32_b32 v0, -1, 0
	v_mbcnt_hi_u32_b32 v0, -1, v0
	v_and_b32_e32 v1, 63, v0
	v_cmp_gt_u32_e32 vcc, 48, v1
	v_cndmask_b32_e64 v4, 0, 1, vcc
	v_lshlrev_b32_e32 v4, 4, v4
	v_add_lshl_u32 v4, v4, v0, 2
	ds_bpermute_b32 v4, v4, v7
	v_cmp_gt_u32_e32 vcc, 56, v1
	v_cndmask_b32_e64 v5, 0, 1, vcc
	v_lshlrev_b32_e32 v5, 3, v5
	v_add_lshl_u32 v5, v5, v0, 2
	s_waitcnt lgkmcnt(0)
	v_add_f32_e32 v4, v7, v4
	ds_bpermute_b32 v5, v5, v4
	v_cmp_gt_u32_e32 vcc, 60, v1
	v_cndmask_b32_e64 v7, 0, 1, vcc
	v_lshlrev_b32_e32 v7, 2, v7
	v_cmp_gt_u32_e32 vcc, 62, v1
	s_waitcnt lgkmcnt(0)
	v_add_f32_e32 v4, v4, v5
	v_add_lshl_u32 v5, v7, v0, 2
	ds_bpermute_b32 v5, v5, v4
	v_cndmask_b32_e64 v7, 0, 1, vcc
	v_lshlrev_b32_e32 v7, 1, v7
	v_cmp_ne_u32_e32 vcc, 63, v1
	v_addc_co_u32_e32 v1, vcc, 0, v0, vcc
	s_waitcnt lgkmcnt(0)
	v_add_f32_e32 v4, v4, v5
	v_add_lshl_u32 v5, v7, v0, 2
	ds_bpermute_b32 v5, v5, v4
	v_lshlrev_b32_e32 v1, 2, v1
	v_cmp_eq_u32_e32 vcc, 0, v6
	s_waitcnt lgkmcnt(0)
	s_barrier
	v_add_f32_e32 v0, v4, v5
	ds_bpermute_b32 v1, v1, v0
	s_waitcnt lgkmcnt(0)
	s_and_b64 exec, exec, vcc
	s_cbranch_execz .LBB154_11
; %bb.6:
	v_add_f32_e32 v1, v0, v1
	s_mov_b32 s0, 0x7f800000
	v_and_b32_e32 v0, 0x7f800000, v1
	v_cmp_ne_u32_e32 vcc, s0, v0
                                        ; implicit-def: $vgpr0
	s_and_saveexec_b64 s[0:1], vcc
	s_xor_b64 s[0:1], exec, s[0:1]
; %bb.7:
	v_bfe_u32 v0, v1, 16, 1
	s_movk_i32 s2, 0x7fff
	v_add3_u32 v0, v1, v0, s2
                                        ; implicit-def: $vgpr1
; %bb.8:
	s_andn2_saveexec_b64 s[0:1], s[0:1]
; %bb.9:
	v_mov_b32_e32 v0, 0
	v_or_b32_e32 v4, 0x10000, v1
	v_cmp_eq_u32_sdwa vcc, v1, v0 src0_sel:WORD_0 src1_sel:DWORD
	v_cndmask_b32_e32 v0, v4, v1, vcc
; %bb.10:
	s_or_b64 exec, exec, s[0:1]
	v_lshlrev_b64 v[2:3], 1, v[2:3]
	v_mov_b32_e32 v1, s7
	v_add_co_u32_e32 v2, vcc, s6, v2
	v_addc_co_u32_e32 v3, vcc, v1, v3, vcc
	global_store_short_d16_hi v[2:3], v0, off
.LBB154_11:
	s_endpgm
	.section	.rodata,"a",@progbits
	.p2align	6, 0x0
	.amdhsa_kernel _ZL28rocblas_dot_batched_4_kernelIiLi32ELi4ELb0Ef16rocblas_bfloat16PKPKS0_EviT5_lT_lS5_lS6_liPT4_
		.amdhsa_group_segment_fixed_size 0
		.amdhsa_private_segment_fixed_size 0
		.amdhsa_kernarg_size 88
		.amdhsa_user_sgpr_count 6
		.amdhsa_user_sgpr_private_segment_buffer 1
		.amdhsa_user_sgpr_dispatch_ptr 0
		.amdhsa_user_sgpr_queue_ptr 0
		.amdhsa_user_sgpr_kernarg_segment_ptr 1
		.amdhsa_user_sgpr_dispatch_id 0
		.amdhsa_user_sgpr_flat_scratch_init 0
		.amdhsa_user_sgpr_kernarg_preload_length 0
		.amdhsa_user_sgpr_kernarg_preload_offset 0
		.amdhsa_user_sgpr_private_segment_size 0
		.amdhsa_uses_dynamic_stack 0
		.amdhsa_system_sgpr_private_segment_wavefront_offset 0
		.amdhsa_system_sgpr_workgroup_id_x 1
		.amdhsa_system_sgpr_workgroup_id_y 0
		.amdhsa_system_sgpr_workgroup_id_z 0
		.amdhsa_system_sgpr_workgroup_info 0
		.amdhsa_system_vgpr_workitem_id 1
		.amdhsa_next_free_vgpr 14
		.amdhsa_next_free_sgpr 18
		.amdhsa_accum_offset 16
		.amdhsa_reserve_vcc 1
		.amdhsa_reserve_flat_scratch 0
		.amdhsa_float_round_mode_32 0
		.amdhsa_float_round_mode_16_64 0
		.amdhsa_float_denorm_mode_32 3
		.amdhsa_float_denorm_mode_16_64 3
		.amdhsa_dx10_clamp 1
		.amdhsa_ieee_mode 1
		.amdhsa_fp16_overflow 0
		.amdhsa_tg_split 0
		.amdhsa_exception_fp_ieee_invalid_op 0
		.amdhsa_exception_fp_denorm_src 0
		.amdhsa_exception_fp_ieee_div_zero 0
		.amdhsa_exception_fp_ieee_overflow 0
		.amdhsa_exception_fp_ieee_underflow 0
		.amdhsa_exception_fp_ieee_inexact 0
		.amdhsa_exception_int_div_zero 0
	.end_amdhsa_kernel
	.section	.text._ZL28rocblas_dot_batched_4_kernelIiLi32ELi4ELb0Ef16rocblas_bfloat16PKPKS0_EviT5_lT_lS5_lS6_liPT4_,"axG",@progbits,_ZL28rocblas_dot_batched_4_kernelIiLi32ELi4ELb0Ef16rocblas_bfloat16PKPKS0_EviT5_lT_lS5_lS6_liPT4_,comdat
.Lfunc_end154:
	.size	_ZL28rocblas_dot_batched_4_kernelIiLi32ELi4ELb0Ef16rocblas_bfloat16PKPKS0_EviT5_lT_lS5_lS6_liPT4_, .Lfunc_end154-_ZL28rocblas_dot_batched_4_kernelIiLi32ELi4ELb0Ef16rocblas_bfloat16PKPKS0_EviT5_lT_lS5_lS6_liPT4_
                                        ; -- End function
	.section	.AMDGPU.csdata,"",@progbits
; Kernel info:
; codeLenInByte = 716
; NumSgprs: 22
; NumVgprs: 14
; NumAgprs: 0
; TotalNumVgprs: 14
; ScratchSize: 0
; MemoryBound: 0
; FloatMode: 240
; IeeeMode: 1
; LDSByteSize: 0 bytes/workgroup (compile time only)
; SGPRBlocks: 2
; VGPRBlocks: 1
; NumSGPRsForWavesPerEU: 22
; NumVGPRsForWavesPerEU: 14
; AccumOffset: 16
; Occupancy: 8
; WaveLimiterHint : 0
; COMPUTE_PGM_RSRC2:SCRATCH_EN: 0
; COMPUTE_PGM_RSRC2:USER_SGPR: 6
; COMPUTE_PGM_RSRC2:TRAP_HANDLER: 0
; COMPUTE_PGM_RSRC2:TGID_X_EN: 1
; COMPUTE_PGM_RSRC2:TGID_Y_EN: 0
; COMPUTE_PGM_RSRC2:TGID_Z_EN: 0
; COMPUTE_PGM_RSRC2:TIDIG_COMP_CNT: 1
; COMPUTE_PGM_RSRC3_GFX90A:ACCUM_OFFSET: 3
; COMPUTE_PGM_RSRC3_GFX90A:TG_SPLIT: 0
	.section	.text._ZL28rocblas_dot_batched_4_kernelIiLi64ELi4ELb0Ef16rocblas_bfloat16PKPKS0_EviT5_lT_lS5_lS6_liPT4_,"axG",@progbits,_ZL28rocblas_dot_batched_4_kernelIiLi64ELi4ELb0Ef16rocblas_bfloat16PKPKS0_EviT5_lT_lS5_lS6_liPT4_,comdat
	.globl	_ZL28rocblas_dot_batched_4_kernelIiLi64ELi4ELb0Ef16rocblas_bfloat16PKPKS0_EviT5_lT_lS5_lS6_liPT4_ ; -- Begin function _ZL28rocblas_dot_batched_4_kernelIiLi64ELi4ELb0Ef16rocblas_bfloat16PKPKS0_EviT5_lT_lS5_lS6_liPT4_
	.p2align	8
	.type	_ZL28rocblas_dot_batched_4_kernelIiLi64ELi4ELb0Ef16rocblas_bfloat16PKPKS0_EviT5_lT_lS5_lS6_liPT4_,@function
_ZL28rocblas_dot_batched_4_kernelIiLi64ELi4ELb0Ef16rocblas_bfloat16PKPKS0_EviT5_lT_lS5_lS6_liPT4_: ; @_ZL28rocblas_dot_batched_4_kernelIiLi64ELi4ELb0Ef16rocblas_bfloat16PKPKS0_EviT5_lT_lS5_lS6_liPT4_
; %bb.0:
	s_load_dword s0, s[4:5], 0x48
	v_bfe_u32 v1, v0, 10, 10
	v_lshl_add_u32 v2, s6, 2, v1
	s_waitcnt lgkmcnt(0)
	v_cmp_gt_u32_e32 vcc, s0, v2
	s_and_saveexec_b64 s[0:1], vcc
	s_cbranch_execz .LBB155_11
; %bb.1:
	s_load_dword s14, s[4:5], 0x0
	s_load_dwordx2 s[6:7], s[4:5], 0x50
	v_mov_b32_e32 v3, 0
	v_and_b32_e32 v6, 0x3ff, v0
	v_mov_b32_e32 v7, v3
	s_waitcnt lgkmcnt(0)
	v_cmp_gt_i32_e32 vcc, s14, v6
	s_and_saveexec_b64 s[12:13], vcc
	s_cbranch_execz .LBB155_5
; %bb.2:
	s_load_dwordx4 s[0:3], s[4:5], 0x8
	s_load_dwordx4 s[8:11], s[4:5], 0x28
	v_lshlrev_b64 v[0:1], 3, v[2:3]
	s_load_dword s16, s[4:5], 0x18
	s_waitcnt lgkmcnt(0)
	v_mov_b32_e32 v5, s1
	v_add_co_u32_e32 v4, vcc, s0, v0
	v_addc_co_u32_e32 v5, vcc, v5, v1, vcc
	global_load_dwordx2 v[4:5], v[4:5], off
	v_mov_b32_e32 v7, s9
	v_add_co_u32_e32 v0, vcc, s8, v0
	v_addc_co_u32_e32 v1, vcc, v7, v1, vcc
	global_load_dwordx2 v[10:11], v[0:1], off
	s_load_dword s4, s[4:5], 0x38
	v_mad_i64_i32 v[0:1], s[8:9], s16, v6, 0
	s_lshl_b64 s[8:9], s[2:3], 1
	v_lshlrev_b64 v[0:1], 1, v[0:1]
	s_waitcnt lgkmcnt(0)
	v_mad_i64_i32 v[8:9], s[2:3], s4, v6, 0
	v_mov_b32_e32 v12, s9
	v_add_co_u32_e32 v0, vcc, s8, v0
	s_lshl_b64 s[10:11], s[10:11], 1
	v_lshlrev_b64 v[8:9], 1, v[8:9]
	v_addc_co_u32_e32 v1, vcc, v1, v12, vcc
	v_mov_b32_e32 v13, s11
	v_add_co_u32_e32 v12, vcc, s10, v8
	v_addc_co_u32_e32 v13, vcc, v9, v13, vcc
	s_ashr_i32 s17, s16, 31
	s_ashr_i32 s5, s4, 31
	s_lshl_b64 s[2:3], s[16:17], 7
	s_lshl_b64 s[4:5], s[4:5], 7
	s_mov_b64 s[0:1], 0
	v_mov_b32_e32 v7, 0
	v_mov_b32_e32 v8, s3
	;; [unrolled: 1-line block ×3, first 2 shown]
	s_waitcnt vmcnt(1)
	v_add_co_u32_e32 v0, vcc, v4, v0
	v_addc_co_u32_e32 v1, vcc, v5, v1, vcc
	s_waitcnt vmcnt(0)
	v_add_co_u32_e32 v4, vcc, v10, v12
	v_addc_co_u32_e32 v5, vcc, v11, v13, vcc
	v_mov_b32_e32 v10, v6
.LBB155_3:                              ; =>This Inner Loop Header: Depth=1
	global_load_ushort v11, v[0:1], off
	global_load_ushort v12, v[4:5], off
	v_add_co_u32_e32 v0, vcc, s2, v0
	v_addc_co_u32_e32 v1, vcc, v1, v8, vcc
	v_add_co_u32_e32 v4, vcc, s4, v4
	v_add_u32_e32 v10, 64, v10
	v_addc_co_u32_e32 v5, vcc, v5, v9, vcc
	v_cmp_le_i32_e32 vcc, s14, v10
	s_or_b64 s[0:1], vcc, s[0:1]
	s_waitcnt vmcnt(1)
	v_lshlrev_b32_e32 v11, 16, v11
	s_waitcnt vmcnt(0)
	v_lshlrev_b32_e32 v12, 16, v12
	v_fmac_f32_e32 v7, v12, v11
	s_andn2_b64 exec, exec, s[0:1]
	s_cbranch_execnz .LBB155_3
; %bb.4:
	s_or_b64 exec, exec, s[0:1]
.LBB155_5:
	s_or_b64 exec, exec, s[12:13]
	v_mbcnt_lo_u32_b32 v0, -1, 0
	v_mbcnt_hi_u32_b32 v0, -1, v0
	v_and_b32_e32 v1, 63, v0
	v_cmp_gt_u32_e32 vcc, 32, v1
	v_cndmask_b32_e64 v4, 0, 1, vcc
	v_lshlrev_b32_e32 v4, 5, v4
	v_add_lshl_u32 v4, v4, v0, 2
	ds_bpermute_b32 v4, v4, v7
	v_cmp_gt_u32_e32 vcc, 48, v1
	v_cndmask_b32_e64 v5, 0, 1, vcc
	v_lshlrev_b32_e32 v5, 4, v5
	v_add_lshl_u32 v5, v5, v0, 2
	s_waitcnt lgkmcnt(0)
	v_add_f32_e32 v4, v7, v4
	ds_bpermute_b32 v5, v5, v4
	v_cmp_gt_u32_e32 vcc, 56, v1
	v_cndmask_b32_e64 v7, 0, 1, vcc
	v_lshlrev_b32_e32 v7, 3, v7
	v_cmp_gt_u32_e32 vcc, 60, v1
	s_waitcnt lgkmcnt(0)
	v_add_f32_e32 v4, v4, v5
	v_add_lshl_u32 v5, v7, v0, 2
	ds_bpermute_b32 v5, v5, v4
	v_cndmask_b32_e64 v7, 0, 1, vcc
	v_lshlrev_b32_e32 v7, 2, v7
	v_cmp_gt_u32_e32 vcc, 62, v1
	s_waitcnt lgkmcnt(0)
	v_add_f32_e32 v4, v4, v5
	v_add_lshl_u32 v5, v7, v0, 2
	ds_bpermute_b32 v5, v5, v4
	v_cndmask_b32_e64 v7, 0, 1, vcc
	v_lshlrev_b32_e32 v7, 1, v7
	v_cmp_ne_u32_e32 vcc, 63, v1
	v_addc_co_u32_e32 v1, vcc, 0, v0, vcc
	s_waitcnt lgkmcnt(0)
	v_add_f32_e32 v4, v4, v5
	v_add_lshl_u32 v5, v7, v0, 2
	ds_bpermute_b32 v5, v5, v4
	v_lshlrev_b32_e32 v1, 2, v1
	v_cmp_eq_u32_e32 vcc, 0, v6
	s_barrier
	s_waitcnt lgkmcnt(0)
	v_add_f32_e32 v0, v4, v5
	ds_bpermute_b32 v1, v1, v0
	s_and_b64 exec, exec, vcc
	s_cbranch_execz .LBB155_11
; %bb.6:
	s_waitcnt lgkmcnt(0)
	v_add_f32_e32 v1, v0, v1
	s_mov_b32 s0, 0x7f800000
	v_and_b32_e32 v0, 0x7f800000, v1
	v_cmp_ne_u32_e32 vcc, s0, v0
                                        ; implicit-def: $vgpr0
	s_and_saveexec_b64 s[0:1], vcc
	s_xor_b64 s[0:1], exec, s[0:1]
; %bb.7:
	v_bfe_u32 v0, v1, 16, 1
	s_movk_i32 s2, 0x7fff
	v_add3_u32 v0, v1, v0, s2
                                        ; implicit-def: $vgpr1
; %bb.8:
	s_andn2_saveexec_b64 s[0:1], s[0:1]
; %bb.9:
	v_mov_b32_e32 v0, 0
	v_or_b32_e32 v4, 0x10000, v1
	v_cmp_eq_u32_sdwa vcc, v1, v0 src0_sel:WORD_0 src1_sel:DWORD
	v_cndmask_b32_e32 v0, v4, v1, vcc
; %bb.10:
	s_or_b64 exec, exec, s[0:1]
	v_lshlrev_b64 v[2:3], 1, v[2:3]
	v_mov_b32_e32 v1, s7
	v_add_co_u32_e32 v2, vcc, s6, v2
	v_addc_co_u32_e32 v3, vcc, v1, v3, vcc
	global_store_short_d16_hi v[2:3], v0, off
.LBB155_11:
	s_endpgm
	.section	.rodata,"a",@progbits
	.p2align	6, 0x0
	.amdhsa_kernel _ZL28rocblas_dot_batched_4_kernelIiLi64ELi4ELb0Ef16rocblas_bfloat16PKPKS0_EviT5_lT_lS5_lS6_liPT4_
		.amdhsa_group_segment_fixed_size 0
		.amdhsa_private_segment_fixed_size 0
		.amdhsa_kernarg_size 88
		.amdhsa_user_sgpr_count 6
		.amdhsa_user_sgpr_private_segment_buffer 1
		.amdhsa_user_sgpr_dispatch_ptr 0
		.amdhsa_user_sgpr_queue_ptr 0
		.amdhsa_user_sgpr_kernarg_segment_ptr 1
		.amdhsa_user_sgpr_dispatch_id 0
		.amdhsa_user_sgpr_flat_scratch_init 0
		.amdhsa_user_sgpr_kernarg_preload_length 0
		.amdhsa_user_sgpr_kernarg_preload_offset 0
		.amdhsa_user_sgpr_private_segment_size 0
		.amdhsa_uses_dynamic_stack 0
		.amdhsa_system_sgpr_private_segment_wavefront_offset 0
		.amdhsa_system_sgpr_workgroup_id_x 1
		.amdhsa_system_sgpr_workgroup_id_y 0
		.amdhsa_system_sgpr_workgroup_id_z 0
		.amdhsa_system_sgpr_workgroup_info 0
		.amdhsa_system_vgpr_workitem_id 1
		.amdhsa_next_free_vgpr 14
		.amdhsa_next_free_sgpr 18
		.amdhsa_accum_offset 16
		.amdhsa_reserve_vcc 1
		.amdhsa_reserve_flat_scratch 0
		.amdhsa_float_round_mode_32 0
		.amdhsa_float_round_mode_16_64 0
		.amdhsa_float_denorm_mode_32 3
		.amdhsa_float_denorm_mode_16_64 3
		.amdhsa_dx10_clamp 1
		.amdhsa_ieee_mode 1
		.amdhsa_fp16_overflow 0
		.amdhsa_tg_split 0
		.amdhsa_exception_fp_ieee_invalid_op 0
		.amdhsa_exception_fp_denorm_src 0
		.amdhsa_exception_fp_ieee_div_zero 0
		.amdhsa_exception_fp_ieee_overflow 0
		.amdhsa_exception_fp_ieee_underflow 0
		.amdhsa_exception_fp_ieee_inexact 0
		.amdhsa_exception_int_div_zero 0
	.end_amdhsa_kernel
	.section	.text._ZL28rocblas_dot_batched_4_kernelIiLi64ELi4ELb0Ef16rocblas_bfloat16PKPKS0_EviT5_lT_lS5_lS6_liPT4_,"axG",@progbits,_ZL28rocblas_dot_batched_4_kernelIiLi64ELi4ELb0Ef16rocblas_bfloat16PKPKS0_EviT5_lT_lS5_lS6_liPT4_,comdat
.Lfunc_end155:
	.size	_ZL28rocblas_dot_batched_4_kernelIiLi64ELi4ELb0Ef16rocblas_bfloat16PKPKS0_EviT5_lT_lS5_lS6_liPT4_, .Lfunc_end155-_ZL28rocblas_dot_batched_4_kernelIiLi64ELi4ELb0Ef16rocblas_bfloat16PKPKS0_EviT5_lT_lS5_lS6_liPT4_
                                        ; -- End function
	.section	.AMDGPU.csdata,"",@progbits
; Kernel info:
; codeLenInByte = 756
; NumSgprs: 22
; NumVgprs: 14
; NumAgprs: 0
; TotalNumVgprs: 14
; ScratchSize: 0
; MemoryBound: 0
; FloatMode: 240
; IeeeMode: 1
; LDSByteSize: 0 bytes/workgroup (compile time only)
; SGPRBlocks: 2
; VGPRBlocks: 1
; NumSGPRsForWavesPerEU: 22
; NumVGPRsForWavesPerEU: 14
; AccumOffset: 16
; Occupancy: 8
; WaveLimiterHint : 0
; COMPUTE_PGM_RSRC2:SCRATCH_EN: 0
; COMPUTE_PGM_RSRC2:USER_SGPR: 6
; COMPUTE_PGM_RSRC2:TRAP_HANDLER: 0
; COMPUTE_PGM_RSRC2:TGID_X_EN: 1
; COMPUTE_PGM_RSRC2:TGID_Y_EN: 0
; COMPUTE_PGM_RSRC2:TGID_Z_EN: 0
; COMPUTE_PGM_RSRC2:TIDIG_COMP_CNT: 1
; COMPUTE_PGM_RSRC3_GFX90A:ACCUM_OFFSET: 3
; COMPUTE_PGM_RSRC3_GFX90A:TG_SPLIT: 0
	.section	.text._ZL26rocblas_dot_kernel_inc1by2ILb1ELi1024ELi32ELb0E16rocblas_bfloat16PKPKS0_fEviT4_llS5_lliPT5_PT3_,"axG",@progbits,_ZL26rocblas_dot_kernel_inc1by2ILb1ELi1024ELi32ELb0E16rocblas_bfloat16PKPKS0_fEviT4_llS5_lliPT5_PT3_,comdat
	.globl	_ZL26rocblas_dot_kernel_inc1by2ILb1ELi1024ELi32ELb0E16rocblas_bfloat16PKPKS0_fEviT4_llS5_lliPT5_PT3_ ; -- Begin function _ZL26rocblas_dot_kernel_inc1by2ILb1ELi1024ELi32ELb0E16rocblas_bfloat16PKPKS0_fEviT4_llS5_lliPT5_PT3_
	.p2align	8
	.type	_ZL26rocblas_dot_kernel_inc1by2ILb1ELi1024ELi32ELb0E16rocblas_bfloat16PKPKS0_fEviT4_llS5_lliPT5_PT3_,@function
_ZL26rocblas_dot_kernel_inc1by2ILb1ELi1024ELi32ELb0E16rocblas_bfloat16PKPKS0_fEviT4_llS5_lliPT5_PT3_: ; @_ZL26rocblas_dot_kernel_inc1by2ILb1ELi1024ELi32ELb0E16rocblas_bfloat16PKPKS0_fEviT4_llS5_lliPT5_PT3_
; %bb.0:
	s_load_dword s20, s[4:5], 0x0
	s_load_dwordx4 s[0:3], s[4:5], 0x8
	s_load_dwordx2 s[12:13], s[4:5], 0x48
	s_load_dwordx4 s[8:11], s[4:5], 0x20
	s_mov_b32 s6, s7
	s_mov_b32 s7, 0
	s_lshl_b64 s[14:15], s[6:7], 3
	s_waitcnt lgkmcnt(0)
	s_add_u32 s0, s0, s14
	s_addc_u32 s1, s1, s15
	s_load_dwordx2 s[4:5], s[0:1], 0x0
	s_add_u32 s0, s8, s14
	s_addc_u32 s1, s9, s15
	s_load_dwordx2 s[14:15], s[0:1], 0x0
	v_lshlrev_b32_e32 v6, 1, v0
	s_add_i32 s8, s20, -1
	v_cmp_gt_i32_e32 vcc, s8, v6
	v_mov_b32_e32 v1, 0
	s_and_saveexec_b64 s[16:17], vcc
	s_cbranch_execz .LBB156_4
; %bb.1:
	s_lshl_b64 s[0:1], s[10:11], 1
	s_waitcnt lgkmcnt(0)
	s_add_u32 s0, s14, s0
	v_lshlrev_b32_e32 v4, 2, v0
	s_addc_u32 s1, s15, s1
	v_mov_b32_e32 v3, s1
	v_add_co_u32_e32 v2, vcc, s0, v4
	s_lshl_b64 s[0:1], s[2:3], 1
	s_add_u32 s0, s4, s0
	v_addc_co_u32_e32 v3, vcc, 0, v3, vcc
	s_addc_u32 s1, s5, s1
	v_mov_b32_e32 v5, s1
	v_add_co_u32_e32 v4, vcc, s0, v4
	v_mov_b32_e32 v1, 0
	v_addc_co_u32_e32 v5, vcc, 0, v5, vcc
	s_mov_b64 s[18:19], 0
	s_mov_b32 s9, s7
.LBB156_2:                              ; =>This Inner Loop Header: Depth=1
	global_load_dword v7, v[2:3], off
	global_load_dword v10, v[4:5], off
	s_add_i32 s21, s9, 1
	v_add_u32_e32 v6, 0x800, v6
	s_cmp_gt_u32 s9, 30
	v_add_co_u32_e32 v2, vcc, 0x1000, v2
	v_cmp_le_i32_e64 s[0:1], s8, v6
	s_cselect_b64 s[22:23], -1, 0
	v_addc_co_u32_e32 v3, vcc, 0, v3, vcc
	s_or_b64 s[0:1], s[22:23], s[0:1]
	v_add_co_u32_e32 v4, vcc, 0x1000, v4
	s_and_b64 s[0:1], exec, s[0:1]
	s_mov_b32 s9, s21
	v_addc_co_u32_e32 v5, vcc, 0, v5, vcc
	s_or_b64 s[18:19], s[0:1], s[18:19]
	s_waitcnt vmcnt(1)
	v_and_b32_e32 v9, 0xffff0000, v7
	v_lshlrev_b32_e32 v8, 16, v7
	s_waitcnt vmcnt(0)
	v_and_b32_e32 v11, 0xffff0000, v10
	v_lshlrev_b32_e32 v10, 16, v10
	v_pk_mul_f32 v[8:9], v[8:9], v[10:11]
	v_add_f32_e32 v1, v1, v8
	v_add_f32_e32 v1, v1, v9
	s_andn2_b64 exec, exec, s[18:19]
	s_cbranch_execnz .LBB156_2
; %bb.3:
	s_or_b64 exec, exec, s[18:19]
.LBB156_4:
	s_or_b64 exec, exec, s[16:17]
	s_bitcmp1_b32 s20, 0
	s_cselect_b64 s[0:1], -1, 0
	v_cmp_eq_u32_e32 vcc, s8, v6
	s_and_b64 s[16:17], s[0:1], vcc
	s_and_saveexec_b64 s[0:1], s[16:17]
	s_cbranch_execz .LBB156_6
; %bb.5:
	s_lshl_b64 s[2:3], s[2:3], 1
	s_waitcnt lgkmcnt(0)
	s_add_u32 s16, s4, s2
	s_addc_u32 s17, s5, s3
	s_lshl_b64 s[2:3], s[10:11], 1
	s_add_u32 s4, s14, s2
	s_mov_b32 s9, 0
	s_addc_u32 s5, s15, s3
	s_lshl_b64 s[2:3], s[8:9], 1
	s_add_u32 s4, s4, s2
	s_addc_u32 s5, s5, s3
	v_mov_b32_e32 v2, 0
	s_add_u32 s2, s16, s2
	s_addc_u32 s3, s17, s3
	global_load_ushort v3, v2, s[4:5]
	global_load_ushort v4, v2, s[2:3]
	s_waitcnt vmcnt(1)
	v_lshlrev_b32_e32 v2, 16, v3
	s_waitcnt vmcnt(0)
	v_lshlrev_b32_e32 v3, 16, v4
	v_fmac_f32_e32 v1, v3, v2
.LBB156_6:
	s_or_b64 exec, exec, s[0:1]
	v_and_b32_e32 v3, 63, v0
	v_cmp_gt_u32_e32 vcc, 64, v0
	v_lshlrev_b32_e32 v2, 2, v3
	s_and_saveexec_b64 s[0:1], vcc
	s_cbranch_execz .LBB156_8
; %bb.7:
	v_mov_b32_e32 v4, 0
	ds_write_b32 v2, v4
.LBB156_8:
	s_or_b64 exec, exec, s[0:1]
	v_mbcnt_lo_u32_b32 v4, -1, 0
	v_mbcnt_hi_u32_b32 v6, -1, v4
	v_and_b32_e32 v7, 63, v6
	v_cmp_gt_u32_e64 s[0:1], 32, v7
	v_cndmask_b32_e64 v4, 0, 1, s[0:1]
	v_lshlrev_b32_e32 v4, 5, v4
	v_add_lshl_u32 v4, v4, v6, 2
	ds_bpermute_b32 v4, v4, v1
	v_cmp_gt_u32_e64 s[0:1], 48, v7
	v_cndmask_b32_e64 v5, 0, 1, s[0:1]
	v_lshlrev_b32_e32 v5, 4, v5
	v_cmp_gt_u32_e64 s[0:1], 56, v7
	s_waitcnt lgkmcnt(0)
	v_add_f32_e32 v1, v1, v4
	v_add_lshl_u32 v4, v5, v6, 2
	ds_bpermute_b32 v4, v4, v1
	v_cndmask_b32_e64 v5, 0, 1, s[0:1]
	v_lshlrev_b32_e32 v5, 3, v5
	v_cmp_gt_u32_e64 s[0:1], 60, v7
	v_cndmask_b32_e64 v8, 0, 1, s[0:1]
	s_waitcnt lgkmcnt(0)
	v_add_f32_e32 v4, v1, v4
	v_add_lshl_u32 v1, v5, v6, 2
	ds_bpermute_b32 v5, v1, v4
	v_lshlrev_b32_e32 v8, 2, v8
	v_cmp_gt_u32_e64 s[0:1], 62, v7
	v_cndmask_b32_e64 v9, 0, 1, s[0:1]
	v_lshlrev_b32_e32 v9, 1, v9
	s_waitcnt lgkmcnt(0)
	v_add_f32_e32 v5, v4, v5
	v_add_lshl_u32 v4, v8, v6, 2
	ds_bpermute_b32 v8, v4, v5
	v_cmp_ne_u32_e64 s[0:1], 63, v7
	s_waitcnt lgkmcnt(0)
	s_barrier
	v_add_f32_e32 v8, v5, v8
	v_add_lshl_u32 v5, v9, v6, 2
	ds_bpermute_b32 v9, v5, v8
	v_addc_co_u32_e64 v6, s[0:1], 0, v6, s[0:1]
	v_lshlrev_b32_e32 v6, 2, v6
	v_cmp_eq_u32_e64 s[0:1], 0, v3
	s_waitcnt lgkmcnt(0)
	v_add_f32_e32 v7, v8, v9
	ds_bpermute_b32 v8, v6, v7
	s_and_saveexec_b64 s[2:3], s[0:1]
	s_cbranch_execz .LBB156_10
; %bb.9:
	s_waitcnt lgkmcnt(0)
	v_add_f32_e32 v3, v7, v8
	v_lshrrev_b32_e32 v7, 4, v0
	v_and_b32_e32 v7, 60, v7
	ds_write_b32 v7, v3
.LBB156_10:
	s_or_b64 exec, exec, s[2:3]
	v_cmp_gt_u32_e64 s[0:1], 16, v0
	v_mov_b32_e32 v3, 0
	s_waitcnt lgkmcnt(0)
	s_barrier
	s_and_saveexec_b64 s[2:3], s[0:1]
	s_cbranch_execnz .LBB156_14
; %bb.11:
	s_or_b64 exec, exec, s[2:3]
	s_and_saveexec_b64 s[0:1], vcc
	s_cbranch_execnz .LBB156_15
.LBB156_12:
	s_or_b64 exec, exec, s[0:1]
	v_cmp_eq_u32_e32 vcc, 0, v0
	s_and_saveexec_b64 s[0:1], vcc
	s_cbranch_execnz .LBB156_16
.LBB156_13:
	s_endpgm
.LBB156_14:
	ds_read_b32 v3, v2
	s_or_b64 exec, exec, s[2:3]
	s_and_saveexec_b64 s[0:1], vcc
	s_cbranch_execz .LBB156_12
.LBB156_15:
	s_waitcnt lgkmcnt(0)
	ds_bpermute_b32 v1, v1, v3
	s_waitcnt lgkmcnt(0)
	v_add_f32_e32 v1, v3, v1
	ds_bpermute_b32 v2, v4, v1
	s_waitcnt lgkmcnt(0)
	v_add_f32_e32 v1, v1, v2
	;; [unrolled: 3-line block ×4, first 2 shown]
	s_or_b64 exec, exec, s[0:1]
	v_cmp_eq_u32_e32 vcc, 0, v0
	s_and_saveexec_b64 s[0:1], vcc
	s_cbranch_execz .LBB156_13
.LBB156_16:
	s_mov_b32 s0, 0x7f800000
	s_waitcnt lgkmcnt(0)
	v_and_b32_e32 v0, 0x7f800000, v3
	v_cmp_ne_u32_e32 vcc, s0, v0
                                        ; implicit-def: $vgpr0
	s_and_saveexec_b64 s[0:1], vcc
	s_xor_b64 s[0:1], exec, s[0:1]
; %bb.17:
	v_bfe_u32 v0, v3, 16, 1
	s_movk_i32 s2, 0x7fff
	v_add3_u32 v0, v3, v0, s2
                                        ; implicit-def: $vgpr3
; %bb.18:
	s_andn2_saveexec_b64 s[0:1], s[0:1]
; %bb.19:
	v_mov_b32_e32 v0, 0
	v_or_b32_e32 v1, 0x10000, v3
	v_cmp_eq_u32_sdwa vcc, v3, v0 src0_sel:WORD_0 src1_sel:DWORD
	v_cndmask_b32_e32 v0, v1, v3, vcc
; %bb.20:
	s_or_b64 exec, exec, s[0:1]
	s_lshl_b64 s[0:1], s[6:7], 1
	s_add_u32 s0, s12, s0
	s_addc_u32 s1, s13, s1
	v_mov_b32_e32 v1, 0
	global_store_short_d16_hi v1, v0, s[0:1]
	s_endpgm
	.section	.rodata,"a",@progbits
	.p2align	6, 0x0
	.amdhsa_kernel _ZL26rocblas_dot_kernel_inc1by2ILb1ELi1024ELi32ELb0E16rocblas_bfloat16PKPKS0_fEviT4_llS5_lliPT5_PT3_
		.amdhsa_group_segment_fixed_size 256
		.amdhsa_private_segment_fixed_size 0
		.amdhsa_kernarg_size 80
		.amdhsa_user_sgpr_count 6
		.amdhsa_user_sgpr_private_segment_buffer 1
		.amdhsa_user_sgpr_dispatch_ptr 0
		.amdhsa_user_sgpr_queue_ptr 0
		.amdhsa_user_sgpr_kernarg_segment_ptr 1
		.amdhsa_user_sgpr_dispatch_id 0
		.amdhsa_user_sgpr_flat_scratch_init 0
		.amdhsa_user_sgpr_kernarg_preload_length 0
		.amdhsa_user_sgpr_kernarg_preload_offset 0
		.amdhsa_user_sgpr_private_segment_size 0
		.amdhsa_uses_dynamic_stack 0
		.amdhsa_system_sgpr_private_segment_wavefront_offset 0
		.amdhsa_system_sgpr_workgroup_id_x 1
		.amdhsa_system_sgpr_workgroup_id_y 0
		.amdhsa_system_sgpr_workgroup_id_z 1
		.amdhsa_system_sgpr_workgroup_info 0
		.amdhsa_system_vgpr_workitem_id 0
		.amdhsa_next_free_vgpr 12
		.amdhsa_next_free_sgpr 24
		.amdhsa_accum_offset 12
		.amdhsa_reserve_vcc 1
		.amdhsa_reserve_flat_scratch 0
		.amdhsa_float_round_mode_32 0
		.amdhsa_float_round_mode_16_64 0
		.amdhsa_float_denorm_mode_32 3
		.amdhsa_float_denorm_mode_16_64 3
		.amdhsa_dx10_clamp 1
		.amdhsa_ieee_mode 1
		.amdhsa_fp16_overflow 0
		.amdhsa_tg_split 0
		.amdhsa_exception_fp_ieee_invalid_op 0
		.amdhsa_exception_fp_denorm_src 0
		.amdhsa_exception_fp_ieee_div_zero 0
		.amdhsa_exception_fp_ieee_overflow 0
		.amdhsa_exception_fp_ieee_underflow 0
		.amdhsa_exception_fp_ieee_inexact 0
		.amdhsa_exception_int_div_zero 0
	.end_amdhsa_kernel
	.section	.text._ZL26rocblas_dot_kernel_inc1by2ILb1ELi1024ELi32ELb0E16rocblas_bfloat16PKPKS0_fEviT4_llS5_lliPT5_PT3_,"axG",@progbits,_ZL26rocblas_dot_kernel_inc1by2ILb1ELi1024ELi32ELb0E16rocblas_bfloat16PKPKS0_fEviT4_llS5_lliPT5_PT3_,comdat
.Lfunc_end156:
	.size	_ZL26rocblas_dot_kernel_inc1by2ILb1ELi1024ELi32ELb0E16rocblas_bfloat16PKPKS0_fEviT4_llS5_lliPT5_PT3_, .Lfunc_end156-_ZL26rocblas_dot_kernel_inc1by2ILb1ELi1024ELi32ELb0E16rocblas_bfloat16PKPKS0_fEviT4_llS5_lliPT5_PT3_
                                        ; -- End function
	.section	.AMDGPU.csdata,"",@progbits
; Kernel info:
; codeLenInByte = 1068
; NumSgprs: 28
; NumVgprs: 12
; NumAgprs: 0
; TotalNumVgprs: 12
; ScratchSize: 0
; MemoryBound: 0
; FloatMode: 240
; IeeeMode: 1
; LDSByteSize: 256 bytes/workgroup (compile time only)
; SGPRBlocks: 3
; VGPRBlocks: 1
; NumSGPRsForWavesPerEU: 28
; NumVGPRsForWavesPerEU: 12
; AccumOffset: 12
; Occupancy: 8
; WaveLimiterHint : 1
; COMPUTE_PGM_RSRC2:SCRATCH_EN: 0
; COMPUTE_PGM_RSRC2:USER_SGPR: 6
; COMPUTE_PGM_RSRC2:TRAP_HANDLER: 0
; COMPUTE_PGM_RSRC2:TGID_X_EN: 1
; COMPUTE_PGM_RSRC2:TGID_Y_EN: 0
; COMPUTE_PGM_RSRC2:TGID_Z_EN: 1
; COMPUTE_PGM_RSRC2:TIDIG_COMP_CNT: 0
; COMPUTE_PGM_RSRC3_GFX90A:ACCUM_OFFSET: 2
; COMPUTE_PGM_RSRC3_GFX90A:TG_SPLIT: 0
	.section	.text._ZL18rocblas_dot_kernelIiLb1ELi1024ELi32ELb0E16rocblas_bfloat16PKPKS0_fEviT5_lT_lS5_lS6_liPT6_PT4_,"axG",@progbits,_ZL18rocblas_dot_kernelIiLb1ELi1024ELi32ELb0E16rocblas_bfloat16PKPKS0_fEviT5_lT_lS5_lS6_liPT6_PT4_,comdat
	.globl	_ZL18rocblas_dot_kernelIiLb1ELi1024ELi32ELb0E16rocblas_bfloat16PKPKS0_fEviT5_lT_lS5_lS6_liPT6_PT4_ ; -- Begin function _ZL18rocblas_dot_kernelIiLb1ELi1024ELi32ELb0E16rocblas_bfloat16PKPKS0_fEviT5_lT_lS5_lS6_liPT6_PT4_
	.p2align	8
	.type	_ZL18rocblas_dot_kernelIiLb1ELi1024ELi32ELb0E16rocblas_bfloat16PKPKS0_fEviT5_lT_lS5_lS6_liPT6_PT4_,@function
_ZL18rocblas_dot_kernelIiLb1ELi1024ELi32ELb0E16rocblas_bfloat16PKPKS0_fEviT5_lT_lS5_lS6_liPT6_PT4_: ; @_ZL18rocblas_dot_kernelIiLb1ELi1024ELi32ELb0E16rocblas_bfloat16PKPKS0_fEviT5_lT_lS5_lS6_liPT6_PT4_
; %bb.0:
	s_mov_b32 s2, s7
	s_load_dword s14, s[4:5], 0x0
	s_load_dwordx2 s[6:7], s[4:5], 0x58
	s_mov_b32 s3, 0
	v_mov_b32_e32 v1, 0
	s_waitcnt lgkmcnt(0)
	v_cmp_gt_i32_e32 vcc, s14, v0
	s_and_saveexec_b64 s[8:9], vcc
	s_cbranch_execz .LBB157_4
; %bb.1:
	s_load_dwordx4 s[16:19], s[4:5], 0x8
	s_load_dword s24, s[4:5], 0x18
	s_load_dwordx4 s[20:23], s[4:5], 0x28
	s_lshl_b64 s[0:1], s[2:3], 3
	s_waitcnt lgkmcnt(0)
	s_add_u32 s10, s16, s0
	s_addc_u32 s11, s17, s1
	s_load_dword s16, s[4:5], 0x38
	s_load_dword s15, s[4:5], 0x60
	s_load_dwordx2 s[12:13], s[10:11], 0x0
	s_add_u32 s0, s20, s0
	s_addc_u32 s1, s21, s1
	v_mad_i64_i32 v[2:3], s[4:5], s24, v0, 0
	s_load_dwordx2 s[0:1], s[0:1], 0x0
	s_waitcnt lgkmcnt(0)
	s_lshl_b32 s15, s15, 10
	s_lshl_b64 s[4:5], s[18:19], 1
	s_add_u32 s4, s12, s4
	v_lshlrev_b64 v[2:3], 1, v[2:3]
	s_addc_u32 s5, s13, s5
	v_mov_b32_e32 v1, s5
	v_add_co_u32_e32 v2, vcc, s4, v2
	s_mul_hi_i32 s5, s24, s15
	s_mul_i32 s4, s24, s15
	v_mad_i64_i32 v[4:5], s[10:11], s16, v0, 0
	s_lshl_b64 s[4:5], s[4:5], 1
	s_lshl_b64 s[10:11], s[22:23], 1
	s_add_u32 s0, s0, s10
	v_addc_co_u32_e32 v3, vcc, v1, v3, vcc
	v_lshlrev_b64 v[4:5], 1, v[4:5]
	s_addc_u32 s1, s1, s11
	v_mov_b32_e32 v1, s1
	v_add_co_u32_e32 v4, vcc, s0, v4
	s_mul_hi_i32 s1, s16, s15
	s_mul_i32 s0, s16, s15
	s_lshl_b64 s[12:13], s[0:1], 1
	v_or_b32_e32 v6, s15, v0
	v_addc_co_u32_e32 v5, vcc, v1, v5, vcc
	s_mov_b64 s[10:11], 0
	v_mov_b32_e32 v1, 0
	v_mov_b32_e32 v7, s5
	;; [unrolled: 1-line block ×3, first 2 shown]
	s_mov_b32 s5, s3
.LBB157_2:                              ; =>This Inner Loop Header: Depth=1
	global_load_ushort v9, v[4:5], off
	global_load_ushort v10, v[2:3], off
	v_add_co_u32_e64 v2, s[0:1], s4, v2
	v_addc_co_u32_e64 v3, s[0:1], v3, v7, s[0:1]
	s_add_i32 s13, s5, 1
	v_add_co_u32_e64 v4, s[0:1], s12, v4
	v_addc_co_u32_e64 v5, s[0:1], v5, v8, s[0:1]
	s_cmp_gt_u32 s5, 30
	v_cmp_le_i32_e32 vcc, s14, v6
	s_cselect_b64 s[0:1], -1, 0
	s_or_b64 s[0:1], s[0:1], vcc
	s_and_b64 s[0:1], exec, s[0:1]
	v_add_u32_e32 v6, s15, v6
	s_mov_b32 s5, s13
	s_or_b64 s[10:11], s[0:1], s[10:11]
	s_waitcnt vmcnt(1)
	v_lshlrev_b32_e32 v9, 16, v9
	s_waitcnt vmcnt(0)
	v_lshlrev_b32_e32 v10, 16, v10
	v_fmac_f32_e32 v1, v10, v9
	s_andn2_b64 exec, exec, s[10:11]
	s_cbranch_execnz .LBB157_2
; %bb.3:
	s_or_b64 exec, exec, s[10:11]
.LBB157_4:
	s_or_b64 exec, exec, s[8:9]
	v_and_b32_e32 v3, 63, v0
	v_cmp_gt_u32_e32 vcc, 64, v0
	v_lshlrev_b32_e32 v2, 2, v3
	s_and_saveexec_b64 s[0:1], vcc
	s_cbranch_execz .LBB157_6
; %bb.5:
	v_mov_b32_e32 v4, 0
	ds_write_b32 v2, v4
.LBB157_6:
	s_or_b64 exec, exec, s[0:1]
	v_mbcnt_lo_u32_b32 v4, -1, 0
	v_mbcnt_hi_u32_b32 v6, -1, v4
	v_and_b32_e32 v7, 63, v6
	v_cmp_gt_u32_e64 s[0:1], 32, v7
	v_cndmask_b32_e64 v4, 0, 1, s[0:1]
	v_lshlrev_b32_e32 v4, 5, v4
	v_add_lshl_u32 v4, v4, v6, 2
	ds_bpermute_b32 v4, v4, v1
	v_cmp_gt_u32_e64 s[0:1], 48, v7
	v_cndmask_b32_e64 v5, 0, 1, s[0:1]
	v_lshlrev_b32_e32 v5, 4, v5
	v_cmp_gt_u32_e64 s[0:1], 56, v7
	s_waitcnt lgkmcnt(0)
	v_add_f32_e32 v1, v1, v4
	v_add_lshl_u32 v4, v5, v6, 2
	ds_bpermute_b32 v4, v4, v1
	v_cndmask_b32_e64 v5, 0, 1, s[0:1]
	v_lshlrev_b32_e32 v5, 3, v5
	v_cmp_gt_u32_e64 s[0:1], 60, v7
	v_cndmask_b32_e64 v8, 0, 1, s[0:1]
	s_waitcnt lgkmcnt(0)
	v_add_f32_e32 v4, v1, v4
	v_add_lshl_u32 v1, v5, v6, 2
	ds_bpermute_b32 v5, v1, v4
	v_lshlrev_b32_e32 v8, 2, v8
	v_cmp_gt_u32_e64 s[0:1], 62, v7
	v_cndmask_b32_e64 v9, 0, 1, s[0:1]
	v_lshlrev_b32_e32 v9, 1, v9
	s_waitcnt lgkmcnt(0)
	v_add_f32_e32 v5, v4, v5
	v_add_lshl_u32 v4, v8, v6, 2
	ds_bpermute_b32 v8, v4, v5
	v_cmp_ne_u32_e64 s[0:1], 63, v7
	s_waitcnt lgkmcnt(0)
	s_barrier
	v_add_f32_e32 v8, v5, v8
	v_add_lshl_u32 v5, v9, v6, 2
	ds_bpermute_b32 v9, v5, v8
	v_addc_co_u32_e64 v6, s[0:1], 0, v6, s[0:1]
	v_lshlrev_b32_e32 v6, 2, v6
	v_cmp_eq_u32_e64 s[0:1], 0, v3
	s_waitcnt lgkmcnt(0)
	v_add_f32_e32 v7, v8, v9
	ds_bpermute_b32 v8, v6, v7
	s_and_saveexec_b64 s[4:5], s[0:1]
	s_cbranch_execz .LBB157_8
; %bb.7:
	s_waitcnt lgkmcnt(0)
	v_add_f32_e32 v3, v7, v8
	v_lshrrev_b32_e32 v7, 4, v0
	v_and_b32_e32 v7, 60, v7
	ds_write_b32 v7, v3
.LBB157_8:
	s_or_b64 exec, exec, s[4:5]
	v_cmp_gt_u32_e64 s[0:1], 16, v0
	v_mov_b32_e32 v3, 0
	s_waitcnt lgkmcnt(0)
	s_barrier
	s_and_saveexec_b64 s[4:5], s[0:1]
	s_cbranch_execnz .LBB157_12
; %bb.9:
	s_or_b64 exec, exec, s[4:5]
	s_and_saveexec_b64 s[0:1], vcc
	s_cbranch_execnz .LBB157_13
.LBB157_10:
	s_or_b64 exec, exec, s[0:1]
	v_cmp_eq_u32_e32 vcc, 0, v0
	s_and_saveexec_b64 s[0:1], vcc
	s_cbranch_execnz .LBB157_14
.LBB157_11:
	s_endpgm
.LBB157_12:
	ds_read_b32 v3, v2
	s_or_b64 exec, exec, s[4:5]
	s_and_saveexec_b64 s[0:1], vcc
	s_cbranch_execz .LBB157_10
.LBB157_13:
	s_waitcnt lgkmcnt(0)
	ds_bpermute_b32 v1, v1, v3
	s_waitcnt lgkmcnt(0)
	v_add_f32_e32 v1, v3, v1
	ds_bpermute_b32 v2, v4, v1
	s_waitcnt lgkmcnt(0)
	v_add_f32_e32 v1, v1, v2
	;; [unrolled: 3-line block ×4, first 2 shown]
	s_or_b64 exec, exec, s[0:1]
	v_cmp_eq_u32_e32 vcc, 0, v0
	s_and_saveexec_b64 s[0:1], vcc
	s_cbranch_execz .LBB157_11
.LBB157_14:
	s_mov_b32 s0, 0x7f800000
	s_waitcnt lgkmcnt(0)
	v_and_b32_e32 v0, 0x7f800000, v3
	v_cmp_ne_u32_e32 vcc, s0, v0
                                        ; implicit-def: $vgpr0
	s_and_saveexec_b64 s[0:1], vcc
	s_xor_b64 s[0:1], exec, s[0:1]
; %bb.15:
	v_bfe_u32 v0, v3, 16, 1
	s_movk_i32 s4, 0x7fff
	v_add3_u32 v0, v3, v0, s4
                                        ; implicit-def: $vgpr3
; %bb.16:
	s_andn2_saveexec_b64 s[0:1], s[0:1]
; %bb.17:
	v_mov_b32_e32 v0, 0
	v_or_b32_e32 v1, 0x10000, v3
	v_cmp_eq_u32_sdwa vcc, v3, v0 src0_sel:WORD_0 src1_sel:DWORD
	v_cndmask_b32_e32 v0, v1, v3, vcc
; %bb.18:
	s_or_b64 exec, exec, s[0:1]
	s_lshl_b64 s[0:1], s[2:3], 1
	s_add_u32 s0, s6, s0
	s_addc_u32 s1, s7, s1
	v_mov_b32_e32 v1, 0
	global_store_short_d16_hi v1, v0, s[0:1]
	s_endpgm
	.section	.rodata,"a",@progbits
	.p2align	6, 0x0
	.amdhsa_kernel _ZL18rocblas_dot_kernelIiLb1ELi1024ELi32ELb0E16rocblas_bfloat16PKPKS0_fEviT5_lT_lS5_lS6_liPT6_PT4_
		.amdhsa_group_segment_fixed_size 256
		.amdhsa_private_segment_fixed_size 0
		.amdhsa_kernarg_size 352
		.amdhsa_user_sgpr_count 6
		.amdhsa_user_sgpr_private_segment_buffer 1
		.amdhsa_user_sgpr_dispatch_ptr 0
		.amdhsa_user_sgpr_queue_ptr 0
		.amdhsa_user_sgpr_kernarg_segment_ptr 1
		.amdhsa_user_sgpr_dispatch_id 0
		.amdhsa_user_sgpr_flat_scratch_init 0
		.amdhsa_user_sgpr_kernarg_preload_length 0
		.amdhsa_user_sgpr_kernarg_preload_offset 0
		.amdhsa_user_sgpr_private_segment_size 0
		.amdhsa_uses_dynamic_stack 0
		.amdhsa_system_sgpr_private_segment_wavefront_offset 0
		.amdhsa_system_sgpr_workgroup_id_x 1
		.amdhsa_system_sgpr_workgroup_id_y 0
		.amdhsa_system_sgpr_workgroup_id_z 1
		.amdhsa_system_sgpr_workgroup_info 0
		.amdhsa_system_vgpr_workitem_id 0
		.amdhsa_next_free_vgpr 11
		.amdhsa_next_free_sgpr 25
		.amdhsa_accum_offset 12
		.amdhsa_reserve_vcc 1
		.amdhsa_reserve_flat_scratch 0
		.amdhsa_float_round_mode_32 0
		.amdhsa_float_round_mode_16_64 0
		.amdhsa_float_denorm_mode_32 3
		.amdhsa_float_denorm_mode_16_64 3
		.amdhsa_dx10_clamp 1
		.amdhsa_ieee_mode 1
		.amdhsa_fp16_overflow 0
		.amdhsa_tg_split 0
		.amdhsa_exception_fp_ieee_invalid_op 0
		.amdhsa_exception_fp_denorm_src 0
		.amdhsa_exception_fp_ieee_div_zero 0
		.amdhsa_exception_fp_ieee_overflow 0
		.amdhsa_exception_fp_ieee_underflow 0
		.amdhsa_exception_fp_ieee_inexact 0
		.amdhsa_exception_int_div_zero 0
	.end_amdhsa_kernel
	.section	.text._ZL18rocblas_dot_kernelIiLb1ELi1024ELi32ELb0E16rocblas_bfloat16PKPKS0_fEviT5_lT_lS5_lS6_liPT6_PT4_,"axG",@progbits,_ZL18rocblas_dot_kernelIiLb1ELi1024ELi32ELb0E16rocblas_bfloat16PKPKS0_fEviT5_lT_lS5_lS6_liPT6_PT4_,comdat
.Lfunc_end157:
	.size	_ZL18rocblas_dot_kernelIiLb1ELi1024ELi32ELb0E16rocblas_bfloat16PKPKS0_fEviT5_lT_lS5_lS6_liPT6_PT4_, .Lfunc_end157-_ZL18rocblas_dot_kernelIiLb1ELi1024ELi32ELb0E16rocblas_bfloat16PKPKS0_fEviT5_lT_lS5_lS6_liPT6_PT4_
                                        ; -- End function
	.section	.AMDGPU.csdata,"",@progbits
; Kernel info:
; codeLenInByte = 1008
; NumSgprs: 29
; NumVgprs: 11
; NumAgprs: 0
; TotalNumVgprs: 11
; ScratchSize: 0
; MemoryBound: 0
; FloatMode: 240
; IeeeMode: 1
; LDSByteSize: 256 bytes/workgroup (compile time only)
; SGPRBlocks: 3
; VGPRBlocks: 1
; NumSGPRsForWavesPerEU: 29
; NumVGPRsForWavesPerEU: 11
; AccumOffset: 12
; Occupancy: 8
; WaveLimiterHint : 0
; COMPUTE_PGM_RSRC2:SCRATCH_EN: 0
; COMPUTE_PGM_RSRC2:USER_SGPR: 6
; COMPUTE_PGM_RSRC2:TRAP_HANDLER: 0
; COMPUTE_PGM_RSRC2:TGID_X_EN: 1
; COMPUTE_PGM_RSRC2:TGID_Y_EN: 0
; COMPUTE_PGM_RSRC2:TGID_Z_EN: 1
; COMPUTE_PGM_RSRC2:TIDIG_COMP_CNT: 0
; COMPUTE_PGM_RSRC3_GFX90A:ACCUM_OFFSET: 2
; COMPUTE_PGM_RSRC3_GFX90A:TG_SPLIT: 0
	.section	.text._ZL24rocblas_dot_kernel_magsqIiLb1ELi1024ELi32ELb0E16rocblas_bfloat16PKPKS0_fEviT5_lT_liPT6_PT4_,"axG",@progbits,_ZL24rocblas_dot_kernel_magsqIiLb1ELi1024ELi32ELb0E16rocblas_bfloat16PKPKS0_fEviT5_lT_liPT6_PT4_,comdat
	.globl	_ZL24rocblas_dot_kernel_magsqIiLb1ELi1024ELi32ELb0E16rocblas_bfloat16PKPKS0_fEviT5_lT_liPT6_PT4_ ; -- Begin function _ZL24rocblas_dot_kernel_magsqIiLb1ELi1024ELi32ELb0E16rocblas_bfloat16PKPKS0_fEviT5_lT_liPT6_PT4_
	.p2align	8
	.type	_ZL24rocblas_dot_kernel_magsqIiLb1ELi1024ELi32ELb0E16rocblas_bfloat16PKPKS0_fEviT5_lT_liPT6_PT4_,@function
_ZL24rocblas_dot_kernel_magsqIiLb1ELi1024ELi32ELb0E16rocblas_bfloat16PKPKS0_fEviT5_lT_liPT6_PT4_: ; @_ZL24rocblas_dot_kernel_magsqIiLb1ELi1024ELi32ELb0E16rocblas_bfloat16PKPKS0_fEviT5_lT_liPT6_PT4_
; %bb.0:
	s_mov_b32 s2, s7
	s_load_dword s12, s[4:5], 0x0
	s_load_dwordx2 s[6:7], s[4:5], 0x38
	s_mov_b32 s3, 0
	v_mov_b32_e32 v1, 0
	s_waitcnt lgkmcnt(0)
	v_cmp_gt_i32_e32 vcc, s12, v0
	s_and_saveexec_b64 s[8:9], vcc
	s_cbranch_execz .LBB158_4
; %bb.1:
	s_load_dwordx4 s[16:19], s[4:5], 0x8
	s_load_dword s10, s[4:5], 0x40
	s_load_dword s11, s[4:5], 0x18
	s_lshl_b64 s[0:1], s[2:3], 3
	s_waitcnt lgkmcnt(0)
	s_add_u32 s0, s16, s0
	s_addc_u32 s1, s17, s1
	s_load_dwordx2 s[0:1], s[0:1], 0x0
	v_mad_i64_i32 v[2:3], s[4:5], s11, v0, 0
	s_lshl_b32 s13, s10, 10
	s_lshl_b64 s[4:5], s[18:19], 1
	s_waitcnt lgkmcnt(0)
	s_add_u32 s0, s0, s4
	v_lshlrev_b64 v[2:3], 1, v[2:3]
	s_addc_u32 s1, s1, s5
	v_mov_b32_e32 v1, s1
	v_add_co_u32_e32 v2, vcc, s0, v2
	s_mul_hi_i32 s1, s11, s13
	s_mul_i32 s0, s11, s13
	s_lshl_b64 s[10:11], s[0:1], 1
	v_or_b32_e32 v4, s13, v0
	v_addc_co_u32_e32 v3, vcc, v1, v3, vcc
	s_mov_b64 s[4:5], 0
	v_mov_b32_e32 v1, 0
	v_mov_b32_e32 v5, s11
	s_mov_b32 s11, s3
.LBB158_2:                              ; =>This Inner Loop Header: Depth=1
	global_load_ushort v6, v[2:3], off
	s_add_i32 s14, s11, 1
	v_add_co_u32_e64 v2, s[0:1], s10, v2
	v_addc_co_u32_e64 v3, s[0:1], v3, v5, s[0:1]
	s_cmp_gt_u32 s11, 30
	v_cmp_le_i32_e32 vcc, s12, v4
	s_cselect_b64 s[0:1], -1, 0
	s_or_b64 s[0:1], s[0:1], vcc
	s_and_b64 s[0:1], exec, s[0:1]
	v_add_u32_e32 v4, s13, v4
	s_mov_b32 s11, s14
	s_or_b64 s[4:5], s[0:1], s[4:5]
	s_waitcnt vmcnt(0)
	v_lshlrev_b32_e32 v6, 16, v6
	v_fmac_f32_e32 v1, v6, v6
	s_andn2_b64 exec, exec, s[4:5]
	s_cbranch_execnz .LBB158_2
; %bb.3:
	s_or_b64 exec, exec, s[4:5]
.LBB158_4:
	s_or_b64 exec, exec, s[8:9]
	v_and_b32_e32 v3, 63, v0
	v_cmp_gt_u32_e32 vcc, 64, v0
	v_lshlrev_b32_e32 v2, 2, v3
	s_and_saveexec_b64 s[0:1], vcc
	s_cbranch_execz .LBB158_6
; %bb.5:
	v_mov_b32_e32 v4, 0
	ds_write_b32 v2, v4
.LBB158_6:
	s_or_b64 exec, exec, s[0:1]
	v_mbcnt_lo_u32_b32 v4, -1, 0
	v_mbcnt_hi_u32_b32 v6, -1, v4
	v_and_b32_e32 v7, 63, v6
	v_cmp_gt_u32_e64 s[0:1], 32, v7
	v_cndmask_b32_e64 v4, 0, 1, s[0:1]
	v_lshlrev_b32_e32 v4, 5, v4
	v_add_lshl_u32 v4, v4, v6, 2
	ds_bpermute_b32 v4, v4, v1
	v_cmp_gt_u32_e64 s[0:1], 48, v7
	v_cndmask_b32_e64 v5, 0, 1, s[0:1]
	v_lshlrev_b32_e32 v5, 4, v5
	v_cmp_gt_u32_e64 s[0:1], 56, v7
	s_waitcnt lgkmcnt(0)
	v_add_f32_e32 v1, v1, v4
	v_add_lshl_u32 v4, v5, v6, 2
	ds_bpermute_b32 v4, v4, v1
	v_cndmask_b32_e64 v5, 0, 1, s[0:1]
	v_lshlrev_b32_e32 v5, 3, v5
	v_cmp_gt_u32_e64 s[0:1], 60, v7
	v_cndmask_b32_e64 v8, 0, 1, s[0:1]
	s_waitcnt lgkmcnt(0)
	v_add_f32_e32 v4, v1, v4
	v_add_lshl_u32 v1, v5, v6, 2
	ds_bpermute_b32 v5, v1, v4
	v_lshlrev_b32_e32 v8, 2, v8
	v_cmp_gt_u32_e64 s[0:1], 62, v7
	v_cndmask_b32_e64 v9, 0, 1, s[0:1]
	v_lshlrev_b32_e32 v9, 1, v9
	s_waitcnt lgkmcnt(0)
	v_add_f32_e32 v5, v4, v5
	v_add_lshl_u32 v4, v8, v6, 2
	ds_bpermute_b32 v8, v4, v5
	v_cmp_ne_u32_e64 s[0:1], 63, v7
	s_waitcnt lgkmcnt(0)
	s_barrier
	v_add_f32_e32 v8, v5, v8
	v_add_lshl_u32 v5, v9, v6, 2
	ds_bpermute_b32 v9, v5, v8
	v_addc_co_u32_e64 v6, s[0:1], 0, v6, s[0:1]
	v_lshlrev_b32_e32 v6, 2, v6
	v_cmp_eq_u32_e64 s[0:1], 0, v3
	s_waitcnt lgkmcnt(0)
	v_add_f32_e32 v7, v8, v9
	ds_bpermute_b32 v8, v6, v7
	s_and_saveexec_b64 s[4:5], s[0:1]
	s_cbranch_execz .LBB158_8
; %bb.7:
	s_waitcnt lgkmcnt(0)
	v_add_f32_e32 v3, v7, v8
	v_lshrrev_b32_e32 v7, 4, v0
	v_and_b32_e32 v7, 60, v7
	ds_write_b32 v7, v3
.LBB158_8:
	s_or_b64 exec, exec, s[4:5]
	v_cmp_gt_u32_e64 s[0:1], 16, v0
	v_mov_b32_e32 v3, 0
	s_waitcnt lgkmcnt(0)
	s_barrier
	s_and_saveexec_b64 s[4:5], s[0:1]
	s_cbranch_execnz .LBB158_12
; %bb.9:
	s_or_b64 exec, exec, s[4:5]
	s_and_saveexec_b64 s[0:1], vcc
	s_cbranch_execnz .LBB158_13
.LBB158_10:
	s_or_b64 exec, exec, s[0:1]
	v_cmp_eq_u32_e32 vcc, 0, v0
	s_and_saveexec_b64 s[0:1], vcc
	s_cbranch_execnz .LBB158_14
.LBB158_11:
	s_endpgm
.LBB158_12:
	ds_read_b32 v3, v2
	s_or_b64 exec, exec, s[4:5]
	s_and_saveexec_b64 s[0:1], vcc
	s_cbranch_execz .LBB158_10
.LBB158_13:
	s_waitcnt lgkmcnt(0)
	ds_bpermute_b32 v1, v1, v3
	s_waitcnt lgkmcnt(0)
	v_add_f32_e32 v1, v3, v1
	ds_bpermute_b32 v2, v4, v1
	s_waitcnt lgkmcnt(0)
	v_add_f32_e32 v1, v1, v2
	;; [unrolled: 3-line block ×4, first 2 shown]
	s_or_b64 exec, exec, s[0:1]
	v_cmp_eq_u32_e32 vcc, 0, v0
	s_and_saveexec_b64 s[0:1], vcc
	s_cbranch_execz .LBB158_11
.LBB158_14:
	s_mov_b32 s0, 0x7f800000
	s_waitcnt lgkmcnt(0)
	v_and_b32_e32 v0, 0x7f800000, v3
	v_cmp_ne_u32_e32 vcc, s0, v0
                                        ; implicit-def: $vgpr0
	s_and_saveexec_b64 s[0:1], vcc
	s_xor_b64 s[0:1], exec, s[0:1]
; %bb.15:
	v_bfe_u32 v0, v3, 16, 1
	s_movk_i32 s4, 0x7fff
	v_add3_u32 v0, v3, v0, s4
                                        ; implicit-def: $vgpr3
; %bb.16:
	s_andn2_saveexec_b64 s[0:1], s[0:1]
; %bb.17:
	v_mov_b32_e32 v0, 0
	v_or_b32_e32 v1, 0x10000, v3
	v_cmp_eq_u32_sdwa vcc, v3, v0 src0_sel:WORD_0 src1_sel:DWORD
	v_cndmask_b32_e32 v0, v1, v3, vcc
; %bb.18:
	s_or_b64 exec, exec, s[0:1]
	s_lshl_b64 s[0:1], s[2:3], 1
	s_add_u32 s0, s6, s0
	s_addc_u32 s1, s7, s1
	v_mov_b32_e32 v1, 0
	global_store_short_d16_hi v1, v0, s[0:1]
	s_endpgm
	.section	.rodata,"a",@progbits
	.p2align	6, 0x0
	.amdhsa_kernel _ZL24rocblas_dot_kernel_magsqIiLb1ELi1024ELi32ELb0E16rocblas_bfloat16PKPKS0_fEviT5_lT_liPT6_PT4_
		.amdhsa_group_segment_fixed_size 256
		.amdhsa_private_segment_fixed_size 0
		.amdhsa_kernarg_size 320
		.amdhsa_user_sgpr_count 6
		.amdhsa_user_sgpr_private_segment_buffer 1
		.amdhsa_user_sgpr_dispatch_ptr 0
		.amdhsa_user_sgpr_queue_ptr 0
		.amdhsa_user_sgpr_kernarg_segment_ptr 1
		.amdhsa_user_sgpr_dispatch_id 0
		.amdhsa_user_sgpr_flat_scratch_init 0
		.amdhsa_user_sgpr_kernarg_preload_length 0
		.amdhsa_user_sgpr_kernarg_preload_offset 0
		.amdhsa_user_sgpr_private_segment_size 0
		.amdhsa_uses_dynamic_stack 0
		.amdhsa_system_sgpr_private_segment_wavefront_offset 0
		.amdhsa_system_sgpr_workgroup_id_x 1
		.amdhsa_system_sgpr_workgroup_id_y 0
		.amdhsa_system_sgpr_workgroup_id_z 1
		.amdhsa_system_sgpr_workgroup_info 0
		.amdhsa_system_vgpr_workitem_id 0
		.amdhsa_next_free_vgpr 10
		.amdhsa_next_free_sgpr 20
		.amdhsa_accum_offset 12
		.amdhsa_reserve_vcc 1
		.amdhsa_reserve_flat_scratch 0
		.amdhsa_float_round_mode_32 0
		.amdhsa_float_round_mode_16_64 0
		.amdhsa_float_denorm_mode_32 3
		.amdhsa_float_denorm_mode_16_64 3
		.amdhsa_dx10_clamp 1
		.amdhsa_ieee_mode 1
		.amdhsa_fp16_overflow 0
		.amdhsa_tg_split 0
		.amdhsa_exception_fp_ieee_invalid_op 0
		.amdhsa_exception_fp_denorm_src 0
		.amdhsa_exception_fp_ieee_div_zero 0
		.amdhsa_exception_fp_ieee_overflow 0
		.amdhsa_exception_fp_ieee_underflow 0
		.amdhsa_exception_fp_ieee_inexact 0
		.amdhsa_exception_int_div_zero 0
	.end_amdhsa_kernel
	.section	.text._ZL24rocblas_dot_kernel_magsqIiLb1ELi1024ELi32ELb0E16rocblas_bfloat16PKPKS0_fEviT5_lT_liPT6_PT4_,"axG",@progbits,_ZL24rocblas_dot_kernel_magsqIiLb1ELi1024ELi32ELb0E16rocblas_bfloat16PKPKS0_fEviT5_lT_liPT6_PT4_,comdat
.Lfunc_end158:
	.size	_ZL24rocblas_dot_kernel_magsqIiLb1ELi1024ELi32ELb0E16rocblas_bfloat16PKPKS0_fEviT5_lT_liPT6_PT4_, .Lfunc_end158-_ZL24rocblas_dot_kernel_magsqIiLb1ELi1024ELi32ELb0E16rocblas_bfloat16PKPKS0_fEviT5_lT_liPT6_PT4_
                                        ; -- End function
	.section	.AMDGPU.csdata,"",@progbits
; Kernel info:
; codeLenInByte = 888
; NumSgprs: 24
; NumVgprs: 10
; NumAgprs: 0
; TotalNumVgprs: 10
; ScratchSize: 0
; MemoryBound: 0
; FloatMode: 240
; IeeeMode: 1
; LDSByteSize: 256 bytes/workgroup (compile time only)
; SGPRBlocks: 2
; VGPRBlocks: 1
; NumSGPRsForWavesPerEU: 24
; NumVGPRsForWavesPerEU: 10
; AccumOffset: 12
; Occupancy: 8
; WaveLimiterHint : 0
; COMPUTE_PGM_RSRC2:SCRATCH_EN: 0
; COMPUTE_PGM_RSRC2:USER_SGPR: 6
; COMPUTE_PGM_RSRC2:TRAP_HANDLER: 0
; COMPUTE_PGM_RSRC2:TGID_X_EN: 1
; COMPUTE_PGM_RSRC2:TGID_Y_EN: 0
; COMPUTE_PGM_RSRC2:TGID_Z_EN: 1
; COMPUTE_PGM_RSRC2:TIDIG_COMP_CNT: 0
; COMPUTE_PGM_RSRC3_GFX90A:ACCUM_OFFSET: 2
; COMPUTE_PGM_RSRC3_GFX90A:TG_SPLIT: 0
	.section	.text._ZL38rocblas_dot_kernel_gfx942_float_doubleIiLi1024E16rocblas_bfloat16PKPKS0_fEviT2_lT_lS5_lS6_lPT3_PT1_,"axG",@progbits,_ZL38rocblas_dot_kernel_gfx942_float_doubleIiLi1024E16rocblas_bfloat16PKPKS0_fEviT2_lT_lS5_lS6_lPT3_PT1_,comdat
	.globl	_ZL38rocblas_dot_kernel_gfx942_float_doubleIiLi1024E16rocblas_bfloat16PKPKS0_fEviT2_lT_lS5_lS6_lPT3_PT1_ ; -- Begin function _ZL38rocblas_dot_kernel_gfx942_float_doubleIiLi1024E16rocblas_bfloat16PKPKS0_fEviT2_lT_lS5_lS6_lPT3_PT1_
	.p2align	8
	.type	_ZL38rocblas_dot_kernel_gfx942_float_doubleIiLi1024E16rocblas_bfloat16PKPKS0_fEviT2_lT_lS5_lS6_lPT3_PT1_,@function
_ZL38rocblas_dot_kernel_gfx942_float_doubleIiLi1024E16rocblas_bfloat16PKPKS0_fEviT2_lT_lS5_lS6_lPT3_PT1_: ; @_ZL38rocblas_dot_kernel_gfx942_float_doubleIiLi1024E16rocblas_bfloat16PKPKS0_fEviT2_lT_lS5_lS6_lPT3_PT1_
; %bb.0:
	s_endpgm
	.section	.rodata,"a",@progbits
	.p2align	6, 0x0
	.amdhsa_kernel _ZL38rocblas_dot_kernel_gfx942_float_doubleIiLi1024E16rocblas_bfloat16PKPKS0_fEviT2_lT_lS5_lS6_lPT3_PT1_
		.amdhsa_group_segment_fixed_size 0
		.amdhsa_private_segment_fixed_size 0
		.amdhsa_kernarg_size 88
		.amdhsa_user_sgpr_count 6
		.amdhsa_user_sgpr_private_segment_buffer 1
		.amdhsa_user_sgpr_dispatch_ptr 0
		.amdhsa_user_sgpr_queue_ptr 0
		.amdhsa_user_sgpr_kernarg_segment_ptr 1
		.amdhsa_user_sgpr_dispatch_id 0
		.amdhsa_user_sgpr_flat_scratch_init 0
		.amdhsa_user_sgpr_kernarg_preload_length 0
		.amdhsa_user_sgpr_kernarg_preload_offset 0
		.amdhsa_user_sgpr_private_segment_size 0
		.amdhsa_uses_dynamic_stack 0
		.amdhsa_system_sgpr_private_segment_wavefront_offset 0
		.amdhsa_system_sgpr_workgroup_id_x 1
		.amdhsa_system_sgpr_workgroup_id_y 0
		.amdhsa_system_sgpr_workgroup_id_z 0
		.amdhsa_system_sgpr_workgroup_info 0
		.amdhsa_system_vgpr_workitem_id 0
		.amdhsa_next_free_vgpr 1
		.amdhsa_next_free_sgpr 0
		.amdhsa_accum_offset 4
		.amdhsa_reserve_vcc 0
		.amdhsa_reserve_flat_scratch 0
		.amdhsa_float_round_mode_32 0
		.amdhsa_float_round_mode_16_64 0
		.amdhsa_float_denorm_mode_32 3
		.amdhsa_float_denorm_mode_16_64 3
		.amdhsa_dx10_clamp 1
		.amdhsa_ieee_mode 1
		.amdhsa_fp16_overflow 0
		.amdhsa_tg_split 0
		.amdhsa_exception_fp_ieee_invalid_op 0
		.amdhsa_exception_fp_denorm_src 0
		.amdhsa_exception_fp_ieee_div_zero 0
		.amdhsa_exception_fp_ieee_overflow 0
		.amdhsa_exception_fp_ieee_underflow 0
		.amdhsa_exception_fp_ieee_inexact 0
		.amdhsa_exception_int_div_zero 0
	.end_amdhsa_kernel
	.section	.text._ZL38rocblas_dot_kernel_gfx942_float_doubleIiLi1024E16rocblas_bfloat16PKPKS0_fEviT2_lT_lS5_lS6_lPT3_PT1_,"axG",@progbits,_ZL38rocblas_dot_kernel_gfx942_float_doubleIiLi1024E16rocblas_bfloat16PKPKS0_fEviT2_lT_lS5_lS6_lPT3_PT1_,comdat
.Lfunc_end159:
	.size	_ZL38rocblas_dot_kernel_gfx942_float_doubleIiLi1024E16rocblas_bfloat16PKPKS0_fEviT2_lT_lS5_lS6_lPT3_PT1_, .Lfunc_end159-_ZL38rocblas_dot_kernel_gfx942_float_doubleIiLi1024E16rocblas_bfloat16PKPKS0_fEviT2_lT_lS5_lS6_lPT3_PT1_
                                        ; -- End function
	.section	.AMDGPU.csdata,"",@progbits
; Kernel info:
; codeLenInByte = 4
; NumSgprs: 4
; NumVgprs: 0
; NumAgprs: 0
; TotalNumVgprs: 0
; ScratchSize: 0
; MemoryBound: 0
; FloatMode: 240
; IeeeMode: 1
; LDSByteSize: 0 bytes/workgroup (compile time only)
; SGPRBlocks: 0
; VGPRBlocks: 0
; NumSGPRsForWavesPerEU: 4
; NumVGPRsForWavesPerEU: 1
; AccumOffset: 4
; Occupancy: 8
; WaveLimiterHint : 0
; COMPUTE_PGM_RSRC2:SCRATCH_EN: 0
; COMPUTE_PGM_RSRC2:USER_SGPR: 6
; COMPUTE_PGM_RSRC2:TRAP_HANDLER: 0
; COMPUTE_PGM_RSRC2:TGID_X_EN: 1
; COMPUTE_PGM_RSRC2:TGID_Y_EN: 0
; COMPUTE_PGM_RSRC2:TGID_Z_EN: 0
; COMPUTE_PGM_RSRC2:TIDIG_COMP_CNT: 0
; COMPUTE_PGM_RSRC3_GFX90A:ACCUM_OFFSET: 0
; COMPUTE_PGM_RSRC3_GFX90A:TG_SPLIT: 0
	.section	.text._ZL23rocblas_dot_kernel_inc1ILb0ELi512ELi8ELb0E16rocblas_bfloat16PKPKS0_fEviT4_llS5_lliPT5_PT3_,"axG",@progbits,_ZL23rocblas_dot_kernel_inc1ILb0ELi512ELi8ELb0E16rocblas_bfloat16PKPKS0_fEviT4_llS5_lliPT5_PT3_,comdat
	.globl	_ZL23rocblas_dot_kernel_inc1ILb0ELi512ELi8ELb0E16rocblas_bfloat16PKPKS0_fEviT4_llS5_lliPT5_PT3_ ; -- Begin function _ZL23rocblas_dot_kernel_inc1ILb0ELi512ELi8ELb0E16rocblas_bfloat16PKPKS0_fEviT4_llS5_lliPT5_PT3_
	.p2align	8
	.type	_ZL23rocblas_dot_kernel_inc1ILb0ELi512ELi8ELb0E16rocblas_bfloat16PKPKS0_fEviT4_llS5_lliPT5_PT3_,@function
_ZL23rocblas_dot_kernel_inc1ILb0ELi512ELi8ELb0E16rocblas_bfloat16PKPKS0_fEviT4_llS5_lliPT5_PT3_: ; @_ZL23rocblas_dot_kernel_inc1ILb0ELi512ELi8ELb0E16rocblas_bfloat16PKPKS0_fEviT4_llS5_lliPT5_PT3_
; %bb.0:
	s_mov_b32 s2, s7
	s_load_dword s18, s[4:5], 0x50
	s_load_dword s7, s[4:5], 0x0
	s_load_dwordx4 s[8:11], s[4:5], 0x40
	v_lshl_or_b32 v4, s6, 9, v0
	s_mov_b32 s3, 0
	v_mov_b32_e32 v1, 0
	s_waitcnt lgkmcnt(0)
	v_cmp_gt_i32_e32 vcc, s7, v4
	s_and_saveexec_b64 s[12:13], vcc
	s_cbranch_execz .LBB160_4
; %bb.1:
	s_load_dwordx4 s[20:23], s[4:5], 0x8
	s_load_dwordx4 s[24:27], s[4:5], 0x20
	s_lshl_b64 s[0:1], s[2:3], 3
	v_ashrrev_i32_e32 v5, 31, v4
	v_lshlrev_b64 v[2:3], 1, v[4:5]
	s_waitcnt lgkmcnt(0)
	s_add_u32 s4, s20, s0
	s_addc_u32 s5, s21, s1
	s_load_dwordx2 s[14:15], s[4:5], 0x0
	s_lshl_b64 s[16:17], s[22:23], 1
	s_mov_b64 s[4:5], 0
	v_mov_b32_e32 v1, 0
	s_waitcnt lgkmcnt(0)
	s_add_u32 s19, s14, s16
	s_addc_u32 s14, s15, s17
	s_add_u32 s0, s24, s0
	s_addc_u32 s1, s25, s1
	s_load_dwordx2 s[0:1], s[0:1], 0x0
	v_mov_b32_e32 v5, s14
	s_lshl_b64 s[14:15], s[26:27], 1
	s_waitcnt lgkmcnt(0)
	s_add_u32 s20, s0, s14
	s_addc_u32 s0, s1, s15
	s_lshl_b32 s14, s18, 9
	s_ashr_i32 s15, s14, 31
	s_lshl_b64 s[16:17], s[14:15], 1
	v_add_u32_e32 v4, s14, v4
	v_mov_b32_e32 v6, s0
	v_mov_b32_e32 v7, s17
	s_mov_b32 s15, s3
.LBB160_2:                              ; =>This Inner Loop Header: Depth=1
	v_add_co_u32_e32 v8, vcc, s20, v2
	v_addc_co_u32_e32 v9, vcc, v6, v3, vcc
	v_add_co_u32_e32 v10, vcc, s19, v2
	v_addc_co_u32_e32 v11, vcc, v5, v3, vcc
	global_load_ushort v12, v[8:9], off
	global_load_ushort v13, v[10:11], off
	s_add_i32 s17, s15, 1
	v_add_co_u32_e64 v2, s[0:1], s16, v2
	v_addc_co_u32_e64 v3, s[0:1], v3, v7, s[0:1]
	s_cmp_gt_u32 s15, 6
	v_cmp_le_i32_e32 vcc, s7, v4
	s_cselect_b64 s[0:1], -1, 0
	s_or_b64 s[0:1], s[0:1], vcc
	s_and_b64 s[0:1], exec, s[0:1]
	v_add_u32_e32 v4, s14, v4
	s_mov_b32 s15, s17
	s_or_b64 s[4:5], s[0:1], s[4:5]
	s_waitcnt vmcnt(1)
	v_lshlrev_b32_e32 v8, 16, v12
	s_waitcnt vmcnt(0)
	v_lshlrev_b32_e32 v9, 16, v13
	v_fmac_f32_e32 v1, v9, v8
	s_andn2_b64 exec, exec, s[4:5]
	s_cbranch_execnz .LBB160_2
; %bb.3:
	s_or_b64 exec, exec, s[4:5]
.LBB160_4:
	s_or_b64 exec, exec, s[12:13]
	v_and_b32_e32 v3, 63, v0
	v_cmp_gt_u32_e32 vcc, 64, v0
	v_lshlrev_b32_e32 v2, 2, v3
	s_and_saveexec_b64 s[0:1], vcc
	s_cbranch_execz .LBB160_6
; %bb.5:
	v_mov_b32_e32 v4, 0
	ds_write_b32 v2, v4
.LBB160_6:
	s_or_b64 exec, exec, s[0:1]
	v_mbcnt_lo_u32_b32 v4, -1, 0
	v_mbcnt_hi_u32_b32 v6, -1, v4
	v_and_b32_e32 v7, 63, v6
	v_cmp_gt_u32_e64 s[0:1], 32, v7
	v_cndmask_b32_e64 v4, 0, 1, s[0:1]
	v_lshlrev_b32_e32 v4, 5, v4
	v_add_lshl_u32 v4, v4, v6, 2
	ds_bpermute_b32 v4, v4, v1
	v_cmp_gt_u32_e64 s[0:1], 48, v7
	v_cndmask_b32_e64 v5, 0, 1, s[0:1]
	v_lshlrev_b32_e32 v5, 4, v5
	v_cmp_gt_u32_e64 s[0:1], 56, v7
	s_waitcnt lgkmcnt(0)
	v_add_f32_e32 v1, v1, v4
	v_add_lshl_u32 v4, v5, v6, 2
	ds_bpermute_b32 v4, v4, v1
	v_cndmask_b32_e64 v5, 0, 1, s[0:1]
	v_lshlrev_b32_e32 v5, 3, v5
	v_cmp_gt_u32_e64 s[0:1], 60, v7
	s_waitcnt lgkmcnt(0)
	v_add_f32_e32 v1, v1, v4
	v_add_lshl_u32 v4, v5, v6, 2
	ds_bpermute_b32 v4, v4, v1
	v_cndmask_b32_e64 v5, 0, 1, s[0:1]
	v_lshlrev_b32_e32 v5, 2, v5
	v_cmp_gt_u32_e64 s[0:1], 62, v7
	v_cndmask_b32_e64 v8, 0, 1, s[0:1]
	s_waitcnt lgkmcnt(0)
	v_add_f32_e32 v1, v1, v4
	v_add_lshl_u32 v4, v5, v6, 2
	ds_bpermute_b32 v5, v4, v1
	v_lshlrev_b32_e32 v8, 1, v8
	v_cmp_ne_u32_e64 s[0:1], 63, v7
	s_barrier
	s_waitcnt lgkmcnt(0)
	v_add_f32_e32 v1, v1, v5
	v_add_lshl_u32 v5, v8, v6, 2
	ds_bpermute_b32 v8, v5, v1
	v_addc_co_u32_e64 v6, s[0:1], 0, v6, s[0:1]
	v_lshlrev_b32_e32 v6, 2, v6
	v_cmp_eq_u32_e64 s[0:1], 0, v3
	s_waitcnt lgkmcnt(0)
	v_add_f32_e32 v1, v1, v8
	ds_bpermute_b32 v7, v6, v1
	s_and_saveexec_b64 s[4:5], s[0:1]
	s_cbranch_execz .LBB160_8
; %bb.7:
	v_lshrrev_b32_e32 v3, 4, v0
	s_waitcnt lgkmcnt(0)
	v_add_f32_e32 v1, v1, v7
	v_and_b32_e32 v3, 28, v3
	ds_write_b32 v3, v1
.LBB160_8:
	s_or_b64 exec, exec, s[4:5]
	v_cmp_gt_u32_e64 s[0:1], 8, v0
	v_mov_b32_e32 v1, 0
	s_waitcnt lgkmcnt(0)
	s_barrier
	s_and_saveexec_b64 s[4:5], s[0:1]
	s_cbranch_execnz .LBB160_12
; %bb.9:
	s_or_b64 exec, exec, s[4:5]
	s_and_saveexec_b64 s[0:1], vcc
	s_cbranch_execnz .LBB160_13
.LBB160_10:
	s_or_b64 exec, exec, s[0:1]
	v_cmp_eq_u32_e32 vcc, 0, v0
	s_and_saveexec_b64 s[0:1], vcc
	s_cbranch_execnz .LBB160_14
.LBB160_11:
	s_endpgm
.LBB160_12:
	ds_read_b32 v1, v2
	s_or_b64 exec, exec, s[4:5]
	s_and_saveexec_b64 s[0:1], vcc
	s_cbranch_execz .LBB160_10
.LBB160_13:
	s_waitcnt lgkmcnt(0)
	ds_bpermute_b32 v2, v4, v1
	s_waitcnt lgkmcnt(0)
	v_add_f32_e32 v1, v1, v2
	ds_bpermute_b32 v2, v5, v1
	s_waitcnt lgkmcnt(0)
	v_add_f32_e32 v1, v1, v2
	;; [unrolled: 3-line block ×3, first 2 shown]
	s_or_b64 exec, exec, s[0:1]
	v_cmp_eq_u32_e32 vcc, 0, v0
	s_and_saveexec_b64 s[0:1], vcc
	s_cbranch_execz .LBB160_11
.LBB160_14:
	s_cmp_lg_u32 s18, 1
	s_mov_b64 s[0:1], -1
	s_cbranch_scc0 .LBB160_16
; %bb.15:
	s_mul_hi_u32 s1, s18, s2
	s_mul_i32 s0, s18, s2
	s_lshl_b64 s[0:1], s[0:1], 2
	s_mov_b32 s7, 0
	s_add_u32 s4, s8, s0
	s_addc_u32 s5, s9, s1
	s_lshl_b64 s[0:1], s[6:7], 2
	s_add_u32 s0, s4, s0
	s_addc_u32 s1, s5, s1
	v_mov_b32_e32 v0, 0
	s_waitcnt lgkmcnt(0)
	global_store_dword v0, v1, s[0:1]
	s_mov_b64 s[0:1], 0
.LBB160_16:
	s_andn2_b64 vcc, exec, s[0:1]
	s_cbranch_vccnz .LBB160_11
; %bb.17:
	s_mov_b32 s0, 0x7f800000
	s_waitcnt lgkmcnt(0)
	v_and_b32_e32 v0, 0x7f800000, v1
	v_cmp_ne_u32_e32 vcc, s0, v0
                                        ; implicit-def: $vgpr0
	s_and_saveexec_b64 s[0:1], vcc
	s_xor_b64 s[0:1], exec, s[0:1]
; %bb.18:
	v_bfe_u32 v0, v1, 16, 1
	s_movk_i32 s4, 0x7fff
	v_add3_u32 v0, v1, v0, s4
                                        ; implicit-def: $vgpr1
; %bb.19:
	s_andn2_saveexec_b64 s[0:1], s[0:1]
; %bb.20:
	v_mov_b32_e32 v0, 0
	v_or_b32_e32 v2, 0x10000, v1
	v_cmp_eq_u32_sdwa vcc, v1, v0 src0_sel:WORD_0 src1_sel:DWORD
	v_cndmask_b32_e32 v0, v2, v1, vcc
; %bb.21:
	s_or_b64 exec, exec, s[0:1]
	s_lshl_b64 s[0:1], s[2:3], 1
	s_add_u32 s0, s10, s0
	s_addc_u32 s1, s11, s1
	v_mov_b32_e32 v1, 0
	global_store_short_d16_hi v1, v0, s[0:1]
	s_endpgm
	.section	.rodata,"a",@progbits
	.p2align	6, 0x0
	.amdhsa_kernel _ZL23rocblas_dot_kernel_inc1ILb0ELi512ELi8ELb0E16rocblas_bfloat16PKPKS0_fEviT4_llS5_lliPT5_PT3_
		.amdhsa_group_segment_fixed_size 256
		.amdhsa_private_segment_fixed_size 0
		.amdhsa_kernarg_size 336
		.amdhsa_user_sgpr_count 6
		.amdhsa_user_sgpr_private_segment_buffer 1
		.amdhsa_user_sgpr_dispatch_ptr 0
		.amdhsa_user_sgpr_queue_ptr 0
		.amdhsa_user_sgpr_kernarg_segment_ptr 1
		.amdhsa_user_sgpr_dispatch_id 0
		.amdhsa_user_sgpr_flat_scratch_init 0
		.amdhsa_user_sgpr_kernarg_preload_length 0
		.amdhsa_user_sgpr_kernarg_preload_offset 0
		.amdhsa_user_sgpr_private_segment_size 0
		.amdhsa_uses_dynamic_stack 0
		.amdhsa_system_sgpr_private_segment_wavefront_offset 0
		.amdhsa_system_sgpr_workgroup_id_x 1
		.amdhsa_system_sgpr_workgroup_id_y 0
		.amdhsa_system_sgpr_workgroup_id_z 1
		.amdhsa_system_sgpr_workgroup_info 0
		.amdhsa_system_vgpr_workitem_id 0
		.amdhsa_next_free_vgpr 14
		.amdhsa_next_free_sgpr 28
		.amdhsa_accum_offset 16
		.amdhsa_reserve_vcc 1
		.amdhsa_reserve_flat_scratch 0
		.amdhsa_float_round_mode_32 0
		.amdhsa_float_round_mode_16_64 0
		.amdhsa_float_denorm_mode_32 3
		.amdhsa_float_denorm_mode_16_64 3
		.amdhsa_dx10_clamp 1
		.amdhsa_ieee_mode 1
		.amdhsa_fp16_overflow 0
		.amdhsa_tg_split 0
		.amdhsa_exception_fp_ieee_invalid_op 0
		.amdhsa_exception_fp_denorm_src 0
		.amdhsa_exception_fp_ieee_div_zero 0
		.amdhsa_exception_fp_ieee_overflow 0
		.amdhsa_exception_fp_ieee_underflow 0
		.amdhsa_exception_fp_ieee_inexact 0
		.amdhsa_exception_int_div_zero 0
	.end_amdhsa_kernel
	.section	.text._ZL23rocblas_dot_kernel_inc1ILb0ELi512ELi8ELb0E16rocblas_bfloat16PKPKS0_fEviT4_llS5_lliPT5_PT3_,"axG",@progbits,_ZL23rocblas_dot_kernel_inc1ILb0ELi512ELi8ELb0E16rocblas_bfloat16PKPKS0_fEviT4_llS5_lliPT5_PT3_,comdat
.Lfunc_end160:
	.size	_ZL23rocblas_dot_kernel_inc1ILb0ELi512ELi8ELb0E16rocblas_bfloat16PKPKS0_fEviT4_llS5_lliPT5_PT3_, .Lfunc_end160-_ZL23rocblas_dot_kernel_inc1ILb0ELi512ELi8ELb0E16rocblas_bfloat16PKPKS0_fEviT4_llS5_lliPT5_PT3_
                                        ; -- End function
	.section	.AMDGPU.csdata,"",@progbits
; Kernel info:
; codeLenInByte = 1008
; NumSgprs: 32
; NumVgprs: 14
; NumAgprs: 0
; TotalNumVgprs: 14
; ScratchSize: 0
; MemoryBound: 0
; FloatMode: 240
; IeeeMode: 1
; LDSByteSize: 256 bytes/workgroup (compile time only)
; SGPRBlocks: 3
; VGPRBlocks: 1
; NumSGPRsForWavesPerEU: 32
; NumVGPRsForWavesPerEU: 14
; AccumOffset: 16
; Occupancy: 8
; WaveLimiterHint : 1
; COMPUTE_PGM_RSRC2:SCRATCH_EN: 0
; COMPUTE_PGM_RSRC2:USER_SGPR: 6
; COMPUTE_PGM_RSRC2:TRAP_HANDLER: 0
; COMPUTE_PGM_RSRC2:TGID_X_EN: 1
; COMPUTE_PGM_RSRC2:TGID_Y_EN: 0
; COMPUTE_PGM_RSRC2:TGID_Z_EN: 1
; COMPUTE_PGM_RSRC2:TIDIG_COMP_CNT: 0
; COMPUTE_PGM_RSRC3_GFX90A:ACCUM_OFFSET: 3
; COMPUTE_PGM_RSRC3_GFX90A:TG_SPLIT: 0
	.section	.text._ZL18rocblas_dot_kernelIiLb0ELi512ELi8ELb0E16rocblas_bfloat16PKPKS0_fEviT5_lT_lS5_lS6_liPT6_PT4_,"axG",@progbits,_ZL18rocblas_dot_kernelIiLb0ELi512ELi8ELb0E16rocblas_bfloat16PKPKS0_fEviT5_lT_lS5_lS6_liPT6_PT4_,comdat
	.globl	_ZL18rocblas_dot_kernelIiLb0ELi512ELi8ELb0E16rocblas_bfloat16PKPKS0_fEviT5_lT_lS5_lS6_liPT6_PT4_ ; -- Begin function _ZL18rocblas_dot_kernelIiLb0ELi512ELi8ELb0E16rocblas_bfloat16PKPKS0_fEviT5_lT_lS5_lS6_liPT6_PT4_
	.p2align	8
	.type	_ZL18rocblas_dot_kernelIiLb0ELi512ELi8ELb0E16rocblas_bfloat16PKPKS0_fEviT5_lT_lS5_lS6_liPT6_PT4_,@function
_ZL18rocblas_dot_kernelIiLb0ELi512ELi8ELb0E16rocblas_bfloat16PKPKS0_fEviT5_lT_lS5_lS6_liPT6_PT4_: ; @_ZL18rocblas_dot_kernelIiLb0ELi512ELi8ELb0E16rocblas_bfloat16PKPKS0_fEviT5_lT_lS5_lS6_liPT6_PT4_
; %bb.0:
	s_mov_b32 s2, s7
	s_load_dword s18, s[4:5], 0x60
	s_load_dword s7, s[4:5], 0x0
	s_load_dwordx4 s[8:11], s[4:5], 0x50
	v_lshl_or_b32 v4, s6, 9, v0
	s_mov_b32 s3, 0
	v_mov_b32_e32 v1, 0
	s_waitcnt lgkmcnt(0)
	v_cmp_gt_i32_e32 vcc, s7, v4
	s_and_saveexec_b64 s[12:13], vcc
	s_cbranch_execz .LBB161_4
; %bb.1:
	s_load_dwordx4 s[20:23], s[4:5], 0x8
	s_load_dword s16, s[4:5], 0x18
	s_load_dwordx4 s[24:27], s[4:5], 0x28
	s_load_dword s17, s[4:5], 0x38
	s_lshl_b64 s[0:1], s[2:3], 3
	s_waitcnt lgkmcnt(0)
	s_add_u32 s4, s20, s0
	s_addc_u32 s5, s21, s1
	s_load_dwordx2 s[4:5], s[4:5], 0x0
	s_add_u32 s0, s24, s0
	s_addc_u32 s1, s25, s1
	v_mad_i64_i32 v[2:3], s[14:15], s16, v4, 0
	s_load_dwordx2 s[0:1], s[0:1], 0x0
	s_lshl_b32 s19, s18, 9
	s_lshl_b64 s[14:15], s[22:23], 1
	s_waitcnt lgkmcnt(0)
	s_add_u32 s4, s4, s14
	v_lshlrev_b64 v[2:3], 1, v[2:3]
	s_addc_u32 s5, s5, s15
	v_add_u32_e32 v6, s19, v4
	v_mov_b32_e32 v1, s5
	v_add_co_u32_e32 v2, vcc, s4, v2
	s_mul_hi_i32 s5, s16, s19
	s_mul_i32 s4, s16, s19
	v_mad_i64_i32 v[4:5], s[14:15], s17, v4, 0
	s_lshl_b64 s[4:5], s[4:5], 1
	s_lshl_b64 s[14:15], s[26:27], 1
	s_add_u32 s0, s0, s14
	v_addc_co_u32_e32 v3, vcc, v1, v3, vcc
	v_lshlrev_b64 v[4:5], 1, v[4:5]
	s_addc_u32 s1, s1, s15
	v_mov_b32_e32 v1, s1
	v_add_co_u32_e32 v4, vcc, s0, v4
	s_mul_hi_i32 s1, s17, s19
	s_mul_i32 s0, s17, s19
	s_lshl_b64 s[16:17], s[0:1], 1
	v_addc_co_u32_e32 v5, vcc, v1, v5, vcc
	s_mov_b64 s[14:15], 0
	v_mov_b32_e32 v1, 0
	v_mov_b32_e32 v7, s5
	;; [unrolled: 1-line block ×3, first 2 shown]
	s_mov_b32 s5, s3
.LBB161_2:                              ; =>This Inner Loop Header: Depth=1
	global_load_ushort v9, v[4:5], off
	global_load_ushort v10, v[2:3], off
	v_add_co_u32_e64 v2, s[0:1], s4, v2
	v_addc_co_u32_e64 v3, s[0:1], v3, v7, s[0:1]
	s_add_i32 s17, s5, 1
	v_add_co_u32_e64 v4, s[0:1], s16, v4
	v_addc_co_u32_e64 v5, s[0:1], v5, v8, s[0:1]
	s_cmp_gt_u32 s5, 6
	v_cmp_le_i32_e32 vcc, s7, v6
	s_cselect_b64 s[0:1], -1, 0
	s_or_b64 s[0:1], s[0:1], vcc
	s_and_b64 s[0:1], exec, s[0:1]
	v_add_u32_e32 v6, s19, v6
	s_mov_b32 s5, s17
	s_or_b64 s[14:15], s[0:1], s[14:15]
	s_waitcnt vmcnt(1)
	v_lshlrev_b32_e32 v9, 16, v9
	s_waitcnt vmcnt(0)
	v_lshlrev_b32_e32 v10, 16, v10
	v_fmac_f32_e32 v1, v10, v9
	s_andn2_b64 exec, exec, s[14:15]
	s_cbranch_execnz .LBB161_2
; %bb.3:
	s_or_b64 exec, exec, s[14:15]
.LBB161_4:
	s_or_b64 exec, exec, s[12:13]
	v_and_b32_e32 v3, 63, v0
	v_cmp_gt_u32_e32 vcc, 64, v0
	v_lshlrev_b32_e32 v2, 2, v3
	s_and_saveexec_b64 s[0:1], vcc
	s_cbranch_execz .LBB161_6
; %bb.5:
	v_mov_b32_e32 v4, 0
	ds_write_b32 v2, v4
.LBB161_6:
	s_or_b64 exec, exec, s[0:1]
	v_mbcnt_lo_u32_b32 v4, -1, 0
	v_mbcnt_hi_u32_b32 v6, -1, v4
	v_and_b32_e32 v7, 63, v6
	v_cmp_gt_u32_e64 s[0:1], 32, v7
	v_cndmask_b32_e64 v4, 0, 1, s[0:1]
	v_lshlrev_b32_e32 v4, 5, v4
	v_add_lshl_u32 v4, v4, v6, 2
	ds_bpermute_b32 v4, v4, v1
	v_cmp_gt_u32_e64 s[0:1], 48, v7
	v_cndmask_b32_e64 v5, 0, 1, s[0:1]
	v_lshlrev_b32_e32 v5, 4, v5
	v_cmp_gt_u32_e64 s[0:1], 56, v7
	s_waitcnt lgkmcnt(0)
	v_add_f32_e32 v1, v1, v4
	v_add_lshl_u32 v4, v5, v6, 2
	ds_bpermute_b32 v4, v4, v1
	v_cndmask_b32_e64 v5, 0, 1, s[0:1]
	v_lshlrev_b32_e32 v5, 3, v5
	v_cmp_gt_u32_e64 s[0:1], 60, v7
	s_waitcnt lgkmcnt(0)
	v_add_f32_e32 v1, v1, v4
	v_add_lshl_u32 v4, v5, v6, 2
	ds_bpermute_b32 v4, v4, v1
	v_cndmask_b32_e64 v5, 0, 1, s[0:1]
	v_lshlrev_b32_e32 v5, 2, v5
	v_cmp_gt_u32_e64 s[0:1], 62, v7
	v_cndmask_b32_e64 v8, 0, 1, s[0:1]
	s_waitcnt lgkmcnt(0)
	v_add_f32_e32 v1, v1, v4
	v_add_lshl_u32 v4, v5, v6, 2
	ds_bpermute_b32 v5, v4, v1
	v_lshlrev_b32_e32 v8, 1, v8
	v_cmp_ne_u32_e64 s[0:1], 63, v7
	s_barrier
	s_waitcnt lgkmcnt(0)
	v_add_f32_e32 v1, v1, v5
	v_add_lshl_u32 v5, v8, v6, 2
	ds_bpermute_b32 v8, v5, v1
	v_addc_co_u32_e64 v6, s[0:1], 0, v6, s[0:1]
	v_lshlrev_b32_e32 v6, 2, v6
	v_cmp_eq_u32_e64 s[0:1], 0, v3
	s_waitcnt lgkmcnt(0)
	v_add_f32_e32 v1, v1, v8
	ds_bpermute_b32 v7, v6, v1
	s_and_saveexec_b64 s[4:5], s[0:1]
	s_cbranch_execz .LBB161_8
; %bb.7:
	v_lshrrev_b32_e32 v3, 4, v0
	s_waitcnt lgkmcnt(0)
	v_add_f32_e32 v1, v1, v7
	v_and_b32_e32 v3, 28, v3
	ds_write_b32 v3, v1
.LBB161_8:
	s_or_b64 exec, exec, s[4:5]
	v_cmp_gt_u32_e64 s[0:1], 8, v0
	v_mov_b32_e32 v1, 0
	s_waitcnt lgkmcnt(0)
	s_barrier
	s_and_saveexec_b64 s[4:5], s[0:1]
	s_cbranch_execnz .LBB161_12
; %bb.9:
	s_or_b64 exec, exec, s[4:5]
	s_and_saveexec_b64 s[0:1], vcc
	s_cbranch_execnz .LBB161_13
.LBB161_10:
	s_or_b64 exec, exec, s[0:1]
	v_cmp_eq_u32_e32 vcc, 0, v0
	s_and_saveexec_b64 s[0:1], vcc
	s_cbranch_execnz .LBB161_14
.LBB161_11:
	s_endpgm
.LBB161_12:
	ds_read_b32 v1, v2
	s_or_b64 exec, exec, s[4:5]
	s_and_saveexec_b64 s[0:1], vcc
	s_cbranch_execz .LBB161_10
.LBB161_13:
	s_waitcnt lgkmcnt(0)
	ds_bpermute_b32 v2, v4, v1
	s_waitcnt lgkmcnt(0)
	v_add_f32_e32 v1, v1, v2
	ds_bpermute_b32 v2, v5, v1
	s_waitcnt lgkmcnt(0)
	v_add_f32_e32 v1, v1, v2
	;; [unrolled: 3-line block ×3, first 2 shown]
	s_or_b64 exec, exec, s[0:1]
	v_cmp_eq_u32_e32 vcc, 0, v0
	s_and_saveexec_b64 s[0:1], vcc
	s_cbranch_execz .LBB161_11
.LBB161_14:
	s_cmp_lg_u32 s18, 1
	s_mov_b64 s[0:1], -1
	s_cbranch_scc0 .LBB161_16
; %bb.15:
	s_mul_hi_u32 s1, s18, s2
	s_mul_i32 s0, s18, s2
	s_lshl_b64 s[0:1], s[0:1], 2
	s_mov_b32 s7, 0
	s_add_u32 s4, s8, s0
	s_addc_u32 s5, s9, s1
	s_lshl_b64 s[0:1], s[6:7], 2
	s_add_u32 s0, s4, s0
	s_addc_u32 s1, s5, s1
	v_mov_b32_e32 v0, 0
	s_waitcnt lgkmcnt(0)
	global_store_dword v0, v1, s[0:1]
	s_mov_b64 s[0:1], 0
.LBB161_16:
	s_andn2_b64 vcc, exec, s[0:1]
	s_cbranch_vccnz .LBB161_11
; %bb.17:
	s_mov_b32 s0, 0x7f800000
	s_waitcnt lgkmcnt(0)
	v_and_b32_e32 v0, 0x7f800000, v1
	v_cmp_ne_u32_e32 vcc, s0, v0
                                        ; implicit-def: $vgpr0
	s_and_saveexec_b64 s[0:1], vcc
	s_xor_b64 s[0:1], exec, s[0:1]
; %bb.18:
	v_bfe_u32 v0, v1, 16, 1
	s_movk_i32 s4, 0x7fff
	v_add3_u32 v0, v1, v0, s4
                                        ; implicit-def: $vgpr1
; %bb.19:
	s_andn2_saveexec_b64 s[0:1], s[0:1]
; %bb.20:
	v_mov_b32_e32 v0, 0
	v_or_b32_e32 v2, 0x10000, v1
	v_cmp_eq_u32_sdwa vcc, v1, v0 src0_sel:WORD_0 src1_sel:DWORD
	v_cndmask_b32_e32 v0, v2, v1, vcc
; %bb.21:
	s_or_b64 exec, exec, s[0:1]
	s_lshl_b64 s[0:1], s[2:3], 1
	s_add_u32 s0, s10, s0
	s_addc_u32 s1, s11, s1
	v_mov_b32_e32 v1, 0
	global_store_short_d16_hi v1, v0, s[0:1]
	s_endpgm
	.section	.rodata,"a",@progbits
	.p2align	6, 0x0
	.amdhsa_kernel _ZL18rocblas_dot_kernelIiLb0ELi512ELi8ELb0E16rocblas_bfloat16PKPKS0_fEviT5_lT_lS5_lS6_liPT6_PT4_
		.amdhsa_group_segment_fixed_size 256
		.amdhsa_private_segment_fixed_size 0
		.amdhsa_kernarg_size 352
		.amdhsa_user_sgpr_count 6
		.amdhsa_user_sgpr_private_segment_buffer 1
		.amdhsa_user_sgpr_dispatch_ptr 0
		.amdhsa_user_sgpr_queue_ptr 0
		.amdhsa_user_sgpr_kernarg_segment_ptr 1
		.amdhsa_user_sgpr_dispatch_id 0
		.amdhsa_user_sgpr_flat_scratch_init 0
		.amdhsa_user_sgpr_kernarg_preload_length 0
		.amdhsa_user_sgpr_kernarg_preload_offset 0
		.amdhsa_user_sgpr_private_segment_size 0
		.amdhsa_uses_dynamic_stack 0
		.amdhsa_system_sgpr_private_segment_wavefront_offset 0
		.amdhsa_system_sgpr_workgroup_id_x 1
		.amdhsa_system_sgpr_workgroup_id_y 0
		.amdhsa_system_sgpr_workgroup_id_z 1
		.amdhsa_system_sgpr_workgroup_info 0
		.amdhsa_system_vgpr_workitem_id 0
		.amdhsa_next_free_vgpr 11
		.amdhsa_next_free_sgpr 28
		.amdhsa_accum_offset 12
		.amdhsa_reserve_vcc 1
		.amdhsa_reserve_flat_scratch 0
		.amdhsa_float_round_mode_32 0
		.amdhsa_float_round_mode_16_64 0
		.amdhsa_float_denorm_mode_32 3
		.amdhsa_float_denorm_mode_16_64 3
		.amdhsa_dx10_clamp 1
		.amdhsa_ieee_mode 1
		.amdhsa_fp16_overflow 0
		.amdhsa_tg_split 0
		.amdhsa_exception_fp_ieee_invalid_op 0
		.amdhsa_exception_fp_denorm_src 0
		.amdhsa_exception_fp_ieee_div_zero 0
		.amdhsa_exception_fp_ieee_overflow 0
		.amdhsa_exception_fp_ieee_underflow 0
		.amdhsa_exception_fp_ieee_inexact 0
		.amdhsa_exception_int_div_zero 0
	.end_amdhsa_kernel
	.section	.text._ZL18rocblas_dot_kernelIiLb0ELi512ELi8ELb0E16rocblas_bfloat16PKPKS0_fEviT5_lT_lS5_lS6_liPT6_PT4_,"axG",@progbits,_ZL18rocblas_dot_kernelIiLb0ELi512ELi8ELb0E16rocblas_bfloat16PKPKS0_fEviT5_lT_lS5_lS6_liPT6_PT4_,comdat
.Lfunc_end161:
	.size	_ZL18rocblas_dot_kernelIiLb0ELi512ELi8ELb0E16rocblas_bfloat16PKPKS0_fEviT5_lT_lS5_lS6_liPT6_PT4_, .Lfunc_end161-_ZL18rocblas_dot_kernelIiLb0ELi512ELi8ELb0E16rocblas_bfloat16PKPKS0_fEviT5_lT_lS5_lS6_liPT6_PT4_
                                        ; -- End function
	.section	.AMDGPU.csdata,"",@progbits
; Kernel info:
; codeLenInByte = 1076
; NumSgprs: 32
; NumVgprs: 11
; NumAgprs: 0
; TotalNumVgprs: 11
; ScratchSize: 0
; MemoryBound: 0
; FloatMode: 240
; IeeeMode: 1
; LDSByteSize: 256 bytes/workgroup (compile time only)
; SGPRBlocks: 3
; VGPRBlocks: 1
; NumSGPRsForWavesPerEU: 32
; NumVGPRsForWavesPerEU: 11
; AccumOffset: 12
; Occupancy: 8
; WaveLimiterHint : 0
; COMPUTE_PGM_RSRC2:SCRATCH_EN: 0
; COMPUTE_PGM_RSRC2:USER_SGPR: 6
; COMPUTE_PGM_RSRC2:TRAP_HANDLER: 0
; COMPUTE_PGM_RSRC2:TGID_X_EN: 1
; COMPUTE_PGM_RSRC2:TGID_Y_EN: 0
; COMPUTE_PGM_RSRC2:TGID_Z_EN: 1
; COMPUTE_PGM_RSRC2:TIDIG_COMP_CNT: 0
; COMPUTE_PGM_RSRC3_GFX90A:ACCUM_OFFSET: 2
; COMPUTE_PGM_RSRC3_GFX90A:TG_SPLIT: 0
	.section	.text._ZL24rocblas_dot_kernel_magsqIiLb0ELi512ELi8ELb0E16rocblas_bfloat16PKPKS0_fEviT5_lT_liPT6_PT4_,"axG",@progbits,_ZL24rocblas_dot_kernel_magsqIiLb0ELi512ELi8ELb0E16rocblas_bfloat16PKPKS0_fEviT5_lT_liPT6_PT4_,comdat
	.globl	_ZL24rocblas_dot_kernel_magsqIiLb0ELi512ELi8ELb0E16rocblas_bfloat16PKPKS0_fEviT5_lT_liPT6_PT4_ ; -- Begin function _ZL24rocblas_dot_kernel_magsqIiLb0ELi512ELi8ELb0E16rocblas_bfloat16PKPKS0_fEviT5_lT_liPT6_PT4_
	.p2align	8
	.type	_ZL24rocblas_dot_kernel_magsqIiLb0ELi512ELi8ELb0E16rocblas_bfloat16PKPKS0_fEviT5_lT_liPT6_PT4_,@function
_ZL24rocblas_dot_kernel_magsqIiLb0ELi512ELi8ELb0E16rocblas_bfloat16PKPKS0_fEviT5_lT_liPT6_PT4_: ; @_ZL24rocblas_dot_kernel_magsqIiLb0ELi512ELi8ELb0E16rocblas_bfloat16PKPKS0_fEviT5_lT_liPT6_PT4_
; %bb.0:
	s_mov_b32 s2, s7
	s_load_dword s7, s[4:5], 0x0
	s_load_dwordx4 s[8:11], s[4:5], 0x30
	s_load_dword s16, s[4:5], 0x40
	v_lshl_or_b32 v2, s6, 9, v0
	s_mov_b32 s3, 0
	s_waitcnt lgkmcnt(0)
	v_cmp_gt_i32_e32 vcc, s7, v2
	v_mov_b32_e32 v1, 0
	s_and_saveexec_b64 s[12:13], vcc
	s_cbranch_execz .LBB162_4
; %bb.1:
	s_load_dwordx4 s[20:23], s[4:5], 0x8
	s_load_dword s14, s[4:5], 0x18
	s_lshl_b64 s[0:1], s[2:3], 3
	s_waitcnt lgkmcnt(0)
	s_add_u32 s0, s20, s0
	s_addc_u32 s1, s21, s1
	s_load_dwordx2 s[0:1], s[0:1], 0x0
	v_mad_i64_i32 v[4:5], s[4:5], s14, v2, 0
	s_lshl_b32 s17, s16, 9
	s_lshl_b64 s[4:5], s[22:23], 1
	s_waitcnt lgkmcnt(0)
	s_add_u32 s0, s0, s4
	v_lshlrev_b64 v[6:7], 1, v[4:5]
	s_addc_u32 s1, s1, s5
	v_add_u32_e32 v4, s17, v2
	v_mov_b32_e32 v1, s1
	v_add_co_u32_e32 v2, vcc, s0, v6
	s_mul_hi_i32 s1, s14, s17
	s_mul_i32 s0, s14, s17
	s_lshl_b64 s[14:15], s[0:1], 1
	v_addc_co_u32_e32 v3, vcc, v1, v7, vcc
	s_mov_b64 s[4:5], 0
	v_mov_b32_e32 v1, 0
	v_mov_b32_e32 v5, s15
	s_mov_b32 s15, s3
.LBB162_2:                              ; =>This Inner Loop Header: Depth=1
	global_load_ushort v6, v[2:3], off
	s_add_i32 s18, s15, 1
	v_add_co_u32_e64 v2, s[0:1], s14, v2
	v_addc_co_u32_e64 v3, s[0:1], v3, v5, s[0:1]
	s_cmp_gt_u32 s15, 6
	v_cmp_le_i32_e32 vcc, s7, v4
	s_cselect_b64 s[0:1], -1, 0
	s_or_b64 s[0:1], s[0:1], vcc
	s_and_b64 s[0:1], exec, s[0:1]
	v_add_u32_e32 v4, s17, v4
	s_mov_b32 s15, s18
	s_or_b64 s[4:5], s[0:1], s[4:5]
	s_waitcnt vmcnt(0)
	v_lshlrev_b32_e32 v6, 16, v6
	v_fmac_f32_e32 v1, v6, v6
	s_andn2_b64 exec, exec, s[4:5]
	s_cbranch_execnz .LBB162_2
; %bb.3:
	s_or_b64 exec, exec, s[4:5]
.LBB162_4:
	s_or_b64 exec, exec, s[12:13]
	v_and_b32_e32 v3, 63, v0
	v_cmp_gt_u32_e32 vcc, 64, v0
	v_lshlrev_b32_e32 v2, 2, v3
	s_and_saveexec_b64 s[0:1], vcc
	s_cbranch_execz .LBB162_6
; %bb.5:
	v_mov_b32_e32 v4, 0
	ds_write_b32 v2, v4
.LBB162_6:
	s_or_b64 exec, exec, s[0:1]
	v_mbcnt_lo_u32_b32 v4, -1, 0
	v_mbcnt_hi_u32_b32 v6, -1, v4
	v_and_b32_e32 v7, 63, v6
	v_cmp_gt_u32_e64 s[0:1], 32, v7
	v_cndmask_b32_e64 v4, 0, 1, s[0:1]
	v_lshlrev_b32_e32 v4, 5, v4
	v_add_lshl_u32 v4, v4, v6, 2
	ds_bpermute_b32 v4, v4, v1
	v_cmp_gt_u32_e64 s[0:1], 48, v7
	v_cndmask_b32_e64 v5, 0, 1, s[0:1]
	v_lshlrev_b32_e32 v5, 4, v5
	v_cmp_gt_u32_e64 s[0:1], 56, v7
	s_waitcnt lgkmcnt(0)
	v_add_f32_e32 v1, v1, v4
	v_add_lshl_u32 v4, v5, v6, 2
	ds_bpermute_b32 v4, v4, v1
	v_cndmask_b32_e64 v5, 0, 1, s[0:1]
	v_lshlrev_b32_e32 v5, 3, v5
	v_cmp_gt_u32_e64 s[0:1], 60, v7
	s_waitcnt lgkmcnt(0)
	v_add_f32_e32 v1, v1, v4
	v_add_lshl_u32 v4, v5, v6, 2
	ds_bpermute_b32 v4, v4, v1
	v_cndmask_b32_e64 v5, 0, 1, s[0:1]
	v_lshlrev_b32_e32 v5, 2, v5
	v_cmp_gt_u32_e64 s[0:1], 62, v7
	v_cndmask_b32_e64 v8, 0, 1, s[0:1]
	s_waitcnt lgkmcnt(0)
	v_add_f32_e32 v1, v1, v4
	v_add_lshl_u32 v4, v5, v6, 2
	ds_bpermute_b32 v5, v4, v1
	v_lshlrev_b32_e32 v8, 1, v8
	v_cmp_ne_u32_e64 s[0:1], 63, v7
	s_barrier
	s_waitcnt lgkmcnt(0)
	v_add_f32_e32 v1, v1, v5
	v_add_lshl_u32 v5, v8, v6, 2
	ds_bpermute_b32 v8, v5, v1
	v_addc_co_u32_e64 v6, s[0:1], 0, v6, s[0:1]
	v_lshlrev_b32_e32 v6, 2, v6
	v_cmp_eq_u32_e64 s[0:1], 0, v3
	s_waitcnt lgkmcnt(0)
	v_add_f32_e32 v1, v1, v8
	ds_bpermute_b32 v7, v6, v1
	s_and_saveexec_b64 s[4:5], s[0:1]
	s_cbranch_execz .LBB162_8
; %bb.7:
	v_lshrrev_b32_e32 v3, 4, v0
	s_waitcnt lgkmcnt(0)
	v_add_f32_e32 v1, v1, v7
	v_and_b32_e32 v3, 28, v3
	ds_write_b32 v3, v1
.LBB162_8:
	s_or_b64 exec, exec, s[4:5]
	v_cmp_gt_u32_e64 s[0:1], 8, v0
	v_mov_b32_e32 v1, 0
	s_waitcnt lgkmcnt(0)
	s_barrier
	s_and_saveexec_b64 s[4:5], s[0:1]
	s_cbranch_execnz .LBB162_12
; %bb.9:
	s_or_b64 exec, exec, s[4:5]
	s_and_saveexec_b64 s[0:1], vcc
	s_cbranch_execnz .LBB162_13
.LBB162_10:
	s_or_b64 exec, exec, s[0:1]
	v_cmp_eq_u32_e32 vcc, 0, v0
	s_and_saveexec_b64 s[0:1], vcc
	s_cbranch_execnz .LBB162_14
.LBB162_11:
	s_endpgm
.LBB162_12:
	ds_read_b32 v1, v2
	s_or_b64 exec, exec, s[4:5]
	s_and_saveexec_b64 s[0:1], vcc
	s_cbranch_execz .LBB162_10
.LBB162_13:
	s_waitcnt lgkmcnt(0)
	ds_bpermute_b32 v2, v4, v1
	s_waitcnt lgkmcnt(0)
	v_add_f32_e32 v1, v1, v2
	ds_bpermute_b32 v2, v5, v1
	s_waitcnt lgkmcnt(0)
	v_add_f32_e32 v1, v1, v2
	;; [unrolled: 3-line block ×3, first 2 shown]
	s_or_b64 exec, exec, s[0:1]
	v_cmp_eq_u32_e32 vcc, 0, v0
	s_and_saveexec_b64 s[0:1], vcc
	s_cbranch_execz .LBB162_11
.LBB162_14:
	s_cmp_lg_u32 s16, 1
	s_mov_b64 s[0:1], -1
	s_cbranch_scc0 .LBB162_16
; %bb.15:
	s_mul_hi_u32 s1, s16, s2
	s_mul_i32 s0, s16, s2
	s_lshl_b64 s[0:1], s[0:1], 2
	s_mov_b32 s7, 0
	s_add_u32 s4, s8, s0
	s_addc_u32 s5, s9, s1
	s_lshl_b64 s[0:1], s[6:7], 2
	s_add_u32 s0, s4, s0
	s_addc_u32 s1, s5, s1
	v_mov_b32_e32 v0, 0
	s_waitcnt lgkmcnt(0)
	global_store_dword v0, v1, s[0:1]
	s_mov_b64 s[0:1], 0
.LBB162_16:
	s_andn2_b64 vcc, exec, s[0:1]
	s_cbranch_vccnz .LBB162_11
; %bb.17:
	s_mov_b32 s0, 0x7f800000
	s_waitcnt lgkmcnt(0)
	v_and_b32_e32 v0, 0x7f800000, v1
	v_cmp_ne_u32_e32 vcc, s0, v0
                                        ; implicit-def: $vgpr0
	s_and_saveexec_b64 s[0:1], vcc
	s_xor_b64 s[0:1], exec, s[0:1]
; %bb.18:
	v_bfe_u32 v0, v1, 16, 1
	s_movk_i32 s4, 0x7fff
	v_add3_u32 v0, v1, v0, s4
                                        ; implicit-def: $vgpr1
; %bb.19:
	s_andn2_saveexec_b64 s[0:1], s[0:1]
; %bb.20:
	v_mov_b32_e32 v0, 0
	v_or_b32_e32 v2, 0x10000, v1
	v_cmp_eq_u32_sdwa vcc, v1, v0 src0_sel:WORD_0 src1_sel:DWORD
	v_cndmask_b32_e32 v0, v2, v1, vcc
; %bb.21:
	s_or_b64 exec, exec, s[0:1]
	s_lshl_b64 s[0:1], s[2:3], 1
	s_add_u32 s0, s10, s0
	s_addc_u32 s1, s11, s1
	v_mov_b32_e32 v1, 0
	global_store_short_d16_hi v1, v0, s[0:1]
	s_endpgm
	.section	.rodata,"a",@progbits
	.p2align	6, 0x0
	.amdhsa_kernel _ZL24rocblas_dot_kernel_magsqIiLb0ELi512ELi8ELb0E16rocblas_bfloat16PKPKS0_fEviT5_lT_liPT6_PT4_
		.amdhsa_group_segment_fixed_size 256
		.amdhsa_private_segment_fixed_size 0
		.amdhsa_kernarg_size 320
		.amdhsa_user_sgpr_count 6
		.amdhsa_user_sgpr_private_segment_buffer 1
		.amdhsa_user_sgpr_dispatch_ptr 0
		.amdhsa_user_sgpr_queue_ptr 0
		.amdhsa_user_sgpr_kernarg_segment_ptr 1
		.amdhsa_user_sgpr_dispatch_id 0
		.amdhsa_user_sgpr_flat_scratch_init 0
		.amdhsa_user_sgpr_kernarg_preload_length 0
		.amdhsa_user_sgpr_kernarg_preload_offset 0
		.amdhsa_user_sgpr_private_segment_size 0
		.amdhsa_uses_dynamic_stack 0
		.amdhsa_system_sgpr_private_segment_wavefront_offset 0
		.amdhsa_system_sgpr_workgroup_id_x 1
		.amdhsa_system_sgpr_workgroup_id_y 0
		.amdhsa_system_sgpr_workgroup_id_z 1
		.amdhsa_system_sgpr_workgroup_info 0
		.amdhsa_system_vgpr_workitem_id 0
		.amdhsa_next_free_vgpr 9
		.amdhsa_next_free_sgpr 24
		.amdhsa_accum_offset 12
		.amdhsa_reserve_vcc 1
		.amdhsa_reserve_flat_scratch 0
		.amdhsa_float_round_mode_32 0
		.amdhsa_float_round_mode_16_64 0
		.amdhsa_float_denorm_mode_32 3
		.amdhsa_float_denorm_mode_16_64 3
		.amdhsa_dx10_clamp 1
		.amdhsa_ieee_mode 1
		.amdhsa_fp16_overflow 0
		.amdhsa_tg_split 0
		.amdhsa_exception_fp_ieee_invalid_op 0
		.amdhsa_exception_fp_denorm_src 0
		.amdhsa_exception_fp_ieee_div_zero 0
		.amdhsa_exception_fp_ieee_overflow 0
		.amdhsa_exception_fp_ieee_underflow 0
		.amdhsa_exception_fp_ieee_inexact 0
		.amdhsa_exception_int_div_zero 0
	.end_amdhsa_kernel
	.section	.text._ZL24rocblas_dot_kernel_magsqIiLb0ELi512ELi8ELb0E16rocblas_bfloat16PKPKS0_fEviT5_lT_liPT6_PT4_,"axG",@progbits,_ZL24rocblas_dot_kernel_magsqIiLb0ELi512ELi8ELb0E16rocblas_bfloat16PKPKS0_fEviT5_lT_liPT6_PT4_,comdat
.Lfunc_end162:
	.size	_ZL24rocblas_dot_kernel_magsqIiLb0ELi512ELi8ELb0E16rocblas_bfloat16PKPKS0_fEviT5_lT_liPT6_PT4_, .Lfunc_end162-_ZL24rocblas_dot_kernel_magsqIiLb0ELi512ELi8ELb0E16rocblas_bfloat16PKPKS0_fEviT5_lT_liPT6_PT4_
                                        ; -- End function
	.section	.AMDGPU.csdata,"",@progbits
; Kernel info:
; codeLenInByte = 956
; NumSgprs: 28
; NumVgprs: 9
; NumAgprs: 0
; TotalNumVgprs: 9
; ScratchSize: 0
; MemoryBound: 0
; FloatMode: 240
; IeeeMode: 1
; LDSByteSize: 256 bytes/workgroup (compile time only)
; SGPRBlocks: 3
; VGPRBlocks: 1
; NumSGPRsForWavesPerEU: 28
; NumVGPRsForWavesPerEU: 9
; AccumOffset: 12
; Occupancy: 8
; WaveLimiterHint : 0
; COMPUTE_PGM_RSRC2:SCRATCH_EN: 0
; COMPUTE_PGM_RSRC2:USER_SGPR: 6
; COMPUTE_PGM_RSRC2:TRAP_HANDLER: 0
; COMPUTE_PGM_RSRC2:TGID_X_EN: 1
; COMPUTE_PGM_RSRC2:TGID_Y_EN: 0
; COMPUTE_PGM_RSRC2:TGID_Z_EN: 1
; COMPUTE_PGM_RSRC2:TIDIG_COMP_CNT: 0
; COMPUTE_PGM_RSRC3_GFX90A:ACCUM_OFFSET: 2
; COMPUTE_PGM_RSRC3_GFX90A:TG_SPLIT: 0
	.section	.text._ZL28rocblas_dot_batched_4_kernelIiLi32ELi4ELb0EffPKPK16rocblas_bfloat16EviT5_lT_lS5_lS6_liPT4_,"axG",@progbits,_ZL28rocblas_dot_batched_4_kernelIiLi32ELi4ELb0EffPKPK16rocblas_bfloat16EviT5_lT_lS5_lS6_liPT4_,comdat
	.globl	_ZL28rocblas_dot_batched_4_kernelIiLi32ELi4ELb0EffPKPK16rocblas_bfloat16EviT5_lT_lS5_lS6_liPT4_ ; -- Begin function _ZL28rocblas_dot_batched_4_kernelIiLi32ELi4ELb0EffPKPK16rocblas_bfloat16EviT5_lT_lS5_lS6_liPT4_
	.p2align	8
	.type	_ZL28rocblas_dot_batched_4_kernelIiLi32ELi4ELb0EffPKPK16rocblas_bfloat16EviT5_lT_lS5_lS6_liPT4_,@function
_ZL28rocblas_dot_batched_4_kernelIiLi32ELi4ELb0EffPKPK16rocblas_bfloat16EviT5_lT_lS5_lS6_liPT4_: ; @_ZL28rocblas_dot_batched_4_kernelIiLi32ELi4ELb0EffPKPK16rocblas_bfloat16EviT5_lT_lS5_lS6_liPT4_
; %bb.0:
	s_load_dword s0, s[4:5], 0x48
	v_bfe_u32 v1, v0, 10, 10
	v_lshl_add_u32 v2, s6, 2, v1
	s_waitcnt lgkmcnt(0)
	v_cmp_gt_u32_e32 vcc, s0, v2
	s_and_saveexec_b64 s[0:1], vcc
	s_cbranch_execz .LBB163_7
; %bb.1:
	s_load_dword s14, s[4:5], 0x0
	s_load_dwordx2 s[6:7], s[4:5], 0x50
	v_mov_b32_e32 v3, 0
	v_and_b32_e32 v6, 0x3ff, v0
	v_mov_b32_e32 v7, v3
	s_waitcnt lgkmcnt(0)
	v_cmp_gt_i32_e32 vcc, s14, v6
	s_and_saveexec_b64 s[12:13], vcc
	s_cbranch_execz .LBB163_5
; %bb.2:
	s_load_dwordx4 s[0:3], s[4:5], 0x8
	s_load_dwordx4 s[8:11], s[4:5], 0x28
	v_lshlrev_b64 v[0:1], 3, v[2:3]
	s_load_dword s16, s[4:5], 0x18
	s_waitcnt lgkmcnt(0)
	v_mov_b32_e32 v5, s1
	v_add_co_u32_e32 v4, vcc, s0, v0
	v_addc_co_u32_e32 v5, vcc, v5, v1, vcc
	global_load_dwordx2 v[4:5], v[4:5], off
	v_mov_b32_e32 v7, s9
	v_add_co_u32_e32 v0, vcc, s8, v0
	v_addc_co_u32_e32 v1, vcc, v7, v1, vcc
	global_load_dwordx2 v[10:11], v[0:1], off
	s_load_dword s4, s[4:5], 0x38
	v_mad_i64_i32 v[0:1], s[8:9], s16, v6, 0
	s_lshl_b64 s[8:9], s[2:3], 1
	v_lshlrev_b64 v[0:1], 1, v[0:1]
	s_waitcnt lgkmcnt(0)
	v_mad_i64_i32 v[8:9], s[2:3], s4, v6, 0
	v_mov_b32_e32 v12, s9
	v_add_co_u32_e32 v0, vcc, s8, v0
	s_lshl_b64 s[10:11], s[10:11], 1
	v_lshlrev_b64 v[8:9], 1, v[8:9]
	v_addc_co_u32_e32 v1, vcc, v1, v12, vcc
	v_mov_b32_e32 v13, s11
	v_add_co_u32_e32 v12, vcc, s10, v8
	v_addc_co_u32_e32 v13, vcc, v9, v13, vcc
	s_ashr_i32 s17, s16, 31
	s_ashr_i32 s5, s4, 31
	s_lshl_b64 s[2:3], s[16:17], 6
	s_lshl_b64 s[4:5], s[4:5], 6
	s_mov_b64 s[0:1], 0
	v_mov_b32_e32 v7, 0
	v_mov_b32_e32 v8, s3
	;; [unrolled: 1-line block ×3, first 2 shown]
	s_waitcnt vmcnt(1)
	v_add_co_u32_e32 v0, vcc, v4, v0
	v_addc_co_u32_e32 v1, vcc, v5, v1, vcc
	s_waitcnt vmcnt(0)
	v_add_co_u32_e32 v4, vcc, v10, v12
	v_addc_co_u32_e32 v5, vcc, v11, v13, vcc
	v_mov_b32_e32 v10, v6
.LBB163_3:                              ; =>This Inner Loop Header: Depth=1
	global_load_ushort v11, v[0:1], off
	global_load_ushort v12, v[4:5], off
	v_add_co_u32_e32 v0, vcc, s2, v0
	v_addc_co_u32_e32 v1, vcc, v1, v8, vcc
	v_add_co_u32_e32 v4, vcc, s4, v4
	v_add_u32_e32 v10, 32, v10
	v_addc_co_u32_e32 v5, vcc, v5, v9, vcc
	v_cmp_le_i32_e32 vcc, s14, v10
	s_or_b64 s[0:1], vcc, s[0:1]
	s_waitcnt vmcnt(1)
	v_lshlrev_b32_e32 v11, 16, v11
	s_waitcnt vmcnt(0)
	v_lshlrev_b32_e32 v12, 16, v12
	v_fmac_f32_e32 v7, v12, v11
	s_andn2_b64 exec, exec, s[0:1]
	s_cbranch_execnz .LBB163_3
; %bb.4:
	s_or_b64 exec, exec, s[0:1]
.LBB163_5:
	s_or_b64 exec, exec, s[12:13]
	v_mbcnt_lo_u32_b32 v0, -1, 0
	v_mbcnt_hi_u32_b32 v0, -1, v0
	v_and_b32_e32 v1, 63, v0
	v_cmp_gt_u32_e32 vcc, 48, v1
	v_cndmask_b32_e64 v4, 0, 1, vcc
	v_lshlrev_b32_e32 v4, 4, v4
	v_add_lshl_u32 v4, v4, v0, 2
	ds_bpermute_b32 v4, v4, v7
	v_cmp_gt_u32_e32 vcc, 56, v1
	v_cndmask_b32_e64 v5, 0, 1, vcc
	v_lshlrev_b32_e32 v5, 3, v5
	v_add_lshl_u32 v5, v5, v0, 2
	s_waitcnt lgkmcnt(0)
	v_add_f32_e32 v4, v7, v4
	ds_bpermute_b32 v5, v5, v4
	v_cmp_gt_u32_e32 vcc, 60, v1
	v_cndmask_b32_e64 v7, 0, 1, vcc
	v_lshlrev_b32_e32 v7, 2, v7
	v_cmp_gt_u32_e32 vcc, 62, v1
	s_waitcnt lgkmcnt(0)
	v_add_f32_e32 v4, v4, v5
	v_add_lshl_u32 v5, v7, v0, 2
	ds_bpermute_b32 v5, v5, v4
	v_cndmask_b32_e64 v7, 0, 1, vcc
	v_lshlrev_b32_e32 v7, 1, v7
	v_cmp_ne_u32_e32 vcc, 63, v1
	v_addc_co_u32_e32 v1, vcc, 0, v0, vcc
	s_waitcnt lgkmcnt(0)
	v_add_f32_e32 v4, v4, v5
	v_add_lshl_u32 v5, v7, v0, 2
	ds_bpermute_b32 v5, v5, v4
	v_lshlrev_b32_e32 v1, 2, v1
	v_cmp_eq_u32_e32 vcc, 0, v6
	s_waitcnt lgkmcnt(0)
	s_barrier
	v_add_f32_e32 v0, v4, v5
	ds_bpermute_b32 v1, v1, v0
	s_waitcnt lgkmcnt(0)
	s_and_b64 exec, exec, vcc
	s_cbranch_execz .LBB163_7
; %bb.6:
	v_lshlrev_b64 v[2:3], 2, v[2:3]
	v_mov_b32_e32 v4, s7
	v_add_co_u32_e32 v2, vcc, s6, v2
	v_addc_co_u32_e32 v3, vcc, v4, v3, vcc
	v_add_f32_e32 v0, v0, v1
	global_store_dword v[2:3], v0, off
.LBB163_7:
	s_endpgm
	.section	.rodata,"a",@progbits
	.p2align	6, 0x0
	.amdhsa_kernel _ZL28rocblas_dot_batched_4_kernelIiLi32ELi4ELb0EffPKPK16rocblas_bfloat16EviT5_lT_lS5_lS6_liPT4_
		.amdhsa_group_segment_fixed_size 0
		.amdhsa_private_segment_fixed_size 0
		.amdhsa_kernarg_size 88
		.amdhsa_user_sgpr_count 6
		.amdhsa_user_sgpr_private_segment_buffer 1
		.amdhsa_user_sgpr_dispatch_ptr 0
		.amdhsa_user_sgpr_queue_ptr 0
		.amdhsa_user_sgpr_kernarg_segment_ptr 1
		.amdhsa_user_sgpr_dispatch_id 0
		.amdhsa_user_sgpr_flat_scratch_init 0
		.amdhsa_user_sgpr_kernarg_preload_length 0
		.amdhsa_user_sgpr_kernarg_preload_offset 0
		.amdhsa_user_sgpr_private_segment_size 0
		.amdhsa_uses_dynamic_stack 0
		.amdhsa_system_sgpr_private_segment_wavefront_offset 0
		.amdhsa_system_sgpr_workgroup_id_x 1
		.amdhsa_system_sgpr_workgroup_id_y 0
		.amdhsa_system_sgpr_workgroup_id_z 0
		.amdhsa_system_sgpr_workgroup_info 0
		.amdhsa_system_vgpr_workitem_id 1
		.amdhsa_next_free_vgpr 14
		.amdhsa_next_free_sgpr 18
		.amdhsa_accum_offset 16
		.amdhsa_reserve_vcc 1
		.amdhsa_reserve_flat_scratch 0
		.amdhsa_float_round_mode_32 0
		.amdhsa_float_round_mode_16_64 0
		.amdhsa_float_denorm_mode_32 3
		.amdhsa_float_denorm_mode_16_64 3
		.amdhsa_dx10_clamp 1
		.amdhsa_ieee_mode 1
		.amdhsa_fp16_overflow 0
		.amdhsa_tg_split 0
		.amdhsa_exception_fp_ieee_invalid_op 0
		.amdhsa_exception_fp_denorm_src 0
		.amdhsa_exception_fp_ieee_div_zero 0
		.amdhsa_exception_fp_ieee_overflow 0
		.amdhsa_exception_fp_ieee_underflow 0
		.amdhsa_exception_fp_ieee_inexact 0
		.amdhsa_exception_int_div_zero 0
	.end_amdhsa_kernel
	.section	.text._ZL28rocblas_dot_batched_4_kernelIiLi32ELi4ELb0EffPKPK16rocblas_bfloat16EviT5_lT_lS5_lS6_liPT4_,"axG",@progbits,_ZL28rocblas_dot_batched_4_kernelIiLi32ELi4ELb0EffPKPK16rocblas_bfloat16EviT5_lT_lS5_lS6_liPT4_,comdat
.Lfunc_end163:
	.size	_ZL28rocblas_dot_batched_4_kernelIiLi32ELi4ELb0EffPKPK16rocblas_bfloat16EviT5_lT_lS5_lS6_liPT4_, .Lfunc_end163-_ZL28rocblas_dot_batched_4_kernelIiLi32ELi4ELb0EffPKPK16rocblas_bfloat16EviT5_lT_lS5_lS6_liPT4_
                                        ; -- End function
	.section	.AMDGPU.csdata,"",@progbits
; Kernel info:
; codeLenInByte = 636
; NumSgprs: 22
; NumVgprs: 14
; NumAgprs: 0
; TotalNumVgprs: 14
; ScratchSize: 0
; MemoryBound: 0
; FloatMode: 240
; IeeeMode: 1
; LDSByteSize: 0 bytes/workgroup (compile time only)
; SGPRBlocks: 2
; VGPRBlocks: 1
; NumSGPRsForWavesPerEU: 22
; NumVGPRsForWavesPerEU: 14
; AccumOffset: 16
; Occupancy: 8
; WaveLimiterHint : 0
; COMPUTE_PGM_RSRC2:SCRATCH_EN: 0
; COMPUTE_PGM_RSRC2:USER_SGPR: 6
; COMPUTE_PGM_RSRC2:TRAP_HANDLER: 0
; COMPUTE_PGM_RSRC2:TGID_X_EN: 1
; COMPUTE_PGM_RSRC2:TGID_Y_EN: 0
; COMPUTE_PGM_RSRC2:TGID_Z_EN: 0
; COMPUTE_PGM_RSRC2:TIDIG_COMP_CNT: 1
; COMPUTE_PGM_RSRC3_GFX90A:ACCUM_OFFSET: 3
; COMPUTE_PGM_RSRC3_GFX90A:TG_SPLIT: 0
	.section	.text._ZL28rocblas_dot_batched_4_kernelIiLi64ELi4ELb0EffPKPK16rocblas_bfloat16EviT5_lT_lS5_lS6_liPT4_,"axG",@progbits,_ZL28rocblas_dot_batched_4_kernelIiLi64ELi4ELb0EffPKPK16rocblas_bfloat16EviT5_lT_lS5_lS6_liPT4_,comdat
	.globl	_ZL28rocblas_dot_batched_4_kernelIiLi64ELi4ELb0EffPKPK16rocblas_bfloat16EviT5_lT_lS5_lS6_liPT4_ ; -- Begin function _ZL28rocblas_dot_batched_4_kernelIiLi64ELi4ELb0EffPKPK16rocblas_bfloat16EviT5_lT_lS5_lS6_liPT4_
	.p2align	8
	.type	_ZL28rocblas_dot_batched_4_kernelIiLi64ELi4ELb0EffPKPK16rocblas_bfloat16EviT5_lT_lS5_lS6_liPT4_,@function
_ZL28rocblas_dot_batched_4_kernelIiLi64ELi4ELb0EffPKPK16rocblas_bfloat16EviT5_lT_lS5_lS6_liPT4_: ; @_ZL28rocblas_dot_batched_4_kernelIiLi64ELi4ELb0EffPKPK16rocblas_bfloat16EviT5_lT_lS5_lS6_liPT4_
; %bb.0:
	s_load_dword s0, s[4:5], 0x48
	v_bfe_u32 v1, v0, 10, 10
	v_lshl_add_u32 v2, s6, 2, v1
	s_waitcnt lgkmcnt(0)
	v_cmp_gt_u32_e32 vcc, s0, v2
	s_and_saveexec_b64 s[0:1], vcc
	s_cbranch_execz .LBB164_7
; %bb.1:
	s_load_dword s14, s[4:5], 0x0
	s_load_dwordx2 s[6:7], s[4:5], 0x50
	v_mov_b32_e32 v3, 0
	v_and_b32_e32 v6, 0x3ff, v0
	v_mov_b32_e32 v7, v3
	s_waitcnt lgkmcnt(0)
	v_cmp_gt_i32_e32 vcc, s14, v6
	s_and_saveexec_b64 s[12:13], vcc
	s_cbranch_execz .LBB164_5
; %bb.2:
	s_load_dwordx4 s[0:3], s[4:5], 0x8
	s_load_dwordx4 s[8:11], s[4:5], 0x28
	v_lshlrev_b64 v[0:1], 3, v[2:3]
	s_load_dword s16, s[4:5], 0x18
	s_waitcnt lgkmcnt(0)
	v_mov_b32_e32 v5, s1
	v_add_co_u32_e32 v4, vcc, s0, v0
	v_addc_co_u32_e32 v5, vcc, v5, v1, vcc
	global_load_dwordx2 v[4:5], v[4:5], off
	v_mov_b32_e32 v7, s9
	v_add_co_u32_e32 v0, vcc, s8, v0
	v_addc_co_u32_e32 v1, vcc, v7, v1, vcc
	global_load_dwordx2 v[10:11], v[0:1], off
	s_load_dword s4, s[4:5], 0x38
	v_mad_i64_i32 v[0:1], s[8:9], s16, v6, 0
	s_lshl_b64 s[8:9], s[2:3], 1
	v_lshlrev_b64 v[0:1], 1, v[0:1]
	s_waitcnt lgkmcnt(0)
	v_mad_i64_i32 v[8:9], s[2:3], s4, v6, 0
	v_mov_b32_e32 v12, s9
	v_add_co_u32_e32 v0, vcc, s8, v0
	s_lshl_b64 s[10:11], s[10:11], 1
	v_lshlrev_b64 v[8:9], 1, v[8:9]
	v_addc_co_u32_e32 v1, vcc, v1, v12, vcc
	v_mov_b32_e32 v13, s11
	v_add_co_u32_e32 v12, vcc, s10, v8
	v_addc_co_u32_e32 v13, vcc, v9, v13, vcc
	s_ashr_i32 s17, s16, 31
	s_ashr_i32 s5, s4, 31
	s_lshl_b64 s[2:3], s[16:17], 7
	s_lshl_b64 s[4:5], s[4:5], 7
	s_mov_b64 s[0:1], 0
	v_mov_b32_e32 v7, 0
	v_mov_b32_e32 v8, s3
	;; [unrolled: 1-line block ×3, first 2 shown]
	s_waitcnt vmcnt(1)
	v_add_co_u32_e32 v0, vcc, v4, v0
	v_addc_co_u32_e32 v1, vcc, v5, v1, vcc
	s_waitcnt vmcnt(0)
	v_add_co_u32_e32 v4, vcc, v10, v12
	v_addc_co_u32_e32 v5, vcc, v11, v13, vcc
	v_mov_b32_e32 v10, v6
.LBB164_3:                              ; =>This Inner Loop Header: Depth=1
	global_load_ushort v11, v[0:1], off
	global_load_ushort v12, v[4:5], off
	v_add_co_u32_e32 v0, vcc, s2, v0
	v_addc_co_u32_e32 v1, vcc, v1, v8, vcc
	v_add_co_u32_e32 v4, vcc, s4, v4
	v_add_u32_e32 v10, 64, v10
	v_addc_co_u32_e32 v5, vcc, v5, v9, vcc
	v_cmp_le_i32_e32 vcc, s14, v10
	s_or_b64 s[0:1], vcc, s[0:1]
	s_waitcnt vmcnt(1)
	v_lshlrev_b32_e32 v11, 16, v11
	s_waitcnt vmcnt(0)
	v_lshlrev_b32_e32 v12, 16, v12
	v_fmac_f32_e32 v7, v12, v11
	s_andn2_b64 exec, exec, s[0:1]
	s_cbranch_execnz .LBB164_3
; %bb.4:
	s_or_b64 exec, exec, s[0:1]
.LBB164_5:
	s_or_b64 exec, exec, s[12:13]
	v_mbcnt_lo_u32_b32 v0, -1, 0
	v_mbcnt_hi_u32_b32 v0, -1, v0
	v_and_b32_e32 v1, 63, v0
	v_cmp_gt_u32_e32 vcc, 32, v1
	v_cndmask_b32_e64 v4, 0, 1, vcc
	v_lshlrev_b32_e32 v4, 5, v4
	v_add_lshl_u32 v4, v4, v0, 2
	ds_bpermute_b32 v4, v4, v7
	v_cmp_gt_u32_e32 vcc, 48, v1
	v_cndmask_b32_e64 v5, 0, 1, vcc
	v_lshlrev_b32_e32 v5, 4, v5
	v_add_lshl_u32 v5, v5, v0, 2
	s_waitcnt lgkmcnt(0)
	v_add_f32_e32 v4, v7, v4
	ds_bpermute_b32 v5, v5, v4
	v_cmp_gt_u32_e32 vcc, 56, v1
	v_cndmask_b32_e64 v7, 0, 1, vcc
	v_lshlrev_b32_e32 v7, 3, v7
	v_cmp_gt_u32_e32 vcc, 60, v1
	s_waitcnt lgkmcnt(0)
	v_add_f32_e32 v4, v4, v5
	v_add_lshl_u32 v5, v7, v0, 2
	ds_bpermute_b32 v5, v5, v4
	v_cndmask_b32_e64 v7, 0, 1, vcc
	v_lshlrev_b32_e32 v7, 2, v7
	v_cmp_gt_u32_e32 vcc, 62, v1
	s_waitcnt lgkmcnt(0)
	v_add_f32_e32 v4, v4, v5
	v_add_lshl_u32 v5, v7, v0, 2
	ds_bpermute_b32 v5, v5, v4
	v_cndmask_b32_e64 v7, 0, 1, vcc
	v_lshlrev_b32_e32 v7, 1, v7
	v_cmp_ne_u32_e32 vcc, 63, v1
	v_addc_co_u32_e32 v1, vcc, 0, v0, vcc
	s_waitcnt lgkmcnt(0)
	v_add_f32_e32 v4, v4, v5
	v_add_lshl_u32 v5, v7, v0, 2
	ds_bpermute_b32 v5, v5, v4
	v_lshlrev_b32_e32 v1, 2, v1
	v_cmp_eq_u32_e32 vcc, 0, v6
	s_barrier
	s_waitcnt lgkmcnt(0)
	v_add_f32_e32 v0, v4, v5
	ds_bpermute_b32 v1, v1, v0
	s_and_b64 exec, exec, vcc
	s_cbranch_execz .LBB164_7
; %bb.6:
	v_lshlrev_b64 v[2:3], 2, v[2:3]
	v_mov_b32_e32 v4, s7
	v_add_co_u32_e32 v2, vcc, s6, v2
	v_addc_co_u32_e32 v3, vcc, v4, v3, vcc
	s_waitcnt lgkmcnt(0)
	v_add_f32_e32 v0, v0, v1
	global_store_dword v[2:3], v0, off
.LBB164_7:
	s_endpgm
	.section	.rodata,"a",@progbits
	.p2align	6, 0x0
	.amdhsa_kernel _ZL28rocblas_dot_batched_4_kernelIiLi64ELi4ELb0EffPKPK16rocblas_bfloat16EviT5_lT_lS5_lS6_liPT4_
		.amdhsa_group_segment_fixed_size 0
		.amdhsa_private_segment_fixed_size 0
		.amdhsa_kernarg_size 88
		.amdhsa_user_sgpr_count 6
		.amdhsa_user_sgpr_private_segment_buffer 1
		.amdhsa_user_sgpr_dispatch_ptr 0
		.amdhsa_user_sgpr_queue_ptr 0
		.amdhsa_user_sgpr_kernarg_segment_ptr 1
		.amdhsa_user_sgpr_dispatch_id 0
		.amdhsa_user_sgpr_flat_scratch_init 0
		.amdhsa_user_sgpr_kernarg_preload_length 0
		.amdhsa_user_sgpr_kernarg_preload_offset 0
		.amdhsa_user_sgpr_private_segment_size 0
		.amdhsa_uses_dynamic_stack 0
		.amdhsa_system_sgpr_private_segment_wavefront_offset 0
		.amdhsa_system_sgpr_workgroup_id_x 1
		.amdhsa_system_sgpr_workgroup_id_y 0
		.amdhsa_system_sgpr_workgroup_id_z 0
		.amdhsa_system_sgpr_workgroup_info 0
		.amdhsa_system_vgpr_workitem_id 1
		.amdhsa_next_free_vgpr 14
		.amdhsa_next_free_sgpr 18
		.amdhsa_accum_offset 16
		.amdhsa_reserve_vcc 1
		.amdhsa_reserve_flat_scratch 0
		.amdhsa_float_round_mode_32 0
		.amdhsa_float_round_mode_16_64 0
		.amdhsa_float_denorm_mode_32 3
		.amdhsa_float_denorm_mode_16_64 3
		.amdhsa_dx10_clamp 1
		.amdhsa_ieee_mode 1
		.amdhsa_fp16_overflow 0
		.amdhsa_tg_split 0
		.amdhsa_exception_fp_ieee_invalid_op 0
		.amdhsa_exception_fp_denorm_src 0
		.amdhsa_exception_fp_ieee_div_zero 0
		.amdhsa_exception_fp_ieee_overflow 0
		.amdhsa_exception_fp_ieee_underflow 0
		.amdhsa_exception_fp_ieee_inexact 0
		.amdhsa_exception_int_div_zero 0
	.end_amdhsa_kernel
	.section	.text._ZL28rocblas_dot_batched_4_kernelIiLi64ELi4ELb0EffPKPK16rocblas_bfloat16EviT5_lT_lS5_lS6_liPT4_,"axG",@progbits,_ZL28rocblas_dot_batched_4_kernelIiLi64ELi4ELb0EffPKPK16rocblas_bfloat16EviT5_lT_lS5_lS6_liPT4_,comdat
.Lfunc_end164:
	.size	_ZL28rocblas_dot_batched_4_kernelIiLi64ELi4ELb0EffPKPK16rocblas_bfloat16EviT5_lT_lS5_lS6_liPT4_, .Lfunc_end164-_ZL28rocblas_dot_batched_4_kernelIiLi64ELi4ELb0EffPKPK16rocblas_bfloat16EviT5_lT_lS5_lS6_liPT4_
                                        ; -- End function
	.section	.AMDGPU.csdata,"",@progbits
; Kernel info:
; codeLenInByte = 676
; NumSgprs: 22
; NumVgprs: 14
; NumAgprs: 0
; TotalNumVgprs: 14
; ScratchSize: 0
; MemoryBound: 0
; FloatMode: 240
; IeeeMode: 1
; LDSByteSize: 0 bytes/workgroup (compile time only)
; SGPRBlocks: 2
; VGPRBlocks: 1
; NumSGPRsForWavesPerEU: 22
; NumVGPRsForWavesPerEU: 14
; AccumOffset: 16
; Occupancy: 8
; WaveLimiterHint : 0
; COMPUTE_PGM_RSRC2:SCRATCH_EN: 0
; COMPUTE_PGM_RSRC2:USER_SGPR: 6
; COMPUTE_PGM_RSRC2:TRAP_HANDLER: 0
; COMPUTE_PGM_RSRC2:TGID_X_EN: 1
; COMPUTE_PGM_RSRC2:TGID_Y_EN: 0
; COMPUTE_PGM_RSRC2:TGID_Z_EN: 0
; COMPUTE_PGM_RSRC2:TIDIG_COMP_CNT: 1
; COMPUTE_PGM_RSRC3_GFX90A:ACCUM_OFFSET: 3
; COMPUTE_PGM_RSRC3_GFX90A:TG_SPLIT: 0
	.section	.text._ZL18rocblas_dot_kernelIiLb1ELi1024ELi32ELb0EfPKPK16rocblas_bfloat16fEviT5_lT_lS5_lS6_liPT6_PT4_,"axG",@progbits,_ZL18rocblas_dot_kernelIiLb1ELi1024ELi32ELb0EfPKPK16rocblas_bfloat16fEviT5_lT_lS5_lS6_liPT6_PT4_,comdat
	.globl	_ZL18rocblas_dot_kernelIiLb1ELi1024ELi32ELb0EfPKPK16rocblas_bfloat16fEviT5_lT_lS5_lS6_liPT6_PT4_ ; -- Begin function _ZL18rocblas_dot_kernelIiLb1ELi1024ELi32ELb0EfPKPK16rocblas_bfloat16fEviT5_lT_lS5_lS6_liPT6_PT4_
	.p2align	8
	.type	_ZL18rocblas_dot_kernelIiLb1ELi1024ELi32ELb0EfPKPK16rocblas_bfloat16fEviT5_lT_lS5_lS6_liPT6_PT4_,@function
_ZL18rocblas_dot_kernelIiLb1ELi1024ELi32ELb0EfPKPK16rocblas_bfloat16fEviT5_lT_lS5_lS6_liPT6_PT4_: ; @_ZL18rocblas_dot_kernelIiLb1ELi1024ELi32ELb0EfPKPK16rocblas_bfloat16fEviT5_lT_lS5_lS6_liPT6_PT4_
; %bb.0:
	s_mov_b32 s2, s7
	s_load_dword s14, s[4:5], 0x0
	s_load_dwordx2 s[6:7], s[4:5], 0x58
	s_mov_b32 s3, 0
	v_mov_b32_e32 v1, 0
	s_waitcnt lgkmcnt(0)
	v_cmp_gt_i32_e32 vcc, s14, v0
	s_and_saveexec_b64 s[8:9], vcc
	s_cbranch_execz .LBB165_4
; %bb.1:
	s_load_dwordx4 s[16:19], s[4:5], 0x8
	s_load_dword s24, s[4:5], 0x18
	s_load_dwordx4 s[20:23], s[4:5], 0x28
	s_lshl_b64 s[0:1], s[2:3], 3
	s_waitcnt lgkmcnt(0)
	s_add_u32 s10, s16, s0
	s_addc_u32 s11, s17, s1
	s_load_dword s16, s[4:5], 0x38
	s_load_dword s15, s[4:5], 0x60
	s_load_dwordx2 s[12:13], s[10:11], 0x0
	s_add_u32 s0, s20, s0
	s_addc_u32 s1, s21, s1
	v_mad_i64_i32 v[2:3], s[4:5], s24, v0, 0
	s_load_dwordx2 s[0:1], s[0:1], 0x0
	s_waitcnt lgkmcnt(0)
	s_lshl_b32 s15, s15, 10
	s_lshl_b64 s[4:5], s[18:19], 1
	s_add_u32 s4, s12, s4
	v_lshlrev_b64 v[2:3], 1, v[2:3]
	s_addc_u32 s5, s13, s5
	v_mov_b32_e32 v1, s5
	v_add_co_u32_e32 v2, vcc, s4, v2
	s_mul_hi_i32 s5, s24, s15
	s_mul_i32 s4, s24, s15
	v_mad_i64_i32 v[4:5], s[10:11], s16, v0, 0
	s_lshl_b64 s[4:5], s[4:5], 1
	s_lshl_b64 s[10:11], s[22:23], 1
	s_add_u32 s0, s0, s10
	v_addc_co_u32_e32 v3, vcc, v1, v3, vcc
	v_lshlrev_b64 v[4:5], 1, v[4:5]
	s_addc_u32 s1, s1, s11
	v_mov_b32_e32 v1, s1
	v_add_co_u32_e32 v4, vcc, s0, v4
	s_mul_hi_i32 s1, s16, s15
	s_mul_i32 s0, s16, s15
	s_lshl_b64 s[12:13], s[0:1], 1
	v_or_b32_e32 v6, s15, v0
	v_addc_co_u32_e32 v5, vcc, v1, v5, vcc
	s_mov_b64 s[10:11], 0
	v_mov_b32_e32 v1, 0
	v_mov_b32_e32 v7, s5
	;; [unrolled: 1-line block ×3, first 2 shown]
	s_mov_b32 s5, s3
.LBB165_2:                              ; =>This Inner Loop Header: Depth=1
	global_load_ushort v9, v[4:5], off
	global_load_ushort v10, v[2:3], off
	v_add_co_u32_e64 v2, s[0:1], s4, v2
	v_addc_co_u32_e64 v3, s[0:1], v3, v7, s[0:1]
	s_add_i32 s13, s5, 1
	v_add_co_u32_e64 v4, s[0:1], s12, v4
	v_addc_co_u32_e64 v5, s[0:1], v5, v8, s[0:1]
	s_cmp_gt_u32 s5, 30
	v_cmp_le_i32_e32 vcc, s14, v6
	s_cselect_b64 s[0:1], -1, 0
	s_or_b64 s[0:1], s[0:1], vcc
	s_and_b64 s[0:1], exec, s[0:1]
	v_add_u32_e32 v6, s15, v6
	s_mov_b32 s5, s13
	s_or_b64 s[10:11], s[0:1], s[10:11]
	s_waitcnt vmcnt(1)
	v_lshlrev_b32_e32 v9, 16, v9
	s_waitcnt vmcnt(0)
	v_lshlrev_b32_e32 v10, 16, v10
	v_fmac_f32_e32 v1, v10, v9
	s_andn2_b64 exec, exec, s[10:11]
	s_cbranch_execnz .LBB165_2
; %bb.3:
	s_or_b64 exec, exec, s[10:11]
.LBB165_4:
	s_or_b64 exec, exec, s[8:9]
	v_and_b32_e32 v3, 63, v0
	v_cmp_gt_u32_e32 vcc, 64, v0
	v_lshlrev_b32_e32 v2, 2, v3
	s_and_saveexec_b64 s[0:1], vcc
	s_cbranch_execz .LBB165_6
; %bb.5:
	v_mov_b32_e32 v4, 0
	ds_write_b32 v2, v4
.LBB165_6:
	s_or_b64 exec, exec, s[0:1]
	v_mbcnt_lo_u32_b32 v4, -1, 0
	v_mbcnt_hi_u32_b32 v6, -1, v4
	v_and_b32_e32 v7, 63, v6
	v_cmp_gt_u32_e64 s[0:1], 32, v7
	v_cndmask_b32_e64 v4, 0, 1, s[0:1]
	v_lshlrev_b32_e32 v4, 5, v4
	v_add_lshl_u32 v4, v4, v6, 2
	ds_bpermute_b32 v4, v4, v1
	v_cmp_gt_u32_e64 s[0:1], 48, v7
	v_cndmask_b32_e64 v5, 0, 1, s[0:1]
	v_lshlrev_b32_e32 v5, 4, v5
	v_cmp_gt_u32_e64 s[0:1], 56, v7
	s_waitcnt lgkmcnt(0)
	v_add_f32_e32 v1, v1, v4
	v_add_lshl_u32 v4, v5, v6, 2
	ds_bpermute_b32 v4, v4, v1
	v_cndmask_b32_e64 v5, 0, 1, s[0:1]
	v_lshlrev_b32_e32 v5, 3, v5
	v_cmp_gt_u32_e64 s[0:1], 60, v7
	v_cndmask_b32_e64 v8, 0, 1, s[0:1]
	s_waitcnt lgkmcnt(0)
	v_add_f32_e32 v4, v1, v4
	v_add_lshl_u32 v1, v5, v6, 2
	ds_bpermute_b32 v5, v1, v4
	v_lshlrev_b32_e32 v8, 2, v8
	v_cmp_gt_u32_e64 s[0:1], 62, v7
	v_cndmask_b32_e64 v9, 0, 1, s[0:1]
	v_lshlrev_b32_e32 v9, 1, v9
	s_waitcnt lgkmcnt(0)
	v_add_f32_e32 v5, v4, v5
	v_add_lshl_u32 v4, v8, v6, 2
	ds_bpermute_b32 v8, v4, v5
	v_cmp_ne_u32_e64 s[0:1], 63, v7
	s_waitcnt lgkmcnt(0)
	s_barrier
	v_add_f32_e32 v8, v5, v8
	v_add_lshl_u32 v5, v9, v6, 2
	ds_bpermute_b32 v9, v5, v8
	v_addc_co_u32_e64 v6, s[0:1], 0, v6, s[0:1]
	v_lshlrev_b32_e32 v6, 2, v6
	v_cmp_eq_u32_e64 s[0:1], 0, v3
	s_waitcnt lgkmcnt(0)
	v_add_f32_e32 v7, v8, v9
	ds_bpermute_b32 v8, v6, v7
	s_and_saveexec_b64 s[4:5], s[0:1]
	s_cbranch_execz .LBB165_8
; %bb.7:
	s_waitcnt lgkmcnt(0)
	v_add_f32_e32 v3, v7, v8
	v_lshrrev_b32_e32 v7, 4, v0
	v_and_b32_e32 v7, 60, v7
	ds_write_b32 v7, v3
.LBB165_8:
	s_or_b64 exec, exec, s[4:5]
	v_cmp_gt_u32_e64 s[0:1], 16, v0
	v_mov_b32_e32 v3, 0
	s_waitcnt lgkmcnt(0)
	s_barrier
	s_and_saveexec_b64 s[4:5], s[0:1]
	s_cbranch_execnz .LBB165_12
; %bb.9:
	s_or_b64 exec, exec, s[4:5]
	s_and_saveexec_b64 s[0:1], vcc
	s_cbranch_execnz .LBB165_13
.LBB165_10:
	s_or_b64 exec, exec, s[0:1]
	v_cmp_eq_u32_e32 vcc, 0, v0
	s_and_saveexec_b64 s[0:1], vcc
	s_cbranch_execnz .LBB165_14
.LBB165_11:
	s_endpgm
.LBB165_12:
	ds_read_b32 v3, v2
	s_or_b64 exec, exec, s[4:5]
	s_and_saveexec_b64 s[0:1], vcc
	s_cbranch_execz .LBB165_10
.LBB165_13:
	s_waitcnt lgkmcnt(0)
	ds_bpermute_b32 v1, v1, v3
	s_waitcnt lgkmcnt(0)
	v_add_f32_e32 v1, v3, v1
	ds_bpermute_b32 v2, v4, v1
	s_waitcnt lgkmcnt(0)
	v_add_f32_e32 v1, v1, v2
	;; [unrolled: 3-line block ×4, first 2 shown]
	s_or_b64 exec, exec, s[0:1]
	v_cmp_eq_u32_e32 vcc, 0, v0
	s_and_saveexec_b64 s[0:1], vcc
	s_cbranch_execz .LBB165_11
.LBB165_14:
	s_lshl_b64 s[0:1], s[2:3], 2
	s_add_u32 s0, s6, s0
	s_addc_u32 s1, s7, s1
	v_mov_b32_e32 v0, 0
	s_waitcnt lgkmcnt(0)
	global_store_dword v0, v3, s[0:1]
	s_endpgm
	.section	.rodata,"a",@progbits
	.p2align	6, 0x0
	.amdhsa_kernel _ZL18rocblas_dot_kernelIiLb1ELi1024ELi32ELb0EfPKPK16rocblas_bfloat16fEviT5_lT_lS5_lS6_liPT6_PT4_
		.amdhsa_group_segment_fixed_size 256
		.amdhsa_private_segment_fixed_size 0
		.amdhsa_kernarg_size 352
		.amdhsa_user_sgpr_count 6
		.amdhsa_user_sgpr_private_segment_buffer 1
		.amdhsa_user_sgpr_dispatch_ptr 0
		.amdhsa_user_sgpr_queue_ptr 0
		.amdhsa_user_sgpr_kernarg_segment_ptr 1
		.amdhsa_user_sgpr_dispatch_id 0
		.amdhsa_user_sgpr_flat_scratch_init 0
		.amdhsa_user_sgpr_kernarg_preload_length 0
		.amdhsa_user_sgpr_kernarg_preload_offset 0
		.amdhsa_user_sgpr_private_segment_size 0
		.amdhsa_uses_dynamic_stack 0
		.amdhsa_system_sgpr_private_segment_wavefront_offset 0
		.amdhsa_system_sgpr_workgroup_id_x 1
		.amdhsa_system_sgpr_workgroup_id_y 0
		.amdhsa_system_sgpr_workgroup_id_z 1
		.amdhsa_system_sgpr_workgroup_info 0
		.amdhsa_system_vgpr_workitem_id 0
		.amdhsa_next_free_vgpr 11
		.amdhsa_next_free_sgpr 25
		.amdhsa_accum_offset 12
		.amdhsa_reserve_vcc 1
		.amdhsa_reserve_flat_scratch 0
		.amdhsa_float_round_mode_32 0
		.amdhsa_float_round_mode_16_64 0
		.amdhsa_float_denorm_mode_32 3
		.amdhsa_float_denorm_mode_16_64 3
		.amdhsa_dx10_clamp 1
		.amdhsa_ieee_mode 1
		.amdhsa_fp16_overflow 0
		.amdhsa_tg_split 0
		.amdhsa_exception_fp_ieee_invalid_op 0
		.amdhsa_exception_fp_denorm_src 0
		.amdhsa_exception_fp_ieee_div_zero 0
		.amdhsa_exception_fp_ieee_overflow 0
		.amdhsa_exception_fp_ieee_underflow 0
		.amdhsa_exception_fp_ieee_inexact 0
		.amdhsa_exception_int_div_zero 0
	.end_amdhsa_kernel
	.section	.text._ZL18rocblas_dot_kernelIiLb1ELi1024ELi32ELb0EfPKPK16rocblas_bfloat16fEviT5_lT_lS5_lS6_liPT6_PT4_,"axG",@progbits,_ZL18rocblas_dot_kernelIiLb1ELi1024ELi32ELb0EfPKPK16rocblas_bfloat16fEviT5_lT_lS5_lS6_liPT6_PT4_,comdat
.Lfunc_end165:
	.size	_ZL18rocblas_dot_kernelIiLb1ELi1024ELi32ELb0EfPKPK16rocblas_bfloat16fEviT5_lT_lS5_lS6_liPT6_PT4_, .Lfunc_end165-_ZL18rocblas_dot_kernelIiLb1ELi1024ELi32ELb0EfPKPK16rocblas_bfloat16fEviT5_lT_lS5_lS6_liPT6_PT4_
                                        ; -- End function
	.section	.AMDGPU.csdata,"",@progbits
; Kernel info:
; codeLenInByte = 928
; NumSgprs: 29
; NumVgprs: 11
; NumAgprs: 0
; TotalNumVgprs: 11
; ScratchSize: 0
; MemoryBound: 0
; FloatMode: 240
; IeeeMode: 1
; LDSByteSize: 256 bytes/workgroup (compile time only)
; SGPRBlocks: 3
; VGPRBlocks: 1
; NumSGPRsForWavesPerEU: 29
; NumVGPRsForWavesPerEU: 11
; AccumOffset: 12
; Occupancy: 8
; WaveLimiterHint : 0
; COMPUTE_PGM_RSRC2:SCRATCH_EN: 0
; COMPUTE_PGM_RSRC2:USER_SGPR: 6
; COMPUTE_PGM_RSRC2:TRAP_HANDLER: 0
; COMPUTE_PGM_RSRC2:TGID_X_EN: 1
; COMPUTE_PGM_RSRC2:TGID_Y_EN: 0
; COMPUTE_PGM_RSRC2:TGID_Z_EN: 1
; COMPUTE_PGM_RSRC2:TIDIG_COMP_CNT: 0
; COMPUTE_PGM_RSRC3_GFX90A:ACCUM_OFFSET: 2
; COMPUTE_PGM_RSRC3_GFX90A:TG_SPLIT: 0
	.section	.text._ZL24rocblas_dot_kernel_magsqIiLb1ELi1024ELi32ELb0EfPKPK16rocblas_bfloat16fEviT5_lT_liPT6_PT4_,"axG",@progbits,_ZL24rocblas_dot_kernel_magsqIiLb1ELi1024ELi32ELb0EfPKPK16rocblas_bfloat16fEviT5_lT_liPT6_PT4_,comdat
	.globl	_ZL24rocblas_dot_kernel_magsqIiLb1ELi1024ELi32ELb0EfPKPK16rocblas_bfloat16fEviT5_lT_liPT6_PT4_ ; -- Begin function _ZL24rocblas_dot_kernel_magsqIiLb1ELi1024ELi32ELb0EfPKPK16rocblas_bfloat16fEviT5_lT_liPT6_PT4_
	.p2align	8
	.type	_ZL24rocblas_dot_kernel_magsqIiLb1ELi1024ELi32ELb0EfPKPK16rocblas_bfloat16fEviT5_lT_liPT6_PT4_,@function
_ZL24rocblas_dot_kernel_magsqIiLb1ELi1024ELi32ELb0EfPKPK16rocblas_bfloat16fEviT5_lT_liPT6_PT4_: ; @_ZL24rocblas_dot_kernel_magsqIiLb1ELi1024ELi32ELb0EfPKPK16rocblas_bfloat16fEviT5_lT_liPT6_PT4_
; %bb.0:
	s_mov_b32 s2, s7
	s_load_dword s12, s[4:5], 0x0
	s_load_dwordx2 s[6:7], s[4:5], 0x38
	s_mov_b32 s3, 0
	v_mov_b32_e32 v1, 0
	s_waitcnt lgkmcnt(0)
	v_cmp_gt_i32_e32 vcc, s12, v0
	s_and_saveexec_b64 s[8:9], vcc
	s_cbranch_execz .LBB166_4
; %bb.1:
	s_load_dwordx4 s[16:19], s[4:5], 0x8
	s_load_dword s10, s[4:5], 0x40
	s_load_dword s11, s[4:5], 0x18
	s_lshl_b64 s[0:1], s[2:3], 3
	s_waitcnt lgkmcnt(0)
	s_add_u32 s0, s16, s0
	s_addc_u32 s1, s17, s1
	s_load_dwordx2 s[0:1], s[0:1], 0x0
	v_mad_i64_i32 v[2:3], s[4:5], s11, v0, 0
	s_lshl_b32 s13, s10, 10
	s_lshl_b64 s[4:5], s[18:19], 1
	s_waitcnt lgkmcnt(0)
	s_add_u32 s0, s0, s4
	v_lshlrev_b64 v[2:3], 1, v[2:3]
	s_addc_u32 s1, s1, s5
	v_mov_b32_e32 v1, s1
	v_add_co_u32_e32 v2, vcc, s0, v2
	s_mul_hi_i32 s1, s11, s13
	s_mul_i32 s0, s11, s13
	s_lshl_b64 s[10:11], s[0:1], 1
	v_or_b32_e32 v4, s13, v0
	v_addc_co_u32_e32 v3, vcc, v1, v3, vcc
	s_mov_b64 s[4:5], 0
	v_mov_b32_e32 v1, 0
	v_mov_b32_e32 v5, s11
	s_mov_b32 s11, s3
.LBB166_2:                              ; =>This Inner Loop Header: Depth=1
	global_load_ushort v6, v[2:3], off
	s_add_i32 s14, s11, 1
	v_add_co_u32_e64 v2, s[0:1], s10, v2
	v_addc_co_u32_e64 v3, s[0:1], v3, v5, s[0:1]
	s_cmp_gt_u32 s11, 30
	v_cmp_le_i32_e32 vcc, s12, v4
	s_cselect_b64 s[0:1], -1, 0
	s_or_b64 s[0:1], s[0:1], vcc
	s_and_b64 s[0:1], exec, s[0:1]
	v_add_u32_e32 v4, s13, v4
	s_mov_b32 s11, s14
	s_or_b64 s[4:5], s[0:1], s[4:5]
	s_waitcnt vmcnt(0)
	v_lshlrev_b32_e32 v6, 16, v6
	v_fmac_f32_e32 v1, v6, v6
	s_andn2_b64 exec, exec, s[4:5]
	s_cbranch_execnz .LBB166_2
; %bb.3:
	s_or_b64 exec, exec, s[4:5]
.LBB166_4:
	s_or_b64 exec, exec, s[8:9]
	v_and_b32_e32 v3, 63, v0
	v_cmp_gt_u32_e32 vcc, 64, v0
	v_lshlrev_b32_e32 v2, 2, v3
	s_and_saveexec_b64 s[0:1], vcc
	s_cbranch_execz .LBB166_6
; %bb.5:
	v_mov_b32_e32 v4, 0
	ds_write_b32 v2, v4
.LBB166_6:
	s_or_b64 exec, exec, s[0:1]
	v_mbcnt_lo_u32_b32 v4, -1, 0
	v_mbcnt_hi_u32_b32 v6, -1, v4
	v_and_b32_e32 v7, 63, v6
	v_cmp_gt_u32_e64 s[0:1], 32, v7
	v_cndmask_b32_e64 v4, 0, 1, s[0:1]
	v_lshlrev_b32_e32 v4, 5, v4
	v_add_lshl_u32 v4, v4, v6, 2
	ds_bpermute_b32 v4, v4, v1
	v_cmp_gt_u32_e64 s[0:1], 48, v7
	v_cndmask_b32_e64 v5, 0, 1, s[0:1]
	v_lshlrev_b32_e32 v5, 4, v5
	v_cmp_gt_u32_e64 s[0:1], 56, v7
	s_waitcnt lgkmcnt(0)
	v_add_f32_e32 v1, v1, v4
	v_add_lshl_u32 v4, v5, v6, 2
	ds_bpermute_b32 v4, v4, v1
	v_cndmask_b32_e64 v5, 0, 1, s[0:1]
	v_lshlrev_b32_e32 v5, 3, v5
	v_cmp_gt_u32_e64 s[0:1], 60, v7
	v_cndmask_b32_e64 v8, 0, 1, s[0:1]
	s_waitcnt lgkmcnt(0)
	v_add_f32_e32 v4, v1, v4
	v_add_lshl_u32 v1, v5, v6, 2
	ds_bpermute_b32 v5, v1, v4
	v_lshlrev_b32_e32 v8, 2, v8
	v_cmp_gt_u32_e64 s[0:1], 62, v7
	v_cndmask_b32_e64 v9, 0, 1, s[0:1]
	v_lshlrev_b32_e32 v9, 1, v9
	s_waitcnt lgkmcnt(0)
	v_add_f32_e32 v5, v4, v5
	v_add_lshl_u32 v4, v8, v6, 2
	ds_bpermute_b32 v8, v4, v5
	v_cmp_ne_u32_e64 s[0:1], 63, v7
	s_waitcnt lgkmcnt(0)
	s_barrier
	v_add_f32_e32 v8, v5, v8
	v_add_lshl_u32 v5, v9, v6, 2
	ds_bpermute_b32 v9, v5, v8
	v_addc_co_u32_e64 v6, s[0:1], 0, v6, s[0:1]
	v_lshlrev_b32_e32 v6, 2, v6
	v_cmp_eq_u32_e64 s[0:1], 0, v3
	s_waitcnt lgkmcnt(0)
	v_add_f32_e32 v7, v8, v9
	ds_bpermute_b32 v8, v6, v7
	s_and_saveexec_b64 s[4:5], s[0:1]
	s_cbranch_execz .LBB166_8
; %bb.7:
	s_waitcnt lgkmcnt(0)
	v_add_f32_e32 v3, v7, v8
	v_lshrrev_b32_e32 v7, 4, v0
	v_and_b32_e32 v7, 60, v7
	ds_write_b32 v7, v3
.LBB166_8:
	s_or_b64 exec, exec, s[4:5]
	v_cmp_gt_u32_e64 s[0:1], 16, v0
	v_mov_b32_e32 v3, 0
	s_waitcnt lgkmcnt(0)
	s_barrier
	s_and_saveexec_b64 s[4:5], s[0:1]
	s_cbranch_execnz .LBB166_12
; %bb.9:
	s_or_b64 exec, exec, s[4:5]
	s_and_saveexec_b64 s[0:1], vcc
	s_cbranch_execnz .LBB166_13
.LBB166_10:
	s_or_b64 exec, exec, s[0:1]
	v_cmp_eq_u32_e32 vcc, 0, v0
	s_and_saveexec_b64 s[0:1], vcc
	s_cbranch_execnz .LBB166_14
.LBB166_11:
	s_endpgm
.LBB166_12:
	ds_read_b32 v3, v2
	s_or_b64 exec, exec, s[4:5]
	s_and_saveexec_b64 s[0:1], vcc
	s_cbranch_execz .LBB166_10
.LBB166_13:
	s_waitcnt lgkmcnt(0)
	ds_bpermute_b32 v1, v1, v3
	s_waitcnt lgkmcnt(0)
	v_add_f32_e32 v1, v3, v1
	ds_bpermute_b32 v2, v4, v1
	s_waitcnt lgkmcnt(0)
	v_add_f32_e32 v1, v1, v2
	ds_bpermute_b32 v2, v5, v1
	s_waitcnt lgkmcnt(0)
	v_add_f32_e32 v1, v1, v2
	ds_bpermute_b32 v2, v6, v1
	s_waitcnt lgkmcnt(0)
	v_add_f32_e32 v3, v1, v2
	s_or_b64 exec, exec, s[0:1]
	v_cmp_eq_u32_e32 vcc, 0, v0
	s_and_saveexec_b64 s[0:1], vcc
	s_cbranch_execz .LBB166_11
.LBB166_14:
	s_lshl_b64 s[0:1], s[2:3], 2
	s_add_u32 s0, s6, s0
	s_addc_u32 s1, s7, s1
	v_mov_b32_e32 v0, 0
	s_waitcnt lgkmcnt(0)
	global_store_dword v0, v3, s[0:1]
	s_endpgm
	.section	.rodata,"a",@progbits
	.p2align	6, 0x0
	.amdhsa_kernel _ZL24rocblas_dot_kernel_magsqIiLb1ELi1024ELi32ELb0EfPKPK16rocblas_bfloat16fEviT5_lT_liPT6_PT4_
		.amdhsa_group_segment_fixed_size 256
		.amdhsa_private_segment_fixed_size 0
		.amdhsa_kernarg_size 320
		.amdhsa_user_sgpr_count 6
		.amdhsa_user_sgpr_private_segment_buffer 1
		.amdhsa_user_sgpr_dispatch_ptr 0
		.amdhsa_user_sgpr_queue_ptr 0
		.amdhsa_user_sgpr_kernarg_segment_ptr 1
		.amdhsa_user_sgpr_dispatch_id 0
		.amdhsa_user_sgpr_flat_scratch_init 0
		.amdhsa_user_sgpr_kernarg_preload_length 0
		.amdhsa_user_sgpr_kernarg_preload_offset 0
		.amdhsa_user_sgpr_private_segment_size 0
		.amdhsa_uses_dynamic_stack 0
		.amdhsa_system_sgpr_private_segment_wavefront_offset 0
		.amdhsa_system_sgpr_workgroup_id_x 1
		.amdhsa_system_sgpr_workgroup_id_y 0
		.amdhsa_system_sgpr_workgroup_id_z 1
		.amdhsa_system_sgpr_workgroup_info 0
		.amdhsa_system_vgpr_workitem_id 0
		.amdhsa_next_free_vgpr 10
		.amdhsa_next_free_sgpr 20
		.amdhsa_accum_offset 12
		.amdhsa_reserve_vcc 1
		.amdhsa_reserve_flat_scratch 0
		.amdhsa_float_round_mode_32 0
		.amdhsa_float_round_mode_16_64 0
		.amdhsa_float_denorm_mode_32 3
		.amdhsa_float_denorm_mode_16_64 3
		.amdhsa_dx10_clamp 1
		.amdhsa_ieee_mode 1
		.amdhsa_fp16_overflow 0
		.amdhsa_tg_split 0
		.amdhsa_exception_fp_ieee_invalid_op 0
		.amdhsa_exception_fp_denorm_src 0
		.amdhsa_exception_fp_ieee_div_zero 0
		.amdhsa_exception_fp_ieee_overflow 0
		.amdhsa_exception_fp_ieee_underflow 0
		.amdhsa_exception_fp_ieee_inexact 0
		.amdhsa_exception_int_div_zero 0
	.end_amdhsa_kernel
	.section	.text._ZL24rocblas_dot_kernel_magsqIiLb1ELi1024ELi32ELb0EfPKPK16rocblas_bfloat16fEviT5_lT_liPT6_PT4_,"axG",@progbits,_ZL24rocblas_dot_kernel_magsqIiLb1ELi1024ELi32ELb0EfPKPK16rocblas_bfloat16fEviT5_lT_liPT6_PT4_,comdat
.Lfunc_end166:
	.size	_ZL24rocblas_dot_kernel_magsqIiLb1ELi1024ELi32ELb0EfPKPK16rocblas_bfloat16fEviT5_lT_liPT6_PT4_, .Lfunc_end166-_ZL24rocblas_dot_kernel_magsqIiLb1ELi1024ELi32ELb0EfPKPK16rocblas_bfloat16fEviT5_lT_liPT6_PT4_
                                        ; -- End function
	.section	.AMDGPU.csdata,"",@progbits
; Kernel info:
; codeLenInByte = 808
; NumSgprs: 24
; NumVgprs: 10
; NumAgprs: 0
; TotalNumVgprs: 10
; ScratchSize: 0
; MemoryBound: 0
; FloatMode: 240
; IeeeMode: 1
; LDSByteSize: 256 bytes/workgroup (compile time only)
; SGPRBlocks: 2
; VGPRBlocks: 1
; NumSGPRsForWavesPerEU: 24
; NumVGPRsForWavesPerEU: 10
; AccumOffset: 12
; Occupancy: 8
; WaveLimiterHint : 0
; COMPUTE_PGM_RSRC2:SCRATCH_EN: 0
; COMPUTE_PGM_RSRC2:USER_SGPR: 6
; COMPUTE_PGM_RSRC2:TRAP_HANDLER: 0
; COMPUTE_PGM_RSRC2:TGID_X_EN: 1
; COMPUTE_PGM_RSRC2:TGID_Y_EN: 0
; COMPUTE_PGM_RSRC2:TGID_Z_EN: 1
; COMPUTE_PGM_RSRC2:TIDIG_COMP_CNT: 0
; COMPUTE_PGM_RSRC3_GFX90A:ACCUM_OFFSET: 2
; COMPUTE_PGM_RSRC3_GFX90A:TG_SPLIT: 0
	.section	.text._ZL38rocblas_dot_kernel_gfx942_float_doubleIiLi1024EfPKPK16rocblas_bfloat16fEviT2_lT_lS5_lS6_lPT3_PT1_,"axG",@progbits,_ZL38rocblas_dot_kernel_gfx942_float_doubleIiLi1024EfPKPK16rocblas_bfloat16fEviT2_lT_lS5_lS6_lPT3_PT1_,comdat
	.globl	_ZL38rocblas_dot_kernel_gfx942_float_doubleIiLi1024EfPKPK16rocblas_bfloat16fEviT2_lT_lS5_lS6_lPT3_PT1_ ; -- Begin function _ZL38rocblas_dot_kernel_gfx942_float_doubleIiLi1024EfPKPK16rocblas_bfloat16fEviT2_lT_lS5_lS6_lPT3_PT1_
	.p2align	8
	.type	_ZL38rocblas_dot_kernel_gfx942_float_doubleIiLi1024EfPKPK16rocblas_bfloat16fEviT2_lT_lS5_lS6_lPT3_PT1_,@function
_ZL38rocblas_dot_kernel_gfx942_float_doubleIiLi1024EfPKPK16rocblas_bfloat16fEviT2_lT_lS5_lS6_lPT3_PT1_: ; @_ZL38rocblas_dot_kernel_gfx942_float_doubleIiLi1024EfPKPK16rocblas_bfloat16fEviT2_lT_lS5_lS6_lPT3_PT1_
; %bb.0:
	s_endpgm
	.section	.rodata,"a",@progbits
	.p2align	6, 0x0
	.amdhsa_kernel _ZL38rocblas_dot_kernel_gfx942_float_doubleIiLi1024EfPKPK16rocblas_bfloat16fEviT2_lT_lS5_lS6_lPT3_PT1_
		.amdhsa_group_segment_fixed_size 0
		.amdhsa_private_segment_fixed_size 0
		.amdhsa_kernarg_size 88
		.amdhsa_user_sgpr_count 6
		.amdhsa_user_sgpr_private_segment_buffer 1
		.amdhsa_user_sgpr_dispatch_ptr 0
		.amdhsa_user_sgpr_queue_ptr 0
		.amdhsa_user_sgpr_kernarg_segment_ptr 1
		.amdhsa_user_sgpr_dispatch_id 0
		.amdhsa_user_sgpr_flat_scratch_init 0
		.amdhsa_user_sgpr_kernarg_preload_length 0
		.amdhsa_user_sgpr_kernarg_preload_offset 0
		.amdhsa_user_sgpr_private_segment_size 0
		.amdhsa_uses_dynamic_stack 0
		.amdhsa_system_sgpr_private_segment_wavefront_offset 0
		.amdhsa_system_sgpr_workgroup_id_x 1
		.amdhsa_system_sgpr_workgroup_id_y 0
		.amdhsa_system_sgpr_workgroup_id_z 0
		.amdhsa_system_sgpr_workgroup_info 0
		.amdhsa_system_vgpr_workitem_id 0
		.amdhsa_next_free_vgpr 1
		.amdhsa_next_free_sgpr 0
		.amdhsa_accum_offset 4
		.amdhsa_reserve_vcc 0
		.amdhsa_reserve_flat_scratch 0
		.amdhsa_float_round_mode_32 0
		.amdhsa_float_round_mode_16_64 0
		.amdhsa_float_denorm_mode_32 3
		.amdhsa_float_denorm_mode_16_64 3
		.amdhsa_dx10_clamp 1
		.amdhsa_ieee_mode 1
		.amdhsa_fp16_overflow 0
		.amdhsa_tg_split 0
		.amdhsa_exception_fp_ieee_invalid_op 0
		.amdhsa_exception_fp_denorm_src 0
		.amdhsa_exception_fp_ieee_div_zero 0
		.amdhsa_exception_fp_ieee_overflow 0
		.amdhsa_exception_fp_ieee_underflow 0
		.amdhsa_exception_fp_ieee_inexact 0
		.amdhsa_exception_int_div_zero 0
	.end_amdhsa_kernel
	.section	.text._ZL38rocblas_dot_kernel_gfx942_float_doubleIiLi1024EfPKPK16rocblas_bfloat16fEviT2_lT_lS5_lS6_lPT3_PT1_,"axG",@progbits,_ZL38rocblas_dot_kernel_gfx942_float_doubleIiLi1024EfPKPK16rocblas_bfloat16fEviT2_lT_lS5_lS6_lPT3_PT1_,comdat
.Lfunc_end167:
	.size	_ZL38rocblas_dot_kernel_gfx942_float_doubleIiLi1024EfPKPK16rocblas_bfloat16fEviT2_lT_lS5_lS6_lPT3_PT1_, .Lfunc_end167-_ZL38rocblas_dot_kernel_gfx942_float_doubleIiLi1024EfPKPK16rocblas_bfloat16fEviT2_lT_lS5_lS6_lPT3_PT1_
                                        ; -- End function
	.section	.AMDGPU.csdata,"",@progbits
; Kernel info:
; codeLenInByte = 4
; NumSgprs: 4
; NumVgprs: 0
; NumAgprs: 0
; TotalNumVgprs: 0
; ScratchSize: 0
; MemoryBound: 0
; FloatMode: 240
; IeeeMode: 1
; LDSByteSize: 0 bytes/workgroup (compile time only)
; SGPRBlocks: 0
; VGPRBlocks: 0
; NumSGPRsForWavesPerEU: 4
; NumVGPRsForWavesPerEU: 1
; AccumOffset: 4
; Occupancy: 8
; WaveLimiterHint : 0
; COMPUTE_PGM_RSRC2:SCRATCH_EN: 0
; COMPUTE_PGM_RSRC2:USER_SGPR: 6
; COMPUTE_PGM_RSRC2:TRAP_HANDLER: 0
; COMPUTE_PGM_RSRC2:TGID_X_EN: 1
; COMPUTE_PGM_RSRC2:TGID_Y_EN: 0
; COMPUTE_PGM_RSRC2:TGID_Z_EN: 0
; COMPUTE_PGM_RSRC2:TIDIG_COMP_CNT: 0
; COMPUTE_PGM_RSRC3_GFX90A:ACCUM_OFFSET: 0
; COMPUTE_PGM_RSRC3_GFX90A:TG_SPLIT: 0
	.section	.text._ZL18rocblas_dot_kernelIiLb0ELi512ELi4ELb0EfPKPK16rocblas_bfloat16fEviT5_lT_lS5_lS6_liPT6_PT4_,"axG",@progbits,_ZL18rocblas_dot_kernelIiLb0ELi512ELi4ELb0EfPKPK16rocblas_bfloat16fEviT5_lT_lS5_lS6_liPT6_PT4_,comdat
	.globl	_ZL18rocblas_dot_kernelIiLb0ELi512ELi4ELb0EfPKPK16rocblas_bfloat16fEviT5_lT_lS5_lS6_liPT6_PT4_ ; -- Begin function _ZL18rocblas_dot_kernelIiLb0ELi512ELi4ELb0EfPKPK16rocblas_bfloat16fEviT5_lT_lS5_lS6_liPT6_PT4_
	.p2align	8
	.type	_ZL18rocblas_dot_kernelIiLb0ELi512ELi4ELb0EfPKPK16rocblas_bfloat16fEviT5_lT_lS5_lS6_liPT6_PT4_,@function
_ZL18rocblas_dot_kernelIiLb0ELi512ELi4ELb0EfPKPK16rocblas_bfloat16fEviT5_lT_lS5_lS6_liPT6_PT4_: ; @_ZL18rocblas_dot_kernelIiLb0ELi512ELi4ELb0EfPKPK16rocblas_bfloat16fEviT5_lT_lS5_lS6_liPT6_PT4_
; %bb.0:
	s_mov_b32 s2, s7
	s_load_dword s18, s[4:5], 0x60
	s_load_dword s7, s[4:5], 0x0
	s_load_dwordx4 s[8:11], s[4:5], 0x50
	v_lshl_or_b32 v4, s6, 9, v0
	s_mov_b32 s3, 0
	v_mov_b32_e32 v1, 0
	s_waitcnt lgkmcnt(0)
	v_cmp_gt_i32_e32 vcc, s7, v4
	s_and_saveexec_b64 s[12:13], vcc
	s_cbranch_execz .LBB168_4
; %bb.1:
	s_load_dwordx4 s[20:23], s[4:5], 0x8
	s_load_dword s16, s[4:5], 0x18
	s_load_dwordx4 s[24:27], s[4:5], 0x28
	s_load_dword s17, s[4:5], 0x38
	s_lshl_b64 s[0:1], s[2:3], 3
	s_waitcnt lgkmcnt(0)
	s_add_u32 s4, s20, s0
	s_addc_u32 s5, s21, s1
	s_load_dwordx2 s[4:5], s[4:5], 0x0
	s_add_u32 s0, s24, s0
	s_addc_u32 s1, s25, s1
	v_mad_i64_i32 v[2:3], s[14:15], s16, v4, 0
	s_load_dwordx2 s[0:1], s[0:1], 0x0
	s_lshl_b32 s19, s18, 9
	s_lshl_b64 s[14:15], s[22:23], 1
	s_waitcnt lgkmcnt(0)
	s_add_u32 s4, s4, s14
	v_lshlrev_b64 v[2:3], 1, v[2:3]
	s_addc_u32 s5, s5, s15
	v_add_u32_e32 v6, s19, v4
	v_mov_b32_e32 v1, s5
	v_add_co_u32_e32 v2, vcc, s4, v2
	s_mul_hi_i32 s5, s16, s19
	s_mul_i32 s4, s16, s19
	v_mad_i64_i32 v[4:5], s[14:15], s17, v4, 0
	s_lshl_b64 s[4:5], s[4:5], 1
	s_lshl_b64 s[14:15], s[26:27], 1
	s_add_u32 s0, s0, s14
	v_addc_co_u32_e32 v3, vcc, v1, v3, vcc
	v_lshlrev_b64 v[4:5], 1, v[4:5]
	s_addc_u32 s1, s1, s15
	v_mov_b32_e32 v1, s1
	v_add_co_u32_e32 v4, vcc, s0, v4
	s_mul_hi_i32 s1, s17, s19
	s_mul_i32 s0, s17, s19
	s_lshl_b64 s[16:17], s[0:1], 1
	v_addc_co_u32_e32 v5, vcc, v1, v5, vcc
	s_mov_b64 s[14:15], 0
	v_mov_b32_e32 v1, 0
	v_mov_b32_e32 v7, s5
	;; [unrolled: 1-line block ×3, first 2 shown]
	s_mov_b32 s5, s3
.LBB168_2:                              ; =>This Inner Loop Header: Depth=1
	global_load_ushort v9, v[4:5], off
	global_load_ushort v10, v[2:3], off
	v_add_co_u32_e64 v2, s[0:1], s4, v2
	v_addc_co_u32_e64 v3, s[0:1], v3, v7, s[0:1]
	s_add_i32 s17, s5, 1
	v_add_co_u32_e64 v4, s[0:1], s16, v4
	v_addc_co_u32_e64 v5, s[0:1], v5, v8, s[0:1]
	s_cmp_gt_u32 s5, 2
	v_cmp_le_i32_e32 vcc, s7, v6
	s_cselect_b64 s[0:1], -1, 0
	s_or_b64 s[0:1], s[0:1], vcc
	s_and_b64 s[0:1], exec, s[0:1]
	v_add_u32_e32 v6, s19, v6
	s_mov_b32 s5, s17
	s_or_b64 s[14:15], s[0:1], s[14:15]
	s_waitcnt vmcnt(1)
	v_lshlrev_b32_e32 v9, 16, v9
	s_waitcnt vmcnt(0)
	v_lshlrev_b32_e32 v10, 16, v10
	v_fmac_f32_e32 v1, v10, v9
	s_andn2_b64 exec, exec, s[14:15]
	s_cbranch_execnz .LBB168_2
; %bb.3:
	s_or_b64 exec, exec, s[14:15]
.LBB168_4:
	s_or_b64 exec, exec, s[12:13]
	v_and_b32_e32 v3, 63, v0
	v_cmp_gt_u32_e32 vcc, 64, v0
	v_lshlrev_b32_e32 v2, 2, v3
	s_and_saveexec_b64 s[0:1], vcc
	s_cbranch_execz .LBB168_6
; %bb.5:
	v_mov_b32_e32 v4, 0
	ds_write_b32 v2, v4
.LBB168_6:
	s_or_b64 exec, exec, s[0:1]
	v_mbcnt_lo_u32_b32 v4, -1, 0
	v_mbcnt_hi_u32_b32 v6, -1, v4
	v_and_b32_e32 v7, 63, v6
	v_cmp_gt_u32_e64 s[0:1], 32, v7
	v_cndmask_b32_e64 v4, 0, 1, s[0:1]
	v_lshlrev_b32_e32 v4, 5, v4
	v_add_lshl_u32 v4, v4, v6, 2
	ds_bpermute_b32 v4, v4, v1
	v_cmp_gt_u32_e64 s[0:1], 48, v7
	v_cndmask_b32_e64 v5, 0, 1, s[0:1]
	v_lshlrev_b32_e32 v5, 4, v5
	v_cmp_gt_u32_e64 s[0:1], 56, v7
	s_waitcnt lgkmcnt(0)
	v_add_f32_e32 v1, v1, v4
	v_add_lshl_u32 v4, v5, v6, 2
	ds_bpermute_b32 v4, v4, v1
	v_cndmask_b32_e64 v5, 0, 1, s[0:1]
	v_lshlrev_b32_e32 v5, 3, v5
	v_cmp_gt_u32_e64 s[0:1], 60, v7
	s_waitcnt lgkmcnt(0)
	v_add_f32_e32 v1, v1, v4
	v_add_lshl_u32 v4, v5, v6, 2
	ds_bpermute_b32 v4, v4, v1
	v_cndmask_b32_e64 v5, 0, 1, s[0:1]
	v_lshlrev_b32_e32 v5, 2, v5
	v_cmp_gt_u32_e64 s[0:1], 62, v7
	v_cndmask_b32_e64 v8, 0, 1, s[0:1]
	s_waitcnt lgkmcnt(0)
	v_add_f32_e32 v1, v1, v4
	v_add_lshl_u32 v4, v5, v6, 2
	ds_bpermute_b32 v5, v4, v1
	v_lshlrev_b32_e32 v8, 1, v8
	v_cmp_ne_u32_e64 s[0:1], 63, v7
	s_barrier
	s_waitcnt lgkmcnt(0)
	v_add_f32_e32 v1, v1, v5
	v_add_lshl_u32 v5, v8, v6, 2
	ds_bpermute_b32 v8, v5, v1
	v_addc_co_u32_e64 v6, s[0:1], 0, v6, s[0:1]
	v_lshlrev_b32_e32 v6, 2, v6
	v_cmp_eq_u32_e64 s[0:1], 0, v3
	s_waitcnt lgkmcnt(0)
	v_add_f32_e32 v1, v1, v8
	ds_bpermute_b32 v7, v6, v1
	s_and_saveexec_b64 s[4:5], s[0:1]
	s_cbranch_execz .LBB168_8
; %bb.7:
	v_lshrrev_b32_e32 v3, 4, v0
	s_waitcnt lgkmcnt(0)
	v_add_f32_e32 v1, v1, v7
	v_and_b32_e32 v3, 28, v3
	ds_write_b32 v3, v1
.LBB168_8:
	s_or_b64 exec, exec, s[4:5]
	v_cmp_gt_u32_e64 s[0:1], 8, v0
	v_mov_b32_e32 v1, 0
	s_waitcnt lgkmcnt(0)
	s_barrier
	s_and_saveexec_b64 s[4:5], s[0:1]
	s_cbranch_execnz .LBB168_12
; %bb.9:
	s_or_b64 exec, exec, s[4:5]
	s_and_saveexec_b64 s[0:1], vcc
	s_cbranch_execnz .LBB168_13
.LBB168_10:
	s_or_b64 exec, exec, s[0:1]
	v_cmp_eq_u32_e32 vcc, 0, v0
	s_and_saveexec_b64 s[0:1], vcc
	s_cbranch_execnz .LBB168_14
.LBB168_11:
	s_endpgm
.LBB168_12:
	ds_read_b32 v1, v2
	s_or_b64 exec, exec, s[4:5]
	s_and_saveexec_b64 s[0:1], vcc
	s_cbranch_execz .LBB168_10
.LBB168_13:
	s_waitcnt lgkmcnt(0)
	ds_bpermute_b32 v2, v4, v1
	s_waitcnt lgkmcnt(0)
	v_add_f32_e32 v1, v1, v2
	ds_bpermute_b32 v2, v5, v1
	s_waitcnt lgkmcnt(0)
	v_add_f32_e32 v1, v1, v2
	;; [unrolled: 3-line block ×3, first 2 shown]
	s_or_b64 exec, exec, s[0:1]
	v_cmp_eq_u32_e32 vcc, 0, v0
	s_and_saveexec_b64 s[0:1], vcc
	s_cbranch_execz .LBB168_11
.LBB168_14:
	s_cmp_lg_u32 s18, 1
	s_cbranch_scc0 .LBB168_16
; %bb.15:
	s_mul_hi_u32 s1, s18, s2
	s_mul_i32 s0, s18, s2
	s_lshl_b64 s[0:1], s[0:1], 2
	s_mov_b32 s7, 0
	s_add_u32 s4, s8, s0
	s_addc_u32 s5, s9, s1
	s_lshl_b64 s[0:1], s[6:7], 2
	s_add_u32 s0, s4, s0
	s_addc_u32 s1, s5, s1
	s_cbranch_execz .LBB168_17
	s_branch .LBB168_18
.LBB168_16:
                                        ; implicit-def: $sgpr0_sgpr1
.LBB168_17:
	s_lshl_b64 s[0:1], s[2:3], 2
	s_add_u32 s0, s10, s0
	s_addc_u32 s1, s11, s1
.LBB168_18:
	v_mov_b32_e32 v0, 0
	s_waitcnt lgkmcnt(0)
	global_store_dword v0, v1, s[0:1]
	s_endpgm
	.section	.rodata,"a",@progbits
	.p2align	6, 0x0
	.amdhsa_kernel _ZL18rocblas_dot_kernelIiLb0ELi512ELi4ELb0EfPKPK16rocblas_bfloat16fEviT5_lT_lS5_lS6_liPT6_PT4_
		.amdhsa_group_segment_fixed_size 256
		.amdhsa_private_segment_fixed_size 0
		.amdhsa_kernarg_size 352
		.amdhsa_user_sgpr_count 6
		.amdhsa_user_sgpr_private_segment_buffer 1
		.amdhsa_user_sgpr_dispatch_ptr 0
		.amdhsa_user_sgpr_queue_ptr 0
		.amdhsa_user_sgpr_kernarg_segment_ptr 1
		.amdhsa_user_sgpr_dispatch_id 0
		.amdhsa_user_sgpr_flat_scratch_init 0
		.amdhsa_user_sgpr_kernarg_preload_length 0
		.amdhsa_user_sgpr_kernarg_preload_offset 0
		.amdhsa_user_sgpr_private_segment_size 0
		.amdhsa_uses_dynamic_stack 0
		.amdhsa_system_sgpr_private_segment_wavefront_offset 0
		.amdhsa_system_sgpr_workgroup_id_x 1
		.amdhsa_system_sgpr_workgroup_id_y 0
		.amdhsa_system_sgpr_workgroup_id_z 1
		.amdhsa_system_sgpr_workgroup_info 0
		.amdhsa_system_vgpr_workitem_id 0
		.amdhsa_next_free_vgpr 11
		.amdhsa_next_free_sgpr 28
		.amdhsa_accum_offset 12
		.amdhsa_reserve_vcc 1
		.amdhsa_reserve_flat_scratch 0
		.amdhsa_float_round_mode_32 0
		.amdhsa_float_round_mode_16_64 0
		.amdhsa_float_denorm_mode_32 3
		.amdhsa_float_denorm_mode_16_64 3
		.amdhsa_dx10_clamp 1
		.amdhsa_ieee_mode 1
		.amdhsa_fp16_overflow 0
		.amdhsa_tg_split 0
		.amdhsa_exception_fp_ieee_invalid_op 0
		.amdhsa_exception_fp_denorm_src 0
		.amdhsa_exception_fp_ieee_div_zero 0
		.amdhsa_exception_fp_ieee_overflow 0
		.amdhsa_exception_fp_ieee_underflow 0
		.amdhsa_exception_fp_ieee_inexact 0
		.amdhsa_exception_int_div_zero 0
	.end_amdhsa_kernel
	.section	.text._ZL18rocblas_dot_kernelIiLb0ELi512ELi4ELb0EfPKPK16rocblas_bfloat16fEviT5_lT_lS5_lS6_liPT6_PT4_,"axG",@progbits,_ZL18rocblas_dot_kernelIiLb0ELi512ELi4ELb0EfPKPK16rocblas_bfloat16fEviT5_lT_lS5_lS6_liPT6_PT4_,comdat
.Lfunc_end168:
	.size	_ZL18rocblas_dot_kernelIiLb0ELi512ELi4ELb0EfPKPK16rocblas_bfloat16fEviT5_lT_lS5_lS6_liPT6_PT4_, .Lfunc_end168-_ZL18rocblas_dot_kernelIiLb0ELi512ELi4ELb0EfPKPK16rocblas_bfloat16fEviT5_lT_lS5_lS6_liPT6_PT4_
                                        ; -- End function
	.section	.AMDGPU.csdata,"",@progbits
; Kernel info:
; codeLenInByte = 972
; NumSgprs: 32
; NumVgprs: 11
; NumAgprs: 0
; TotalNumVgprs: 11
; ScratchSize: 0
; MemoryBound: 0
; FloatMode: 240
; IeeeMode: 1
; LDSByteSize: 256 bytes/workgroup (compile time only)
; SGPRBlocks: 3
; VGPRBlocks: 1
; NumSGPRsForWavesPerEU: 32
; NumVGPRsForWavesPerEU: 11
; AccumOffset: 12
; Occupancy: 8
; WaveLimiterHint : 0
; COMPUTE_PGM_RSRC2:SCRATCH_EN: 0
; COMPUTE_PGM_RSRC2:USER_SGPR: 6
; COMPUTE_PGM_RSRC2:TRAP_HANDLER: 0
; COMPUTE_PGM_RSRC2:TGID_X_EN: 1
; COMPUTE_PGM_RSRC2:TGID_Y_EN: 0
; COMPUTE_PGM_RSRC2:TGID_Z_EN: 1
; COMPUTE_PGM_RSRC2:TIDIG_COMP_CNT: 0
; COMPUTE_PGM_RSRC3_GFX90A:ACCUM_OFFSET: 2
; COMPUTE_PGM_RSRC3_GFX90A:TG_SPLIT: 0
	.section	.text._ZL24rocblas_dot_kernel_magsqIiLb0ELi512ELi4ELb0EfPKPK16rocblas_bfloat16fEviT5_lT_liPT6_PT4_,"axG",@progbits,_ZL24rocblas_dot_kernel_magsqIiLb0ELi512ELi4ELb0EfPKPK16rocblas_bfloat16fEviT5_lT_liPT6_PT4_,comdat
	.globl	_ZL24rocblas_dot_kernel_magsqIiLb0ELi512ELi4ELb0EfPKPK16rocblas_bfloat16fEviT5_lT_liPT6_PT4_ ; -- Begin function _ZL24rocblas_dot_kernel_magsqIiLb0ELi512ELi4ELb0EfPKPK16rocblas_bfloat16fEviT5_lT_liPT6_PT4_
	.p2align	8
	.type	_ZL24rocblas_dot_kernel_magsqIiLb0ELi512ELi4ELb0EfPKPK16rocblas_bfloat16fEviT5_lT_liPT6_PT4_,@function
_ZL24rocblas_dot_kernel_magsqIiLb0ELi512ELi4ELb0EfPKPK16rocblas_bfloat16fEviT5_lT_liPT6_PT4_: ; @_ZL24rocblas_dot_kernel_magsqIiLb0ELi512ELi4ELb0EfPKPK16rocblas_bfloat16fEviT5_lT_liPT6_PT4_
; %bb.0:
	s_mov_b32 s2, s7
	s_load_dword s7, s[4:5], 0x0
	s_load_dwordx4 s[8:11], s[4:5], 0x30
	s_load_dword s16, s[4:5], 0x40
	v_lshl_or_b32 v2, s6, 9, v0
	s_mov_b32 s3, 0
	s_waitcnt lgkmcnt(0)
	v_cmp_gt_i32_e32 vcc, s7, v2
	v_mov_b32_e32 v1, 0
	s_and_saveexec_b64 s[12:13], vcc
	s_cbranch_execz .LBB169_4
; %bb.1:
	s_load_dwordx4 s[20:23], s[4:5], 0x8
	s_load_dword s14, s[4:5], 0x18
	s_lshl_b64 s[0:1], s[2:3], 3
	s_waitcnt lgkmcnt(0)
	s_add_u32 s0, s20, s0
	s_addc_u32 s1, s21, s1
	s_load_dwordx2 s[0:1], s[0:1], 0x0
	v_mad_i64_i32 v[4:5], s[4:5], s14, v2, 0
	s_lshl_b32 s17, s16, 9
	s_lshl_b64 s[4:5], s[22:23], 1
	s_waitcnt lgkmcnt(0)
	s_add_u32 s0, s0, s4
	v_lshlrev_b64 v[6:7], 1, v[4:5]
	s_addc_u32 s1, s1, s5
	v_add_u32_e32 v4, s17, v2
	v_mov_b32_e32 v1, s1
	v_add_co_u32_e32 v2, vcc, s0, v6
	s_mul_hi_i32 s1, s14, s17
	s_mul_i32 s0, s14, s17
	s_lshl_b64 s[14:15], s[0:1], 1
	v_addc_co_u32_e32 v3, vcc, v1, v7, vcc
	s_mov_b64 s[4:5], 0
	v_mov_b32_e32 v1, 0
	v_mov_b32_e32 v5, s15
	s_mov_b32 s15, s3
.LBB169_2:                              ; =>This Inner Loop Header: Depth=1
	global_load_ushort v6, v[2:3], off
	s_add_i32 s18, s15, 1
	v_add_co_u32_e64 v2, s[0:1], s14, v2
	v_addc_co_u32_e64 v3, s[0:1], v3, v5, s[0:1]
	s_cmp_gt_u32 s15, 2
	v_cmp_le_i32_e32 vcc, s7, v4
	s_cselect_b64 s[0:1], -1, 0
	s_or_b64 s[0:1], s[0:1], vcc
	s_and_b64 s[0:1], exec, s[0:1]
	v_add_u32_e32 v4, s17, v4
	s_mov_b32 s15, s18
	s_or_b64 s[4:5], s[0:1], s[4:5]
	s_waitcnt vmcnt(0)
	v_lshlrev_b32_e32 v6, 16, v6
	v_fmac_f32_e32 v1, v6, v6
	s_andn2_b64 exec, exec, s[4:5]
	s_cbranch_execnz .LBB169_2
; %bb.3:
	s_or_b64 exec, exec, s[4:5]
.LBB169_4:
	s_or_b64 exec, exec, s[12:13]
	v_and_b32_e32 v3, 63, v0
	v_cmp_gt_u32_e32 vcc, 64, v0
	v_lshlrev_b32_e32 v2, 2, v3
	s_and_saveexec_b64 s[0:1], vcc
	s_cbranch_execz .LBB169_6
; %bb.5:
	v_mov_b32_e32 v4, 0
	ds_write_b32 v2, v4
.LBB169_6:
	s_or_b64 exec, exec, s[0:1]
	v_mbcnt_lo_u32_b32 v4, -1, 0
	v_mbcnt_hi_u32_b32 v6, -1, v4
	v_and_b32_e32 v7, 63, v6
	v_cmp_gt_u32_e64 s[0:1], 32, v7
	v_cndmask_b32_e64 v4, 0, 1, s[0:1]
	v_lshlrev_b32_e32 v4, 5, v4
	v_add_lshl_u32 v4, v4, v6, 2
	ds_bpermute_b32 v4, v4, v1
	v_cmp_gt_u32_e64 s[0:1], 48, v7
	v_cndmask_b32_e64 v5, 0, 1, s[0:1]
	v_lshlrev_b32_e32 v5, 4, v5
	v_cmp_gt_u32_e64 s[0:1], 56, v7
	s_waitcnt lgkmcnt(0)
	v_add_f32_e32 v1, v1, v4
	v_add_lshl_u32 v4, v5, v6, 2
	ds_bpermute_b32 v4, v4, v1
	v_cndmask_b32_e64 v5, 0, 1, s[0:1]
	v_lshlrev_b32_e32 v5, 3, v5
	v_cmp_gt_u32_e64 s[0:1], 60, v7
	s_waitcnt lgkmcnt(0)
	v_add_f32_e32 v1, v1, v4
	v_add_lshl_u32 v4, v5, v6, 2
	ds_bpermute_b32 v4, v4, v1
	v_cndmask_b32_e64 v5, 0, 1, s[0:1]
	v_lshlrev_b32_e32 v5, 2, v5
	v_cmp_gt_u32_e64 s[0:1], 62, v7
	v_cndmask_b32_e64 v8, 0, 1, s[0:1]
	s_waitcnt lgkmcnt(0)
	v_add_f32_e32 v1, v1, v4
	v_add_lshl_u32 v4, v5, v6, 2
	ds_bpermute_b32 v5, v4, v1
	v_lshlrev_b32_e32 v8, 1, v8
	v_cmp_ne_u32_e64 s[0:1], 63, v7
	s_barrier
	s_waitcnt lgkmcnt(0)
	v_add_f32_e32 v1, v1, v5
	v_add_lshl_u32 v5, v8, v6, 2
	ds_bpermute_b32 v8, v5, v1
	v_addc_co_u32_e64 v6, s[0:1], 0, v6, s[0:1]
	v_lshlrev_b32_e32 v6, 2, v6
	v_cmp_eq_u32_e64 s[0:1], 0, v3
	s_waitcnt lgkmcnt(0)
	v_add_f32_e32 v1, v1, v8
	ds_bpermute_b32 v7, v6, v1
	s_and_saveexec_b64 s[4:5], s[0:1]
	s_cbranch_execz .LBB169_8
; %bb.7:
	v_lshrrev_b32_e32 v3, 4, v0
	s_waitcnt lgkmcnt(0)
	v_add_f32_e32 v1, v1, v7
	v_and_b32_e32 v3, 28, v3
	ds_write_b32 v3, v1
.LBB169_8:
	s_or_b64 exec, exec, s[4:5]
	v_cmp_gt_u32_e64 s[0:1], 8, v0
	v_mov_b32_e32 v1, 0
	s_waitcnt lgkmcnt(0)
	s_barrier
	s_and_saveexec_b64 s[4:5], s[0:1]
	s_cbranch_execnz .LBB169_12
; %bb.9:
	s_or_b64 exec, exec, s[4:5]
	s_and_saveexec_b64 s[0:1], vcc
	s_cbranch_execnz .LBB169_13
.LBB169_10:
	s_or_b64 exec, exec, s[0:1]
	v_cmp_eq_u32_e32 vcc, 0, v0
	s_and_saveexec_b64 s[0:1], vcc
	s_cbranch_execnz .LBB169_14
.LBB169_11:
	s_endpgm
.LBB169_12:
	ds_read_b32 v1, v2
	s_or_b64 exec, exec, s[4:5]
	s_and_saveexec_b64 s[0:1], vcc
	s_cbranch_execz .LBB169_10
.LBB169_13:
	s_waitcnt lgkmcnt(0)
	ds_bpermute_b32 v2, v4, v1
	s_waitcnt lgkmcnt(0)
	v_add_f32_e32 v1, v1, v2
	ds_bpermute_b32 v2, v5, v1
	s_waitcnt lgkmcnt(0)
	v_add_f32_e32 v1, v1, v2
	;; [unrolled: 3-line block ×3, first 2 shown]
	s_or_b64 exec, exec, s[0:1]
	v_cmp_eq_u32_e32 vcc, 0, v0
	s_and_saveexec_b64 s[0:1], vcc
	s_cbranch_execz .LBB169_11
.LBB169_14:
	s_cmp_lg_u32 s16, 1
	s_cbranch_scc0 .LBB169_16
; %bb.15:
	s_mul_hi_u32 s1, s16, s2
	s_mul_i32 s0, s16, s2
	s_lshl_b64 s[0:1], s[0:1], 2
	s_mov_b32 s7, 0
	s_add_u32 s4, s8, s0
	s_addc_u32 s5, s9, s1
	s_lshl_b64 s[0:1], s[6:7], 2
	s_add_u32 s0, s4, s0
	s_addc_u32 s1, s5, s1
	s_cbranch_execz .LBB169_17
	s_branch .LBB169_18
.LBB169_16:
                                        ; implicit-def: $sgpr0_sgpr1
.LBB169_17:
	s_lshl_b64 s[0:1], s[2:3], 2
	s_add_u32 s0, s10, s0
	s_addc_u32 s1, s11, s1
.LBB169_18:
	v_mov_b32_e32 v0, 0
	s_waitcnt lgkmcnt(0)
	global_store_dword v0, v1, s[0:1]
	s_endpgm
	.section	.rodata,"a",@progbits
	.p2align	6, 0x0
	.amdhsa_kernel _ZL24rocblas_dot_kernel_magsqIiLb0ELi512ELi4ELb0EfPKPK16rocblas_bfloat16fEviT5_lT_liPT6_PT4_
		.amdhsa_group_segment_fixed_size 256
		.amdhsa_private_segment_fixed_size 0
		.amdhsa_kernarg_size 320
		.amdhsa_user_sgpr_count 6
		.amdhsa_user_sgpr_private_segment_buffer 1
		.amdhsa_user_sgpr_dispatch_ptr 0
		.amdhsa_user_sgpr_queue_ptr 0
		.amdhsa_user_sgpr_kernarg_segment_ptr 1
		.amdhsa_user_sgpr_dispatch_id 0
		.amdhsa_user_sgpr_flat_scratch_init 0
		.amdhsa_user_sgpr_kernarg_preload_length 0
		.amdhsa_user_sgpr_kernarg_preload_offset 0
		.amdhsa_user_sgpr_private_segment_size 0
		.amdhsa_uses_dynamic_stack 0
		.amdhsa_system_sgpr_private_segment_wavefront_offset 0
		.amdhsa_system_sgpr_workgroup_id_x 1
		.amdhsa_system_sgpr_workgroup_id_y 0
		.amdhsa_system_sgpr_workgroup_id_z 1
		.amdhsa_system_sgpr_workgroup_info 0
		.amdhsa_system_vgpr_workitem_id 0
		.amdhsa_next_free_vgpr 9
		.amdhsa_next_free_sgpr 24
		.amdhsa_accum_offset 12
		.amdhsa_reserve_vcc 1
		.amdhsa_reserve_flat_scratch 0
		.amdhsa_float_round_mode_32 0
		.amdhsa_float_round_mode_16_64 0
		.amdhsa_float_denorm_mode_32 3
		.amdhsa_float_denorm_mode_16_64 3
		.amdhsa_dx10_clamp 1
		.amdhsa_ieee_mode 1
		.amdhsa_fp16_overflow 0
		.amdhsa_tg_split 0
		.amdhsa_exception_fp_ieee_invalid_op 0
		.amdhsa_exception_fp_denorm_src 0
		.amdhsa_exception_fp_ieee_div_zero 0
		.amdhsa_exception_fp_ieee_overflow 0
		.amdhsa_exception_fp_ieee_underflow 0
		.amdhsa_exception_fp_ieee_inexact 0
		.amdhsa_exception_int_div_zero 0
	.end_amdhsa_kernel
	.section	.text._ZL24rocblas_dot_kernel_magsqIiLb0ELi512ELi4ELb0EfPKPK16rocblas_bfloat16fEviT5_lT_liPT6_PT4_,"axG",@progbits,_ZL24rocblas_dot_kernel_magsqIiLb0ELi512ELi4ELb0EfPKPK16rocblas_bfloat16fEviT5_lT_liPT6_PT4_,comdat
.Lfunc_end169:
	.size	_ZL24rocblas_dot_kernel_magsqIiLb0ELi512ELi4ELb0EfPKPK16rocblas_bfloat16fEviT5_lT_liPT6_PT4_, .Lfunc_end169-_ZL24rocblas_dot_kernel_magsqIiLb0ELi512ELi4ELb0EfPKPK16rocblas_bfloat16fEviT5_lT_liPT6_PT4_
                                        ; -- End function
	.section	.AMDGPU.csdata,"",@progbits
; Kernel info:
; codeLenInByte = 852
; NumSgprs: 28
; NumVgprs: 9
; NumAgprs: 0
; TotalNumVgprs: 9
; ScratchSize: 0
; MemoryBound: 0
; FloatMode: 240
; IeeeMode: 1
; LDSByteSize: 256 bytes/workgroup (compile time only)
; SGPRBlocks: 3
; VGPRBlocks: 1
; NumSGPRsForWavesPerEU: 28
; NumVGPRsForWavesPerEU: 9
; AccumOffset: 12
; Occupancy: 8
; WaveLimiterHint : 0
; COMPUTE_PGM_RSRC2:SCRATCH_EN: 0
; COMPUTE_PGM_RSRC2:USER_SGPR: 6
; COMPUTE_PGM_RSRC2:TRAP_HANDLER: 0
; COMPUTE_PGM_RSRC2:TGID_X_EN: 1
; COMPUTE_PGM_RSRC2:TGID_Y_EN: 0
; COMPUTE_PGM_RSRC2:TGID_Z_EN: 1
; COMPUTE_PGM_RSRC2:TIDIG_COMP_CNT: 0
; COMPUTE_PGM_RSRC3_GFX90A:ACCUM_OFFSET: 2
; COMPUTE_PGM_RSRC3_GFX90A:TG_SPLIT: 0
	.section	.text._ZL28rocblas_dot_batched_4_kernelIlLi32ELi4ELb0Ef16rocblas_bfloat16PKPKS0_EviT5_lT_lS5_lS6_liPT4_,"axG",@progbits,_ZL28rocblas_dot_batched_4_kernelIlLi32ELi4ELb0Ef16rocblas_bfloat16PKPKS0_EviT5_lT_lS5_lS6_liPT4_,comdat
	.globl	_ZL28rocblas_dot_batched_4_kernelIlLi32ELi4ELb0Ef16rocblas_bfloat16PKPKS0_EviT5_lT_lS5_lS6_liPT4_ ; -- Begin function _ZL28rocblas_dot_batched_4_kernelIlLi32ELi4ELb0Ef16rocblas_bfloat16PKPKS0_EviT5_lT_lS5_lS6_liPT4_
	.p2align	8
	.type	_ZL28rocblas_dot_batched_4_kernelIlLi32ELi4ELb0Ef16rocblas_bfloat16PKPKS0_EviT5_lT_lS5_lS6_liPT4_,@function
_ZL28rocblas_dot_batched_4_kernelIlLi32ELi4ELb0Ef16rocblas_bfloat16PKPKS0_EviT5_lT_lS5_lS6_liPT4_: ; @_ZL28rocblas_dot_batched_4_kernelIlLi32ELi4ELb0Ef16rocblas_bfloat16PKPKS0_EviT5_lT_lS5_lS6_liPT4_
; %bb.0:
	s_load_dword s0, s[4:5], 0x48
	v_bfe_u32 v1, v0, 10, 10
	v_lshl_add_u32 v2, s6, 2, v1
	s_waitcnt lgkmcnt(0)
	v_cmp_gt_u32_e32 vcc, s0, v2
	s_and_saveexec_b64 s[0:1], vcc
	s_cbranch_execz .LBB170_11
; %bb.1:
	s_load_dword s14, s[4:5], 0x0
	s_load_dwordx2 s[8:9], s[4:5], 0x50
	v_mov_b32_e32 v3, 0
	v_and_b32_e32 v6, 0x3ff, v0
	v_mov_b32_e32 v7, v3
	s_waitcnt lgkmcnt(0)
	v_cmp_gt_i32_e32 vcc, s14, v6
	s_and_saveexec_b64 s[10:11], vcc
	s_cbranch_execz .LBB170_5
; %bb.2:
	s_load_dwordx2 s[6:7], s[4:5], 0x8
	s_load_dwordx2 s[12:13], s[4:5], 0x28
	v_lshlrev_b64 v[0:1], 3, v[2:3]
	s_load_dwordx4 s[0:3], s[4:5], 0x10
	s_waitcnt lgkmcnt(0)
	v_mov_b32_e32 v5, s7
	v_add_co_u32_e32 v4, vcc, s6, v0
	v_addc_co_u32_e32 v5, vcc, v5, v1, vcc
	global_load_dwordx2 v[4:5], v[4:5], off
	v_mov_b32_e32 v7, s13
	v_add_co_u32_e32 v0, vcc, s12, v0
	v_addc_co_u32_e32 v1, vcc, v7, v1, vcc
	global_load_dwordx2 v[10:11], v[0:1], off
	s_load_dwordx4 s[4:7], s[4:5], 0x30
	v_mad_u64_u32 v[0:1], s[16:17], s2, v6, 0
	v_mov_b32_e32 v14, v1
	s_lshl_b64 s[16:17], s[0:1], 1
	s_lshl_b64 s[0:1], s[2:3], 6
	s_waitcnt lgkmcnt(0)
	v_mad_u64_u32 v[12:13], s[18:19], s6, v6, 0
	v_mad_u64_u32 v[14:15], s[2:3], s3, v6, v[14:15]
	v_mov_b32_e32 v16, v13
	v_mov_b32_e32 v1, v14
	v_mad_u64_u32 v[16:17], s[2:3], s7, v6, v[16:17]
	v_lshlrev_b64 v[0:1], 1, v[0:1]
	v_mov_b32_e32 v18, s17
	v_mov_b32_e32 v13, v16
	v_add_co_u32_e32 v0, vcc, s16, v0
	s_lshl_b64 s[18:19], s[4:5], 1
	v_lshlrev_b64 v[12:13], 1, v[12:13]
	v_addc_co_u32_e32 v1, vcc, v1, v18, vcc
	v_mov_b32_e32 v19, s19
	v_add_co_u32_e32 v12, vcc, s18, v12
	v_addc_co_u32_e32 v13, vcc, v13, v19, vcc
	s_lshl_b64 s[4:5], s[6:7], 6
	s_mov_b64 s[12:13], 0
	v_mov_b32_e32 v7, 0
	v_mov_b32_e32 v8, s1
	;; [unrolled: 1-line block ×3, first 2 shown]
	s_waitcnt vmcnt(1)
	v_add_co_u32_e32 v0, vcc, v4, v0
	v_addc_co_u32_e32 v1, vcc, v5, v1, vcc
	s_waitcnt vmcnt(0)
	v_add_co_u32_e32 v4, vcc, v10, v12
	v_addc_co_u32_e32 v5, vcc, v11, v13, vcc
	v_mov_b32_e32 v10, v6
.LBB170_3:                              ; =>This Inner Loop Header: Depth=1
	global_load_ushort v11, v[0:1], off
	global_load_ushort v12, v[4:5], off
	v_add_co_u32_e32 v0, vcc, s0, v0
	v_addc_co_u32_e32 v1, vcc, v1, v8, vcc
	v_add_co_u32_e32 v4, vcc, s4, v4
	v_add_u32_e32 v10, 32, v10
	v_addc_co_u32_e32 v5, vcc, v5, v9, vcc
	v_cmp_le_i32_e32 vcc, s14, v10
	s_or_b64 s[12:13], vcc, s[12:13]
	s_waitcnt vmcnt(1)
	v_lshlrev_b32_e32 v11, 16, v11
	s_waitcnt vmcnt(0)
	v_lshlrev_b32_e32 v12, 16, v12
	v_fmac_f32_e32 v7, v12, v11
	s_andn2_b64 exec, exec, s[12:13]
	s_cbranch_execnz .LBB170_3
; %bb.4:
	s_or_b64 exec, exec, s[12:13]
.LBB170_5:
	s_or_b64 exec, exec, s[10:11]
	v_mbcnt_lo_u32_b32 v0, -1, 0
	v_mbcnt_hi_u32_b32 v0, -1, v0
	v_and_b32_e32 v1, 63, v0
	v_cmp_gt_u32_e32 vcc, 48, v1
	v_cndmask_b32_e64 v4, 0, 1, vcc
	v_lshlrev_b32_e32 v4, 4, v4
	v_add_lshl_u32 v4, v4, v0, 2
	ds_bpermute_b32 v4, v4, v7
	v_cmp_gt_u32_e32 vcc, 56, v1
	v_cndmask_b32_e64 v5, 0, 1, vcc
	v_lshlrev_b32_e32 v5, 3, v5
	v_add_lshl_u32 v5, v5, v0, 2
	s_waitcnt lgkmcnt(0)
	v_add_f32_e32 v4, v7, v4
	ds_bpermute_b32 v5, v5, v4
	v_cmp_gt_u32_e32 vcc, 60, v1
	v_cndmask_b32_e64 v7, 0, 1, vcc
	v_lshlrev_b32_e32 v7, 2, v7
	v_cmp_gt_u32_e32 vcc, 62, v1
	s_waitcnt lgkmcnt(0)
	v_add_f32_e32 v4, v4, v5
	v_add_lshl_u32 v5, v7, v0, 2
	ds_bpermute_b32 v5, v5, v4
	v_cndmask_b32_e64 v7, 0, 1, vcc
	v_lshlrev_b32_e32 v7, 1, v7
	v_cmp_ne_u32_e32 vcc, 63, v1
	v_addc_co_u32_e32 v1, vcc, 0, v0, vcc
	s_waitcnt lgkmcnt(0)
	v_add_f32_e32 v4, v4, v5
	v_add_lshl_u32 v5, v7, v0, 2
	ds_bpermute_b32 v5, v5, v4
	v_lshlrev_b32_e32 v1, 2, v1
	v_cmp_eq_u32_e32 vcc, 0, v6
	s_waitcnt lgkmcnt(0)
	s_barrier
	v_add_f32_e32 v0, v4, v5
	ds_bpermute_b32 v1, v1, v0
	s_waitcnt lgkmcnt(0)
	s_and_b64 exec, exec, vcc
	s_cbranch_execz .LBB170_11
; %bb.6:
	v_add_f32_e32 v1, v0, v1
	s_mov_b32 s0, 0x7f800000
	v_and_b32_e32 v0, 0x7f800000, v1
	v_cmp_ne_u32_e32 vcc, s0, v0
                                        ; implicit-def: $vgpr0
	s_and_saveexec_b64 s[0:1], vcc
	s_xor_b64 s[0:1], exec, s[0:1]
; %bb.7:
	v_bfe_u32 v0, v1, 16, 1
	s_movk_i32 s2, 0x7fff
	v_add3_u32 v0, v1, v0, s2
                                        ; implicit-def: $vgpr1
; %bb.8:
	s_andn2_saveexec_b64 s[0:1], s[0:1]
; %bb.9:
	v_mov_b32_e32 v0, 0
	v_or_b32_e32 v4, 0x10000, v1
	v_cmp_eq_u32_sdwa vcc, v1, v0 src0_sel:WORD_0 src1_sel:DWORD
	v_cndmask_b32_e32 v0, v4, v1, vcc
; %bb.10:
	s_or_b64 exec, exec, s[0:1]
	v_lshlrev_b64 v[2:3], 1, v[2:3]
	v_mov_b32_e32 v1, s9
	v_add_co_u32_e32 v2, vcc, s8, v2
	v_addc_co_u32_e32 v3, vcc, v1, v3, vcc
	global_store_short_d16_hi v[2:3], v0, off
.LBB170_11:
	s_endpgm
	.section	.rodata,"a",@progbits
	.p2align	6, 0x0
	.amdhsa_kernel _ZL28rocblas_dot_batched_4_kernelIlLi32ELi4ELb0Ef16rocblas_bfloat16PKPKS0_EviT5_lT_lS5_lS6_liPT4_
		.amdhsa_group_segment_fixed_size 0
		.amdhsa_private_segment_fixed_size 0
		.amdhsa_kernarg_size 88
		.amdhsa_user_sgpr_count 6
		.amdhsa_user_sgpr_private_segment_buffer 1
		.amdhsa_user_sgpr_dispatch_ptr 0
		.amdhsa_user_sgpr_queue_ptr 0
		.amdhsa_user_sgpr_kernarg_segment_ptr 1
		.amdhsa_user_sgpr_dispatch_id 0
		.amdhsa_user_sgpr_flat_scratch_init 0
		.amdhsa_user_sgpr_kernarg_preload_length 0
		.amdhsa_user_sgpr_kernarg_preload_offset 0
		.amdhsa_user_sgpr_private_segment_size 0
		.amdhsa_uses_dynamic_stack 0
		.amdhsa_system_sgpr_private_segment_wavefront_offset 0
		.amdhsa_system_sgpr_workgroup_id_x 1
		.amdhsa_system_sgpr_workgroup_id_y 0
		.amdhsa_system_sgpr_workgroup_id_z 0
		.amdhsa_system_sgpr_workgroup_info 0
		.amdhsa_system_vgpr_workitem_id 1
		.amdhsa_next_free_vgpr 20
		.amdhsa_next_free_sgpr 20
		.amdhsa_accum_offset 20
		.amdhsa_reserve_vcc 1
		.amdhsa_reserve_flat_scratch 0
		.amdhsa_float_round_mode_32 0
		.amdhsa_float_round_mode_16_64 0
		.amdhsa_float_denorm_mode_32 3
		.amdhsa_float_denorm_mode_16_64 3
		.amdhsa_dx10_clamp 1
		.amdhsa_ieee_mode 1
		.amdhsa_fp16_overflow 0
		.amdhsa_tg_split 0
		.amdhsa_exception_fp_ieee_invalid_op 0
		.amdhsa_exception_fp_denorm_src 0
		.amdhsa_exception_fp_ieee_div_zero 0
		.amdhsa_exception_fp_ieee_overflow 0
		.amdhsa_exception_fp_ieee_underflow 0
		.amdhsa_exception_fp_ieee_inexact 0
		.amdhsa_exception_int_div_zero 0
	.end_amdhsa_kernel
	.section	.text._ZL28rocblas_dot_batched_4_kernelIlLi32ELi4ELb0Ef16rocblas_bfloat16PKPKS0_EviT5_lT_lS5_lS6_liPT4_,"axG",@progbits,_ZL28rocblas_dot_batched_4_kernelIlLi32ELi4ELb0Ef16rocblas_bfloat16PKPKS0_EviT5_lT_lS5_lS6_liPT4_,comdat
.Lfunc_end170:
	.size	_ZL28rocblas_dot_batched_4_kernelIlLi32ELi4ELb0Ef16rocblas_bfloat16PKPKS0_EviT5_lT_lS5_lS6_liPT4_, .Lfunc_end170-_ZL28rocblas_dot_batched_4_kernelIlLi32ELi4ELb0Ef16rocblas_bfloat16PKPKS0_EviT5_lT_lS5_lS6_liPT4_
                                        ; -- End function
	.section	.AMDGPU.csdata,"",@progbits
; Kernel info:
; codeLenInByte = 740
; NumSgprs: 24
; NumVgprs: 20
; NumAgprs: 0
; TotalNumVgprs: 20
; ScratchSize: 0
; MemoryBound: 0
; FloatMode: 240
; IeeeMode: 1
; LDSByteSize: 0 bytes/workgroup (compile time only)
; SGPRBlocks: 2
; VGPRBlocks: 2
; NumSGPRsForWavesPerEU: 24
; NumVGPRsForWavesPerEU: 20
; AccumOffset: 20
; Occupancy: 8
; WaveLimiterHint : 0
; COMPUTE_PGM_RSRC2:SCRATCH_EN: 0
; COMPUTE_PGM_RSRC2:USER_SGPR: 6
; COMPUTE_PGM_RSRC2:TRAP_HANDLER: 0
; COMPUTE_PGM_RSRC2:TGID_X_EN: 1
; COMPUTE_PGM_RSRC2:TGID_Y_EN: 0
; COMPUTE_PGM_RSRC2:TGID_Z_EN: 0
; COMPUTE_PGM_RSRC2:TIDIG_COMP_CNT: 1
; COMPUTE_PGM_RSRC3_GFX90A:ACCUM_OFFSET: 4
; COMPUTE_PGM_RSRC3_GFX90A:TG_SPLIT: 0
	.section	.text._ZL28rocblas_dot_batched_4_kernelIlLi64ELi4ELb0Ef16rocblas_bfloat16PKPKS0_EviT5_lT_lS5_lS6_liPT4_,"axG",@progbits,_ZL28rocblas_dot_batched_4_kernelIlLi64ELi4ELb0Ef16rocblas_bfloat16PKPKS0_EviT5_lT_lS5_lS6_liPT4_,comdat
	.globl	_ZL28rocblas_dot_batched_4_kernelIlLi64ELi4ELb0Ef16rocblas_bfloat16PKPKS0_EviT5_lT_lS5_lS6_liPT4_ ; -- Begin function _ZL28rocblas_dot_batched_4_kernelIlLi64ELi4ELb0Ef16rocblas_bfloat16PKPKS0_EviT5_lT_lS5_lS6_liPT4_
	.p2align	8
	.type	_ZL28rocblas_dot_batched_4_kernelIlLi64ELi4ELb0Ef16rocblas_bfloat16PKPKS0_EviT5_lT_lS5_lS6_liPT4_,@function
_ZL28rocblas_dot_batched_4_kernelIlLi64ELi4ELb0Ef16rocblas_bfloat16PKPKS0_EviT5_lT_lS5_lS6_liPT4_: ; @_ZL28rocblas_dot_batched_4_kernelIlLi64ELi4ELb0Ef16rocblas_bfloat16PKPKS0_EviT5_lT_lS5_lS6_liPT4_
; %bb.0:
	s_load_dword s0, s[4:5], 0x48
	v_bfe_u32 v1, v0, 10, 10
	v_lshl_add_u32 v2, s6, 2, v1
	s_waitcnt lgkmcnt(0)
	v_cmp_gt_u32_e32 vcc, s0, v2
	s_and_saveexec_b64 s[0:1], vcc
	s_cbranch_execz .LBB171_11
; %bb.1:
	s_load_dword s14, s[4:5], 0x0
	s_load_dwordx2 s[8:9], s[4:5], 0x50
	v_mov_b32_e32 v3, 0
	v_and_b32_e32 v6, 0x3ff, v0
	v_mov_b32_e32 v7, v3
	s_waitcnt lgkmcnt(0)
	v_cmp_gt_i32_e32 vcc, s14, v6
	s_and_saveexec_b64 s[10:11], vcc
	s_cbranch_execz .LBB171_5
; %bb.2:
	s_load_dwordx2 s[6:7], s[4:5], 0x8
	s_load_dwordx2 s[12:13], s[4:5], 0x28
	v_lshlrev_b64 v[0:1], 3, v[2:3]
	s_load_dwordx4 s[0:3], s[4:5], 0x10
	s_waitcnt lgkmcnt(0)
	v_mov_b32_e32 v5, s7
	v_add_co_u32_e32 v4, vcc, s6, v0
	v_addc_co_u32_e32 v5, vcc, v5, v1, vcc
	global_load_dwordx2 v[4:5], v[4:5], off
	v_mov_b32_e32 v7, s13
	v_add_co_u32_e32 v0, vcc, s12, v0
	v_addc_co_u32_e32 v1, vcc, v7, v1, vcc
	global_load_dwordx2 v[10:11], v[0:1], off
	s_load_dwordx4 s[4:7], s[4:5], 0x30
	v_mad_u64_u32 v[0:1], s[16:17], s2, v6, 0
	v_mov_b32_e32 v14, v1
	s_lshl_b64 s[16:17], s[0:1], 1
	s_lshl_b64 s[0:1], s[2:3], 7
	s_waitcnt lgkmcnt(0)
	v_mad_u64_u32 v[12:13], s[18:19], s6, v6, 0
	v_mad_u64_u32 v[14:15], s[2:3], s3, v6, v[14:15]
	v_mov_b32_e32 v16, v13
	v_mov_b32_e32 v1, v14
	v_mad_u64_u32 v[16:17], s[2:3], s7, v6, v[16:17]
	v_lshlrev_b64 v[0:1], 1, v[0:1]
	v_mov_b32_e32 v18, s17
	v_mov_b32_e32 v13, v16
	v_add_co_u32_e32 v0, vcc, s16, v0
	s_lshl_b64 s[18:19], s[4:5], 1
	v_lshlrev_b64 v[12:13], 1, v[12:13]
	v_addc_co_u32_e32 v1, vcc, v1, v18, vcc
	v_mov_b32_e32 v19, s19
	v_add_co_u32_e32 v12, vcc, s18, v12
	v_addc_co_u32_e32 v13, vcc, v13, v19, vcc
	s_lshl_b64 s[4:5], s[6:7], 7
	s_mov_b64 s[12:13], 0
	v_mov_b32_e32 v7, 0
	v_mov_b32_e32 v8, s1
	;; [unrolled: 1-line block ×3, first 2 shown]
	s_waitcnt vmcnt(1)
	v_add_co_u32_e32 v0, vcc, v4, v0
	v_addc_co_u32_e32 v1, vcc, v5, v1, vcc
	s_waitcnt vmcnt(0)
	v_add_co_u32_e32 v4, vcc, v10, v12
	v_addc_co_u32_e32 v5, vcc, v11, v13, vcc
	v_mov_b32_e32 v10, v6
.LBB171_3:                              ; =>This Inner Loop Header: Depth=1
	global_load_ushort v11, v[0:1], off
	global_load_ushort v12, v[4:5], off
	v_add_co_u32_e32 v0, vcc, s0, v0
	v_addc_co_u32_e32 v1, vcc, v1, v8, vcc
	v_add_co_u32_e32 v4, vcc, s4, v4
	v_add_u32_e32 v10, 64, v10
	v_addc_co_u32_e32 v5, vcc, v5, v9, vcc
	v_cmp_le_i32_e32 vcc, s14, v10
	s_or_b64 s[12:13], vcc, s[12:13]
	s_waitcnt vmcnt(1)
	v_lshlrev_b32_e32 v11, 16, v11
	s_waitcnt vmcnt(0)
	v_lshlrev_b32_e32 v12, 16, v12
	v_fmac_f32_e32 v7, v12, v11
	s_andn2_b64 exec, exec, s[12:13]
	s_cbranch_execnz .LBB171_3
; %bb.4:
	s_or_b64 exec, exec, s[12:13]
.LBB171_5:
	s_or_b64 exec, exec, s[10:11]
	v_mbcnt_lo_u32_b32 v0, -1, 0
	v_mbcnt_hi_u32_b32 v0, -1, v0
	v_and_b32_e32 v1, 63, v0
	v_cmp_gt_u32_e32 vcc, 32, v1
	v_cndmask_b32_e64 v4, 0, 1, vcc
	v_lshlrev_b32_e32 v4, 5, v4
	v_add_lshl_u32 v4, v4, v0, 2
	ds_bpermute_b32 v4, v4, v7
	v_cmp_gt_u32_e32 vcc, 48, v1
	v_cndmask_b32_e64 v5, 0, 1, vcc
	v_lshlrev_b32_e32 v5, 4, v5
	v_add_lshl_u32 v5, v5, v0, 2
	s_waitcnt lgkmcnt(0)
	v_add_f32_e32 v4, v7, v4
	ds_bpermute_b32 v5, v5, v4
	v_cmp_gt_u32_e32 vcc, 56, v1
	v_cndmask_b32_e64 v7, 0, 1, vcc
	v_lshlrev_b32_e32 v7, 3, v7
	v_cmp_gt_u32_e32 vcc, 60, v1
	s_waitcnt lgkmcnt(0)
	v_add_f32_e32 v4, v4, v5
	v_add_lshl_u32 v5, v7, v0, 2
	ds_bpermute_b32 v5, v5, v4
	v_cndmask_b32_e64 v7, 0, 1, vcc
	v_lshlrev_b32_e32 v7, 2, v7
	v_cmp_gt_u32_e32 vcc, 62, v1
	s_waitcnt lgkmcnt(0)
	v_add_f32_e32 v4, v4, v5
	v_add_lshl_u32 v5, v7, v0, 2
	ds_bpermute_b32 v5, v5, v4
	v_cndmask_b32_e64 v7, 0, 1, vcc
	v_lshlrev_b32_e32 v7, 1, v7
	v_cmp_ne_u32_e32 vcc, 63, v1
	v_addc_co_u32_e32 v1, vcc, 0, v0, vcc
	s_waitcnt lgkmcnt(0)
	v_add_f32_e32 v4, v4, v5
	v_add_lshl_u32 v5, v7, v0, 2
	ds_bpermute_b32 v5, v5, v4
	v_lshlrev_b32_e32 v1, 2, v1
	v_cmp_eq_u32_e32 vcc, 0, v6
	s_barrier
	s_waitcnt lgkmcnt(0)
	v_add_f32_e32 v0, v4, v5
	ds_bpermute_b32 v1, v1, v0
	s_and_b64 exec, exec, vcc
	s_cbranch_execz .LBB171_11
; %bb.6:
	s_waitcnt lgkmcnt(0)
	v_add_f32_e32 v1, v0, v1
	s_mov_b32 s0, 0x7f800000
	v_and_b32_e32 v0, 0x7f800000, v1
	v_cmp_ne_u32_e32 vcc, s0, v0
                                        ; implicit-def: $vgpr0
	s_and_saveexec_b64 s[0:1], vcc
	s_xor_b64 s[0:1], exec, s[0:1]
; %bb.7:
	v_bfe_u32 v0, v1, 16, 1
	s_movk_i32 s2, 0x7fff
	v_add3_u32 v0, v1, v0, s2
                                        ; implicit-def: $vgpr1
; %bb.8:
	s_andn2_saveexec_b64 s[0:1], s[0:1]
; %bb.9:
	v_mov_b32_e32 v0, 0
	v_or_b32_e32 v4, 0x10000, v1
	v_cmp_eq_u32_sdwa vcc, v1, v0 src0_sel:WORD_0 src1_sel:DWORD
	v_cndmask_b32_e32 v0, v4, v1, vcc
; %bb.10:
	s_or_b64 exec, exec, s[0:1]
	v_lshlrev_b64 v[2:3], 1, v[2:3]
	v_mov_b32_e32 v1, s9
	v_add_co_u32_e32 v2, vcc, s8, v2
	v_addc_co_u32_e32 v3, vcc, v1, v3, vcc
	global_store_short_d16_hi v[2:3], v0, off
.LBB171_11:
	s_endpgm
	.section	.rodata,"a",@progbits
	.p2align	6, 0x0
	.amdhsa_kernel _ZL28rocblas_dot_batched_4_kernelIlLi64ELi4ELb0Ef16rocblas_bfloat16PKPKS0_EviT5_lT_lS5_lS6_liPT4_
		.amdhsa_group_segment_fixed_size 0
		.amdhsa_private_segment_fixed_size 0
		.amdhsa_kernarg_size 88
		.amdhsa_user_sgpr_count 6
		.amdhsa_user_sgpr_private_segment_buffer 1
		.amdhsa_user_sgpr_dispatch_ptr 0
		.amdhsa_user_sgpr_queue_ptr 0
		.amdhsa_user_sgpr_kernarg_segment_ptr 1
		.amdhsa_user_sgpr_dispatch_id 0
		.amdhsa_user_sgpr_flat_scratch_init 0
		.amdhsa_user_sgpr_kernarg_preload_length 0
		.amdhsa_user_sgpr_kernarg_preload_offset 0
		.amdhsa_user_sgpr_private_segment_size 0
		.amdhsa_uses_dynamic_stack 0
		.amdhsa_system_sgpr_private_segment_wavefront_offset 0
		.amdhsa_system_sgpr_workgroup_id_x 1
		.amdhsa_system_sgpr_workgroup_id_y 0
		.amdhsa_system_sgpr_workgroup_id_z 0
		.amdhsa_system_sgpr_workgroup_info 0
		.amdhsa_system_vgpr_workitem_id 1
		.amdhsa_next_free_vgpr 20
		.amdhsa_next_free_sgpr 20
		.amdhsa_accum_offset 20
		.amdhsa_reserve_vcc 1
		.amdhsa_reserve_flat_scratch 0
		.amdhsa_float_round_mode_32 0
		.amdhsa_float_round_mode_16_64 0
		.amdhsa_float_denorm_mode_32 3
		.amdhsa_float_denorm_mode_16_64 3
		.amdhsa_dx10_clamp 1
		.amdhsa_ieee_mode 1
		.amdhsa_fp16_overflow 0
		.amdhsa_tg_split 0
		.amdhsa_exception_fp_ieee_invalid_op 0
		.amdhsa_exception_fp_denorm_src 0
		.amdhsa_exception_fp_ieee_div_zero 0
		.amdhsa_exception_fp_ieee_overflow 0
		.amdhsa_exception_fp_ieee_underflow 0
		.amdhsa_exception_fp_ieee_inexact 0
		.amdhsa_exception_int_div_zero 0
	.end_amdhsa_kernel
	.section	.text._ZL28rocblas_dot_batched_4_kernelIlLi64ELi4ELb0Ef16rocblas_bfloat16PKPKS0_EviT5_lT_lS5_lS6_liPT4_,"axG",@progbits,_ZL28rocblas_dot_batched_4_kernelIlLi64ELi4ELb0Ef16rocblas_bfloat16PKPKS0_EviT5_lT_lS5_lS6_liPT4_,comdat
.Lfunc_end171:
	.size	_ZL28rocblas_dot_batched_4_kernelIlLi64ELi4ELb0Ef16rocblas_bfloat16PKPKS0_EviT5_lT_lS5_lS6_liPT4_, .Lfunc_end171-_ZL28rocblas_dot_batched_4_kernelIlLi64ELi4ELb0Ef16rocblas_bfloat16PKPKS0_EviT5_lT_lS5_lS6_liPT4_
                                        ; -- End function
	.section	.AMDGPU.csdata,"",@progbits
; Kernel info:
; codeLenInByte = 780
; NumSgprs: 24
; NumVgprs: 20
; NumAgprs: 0
; TotalNumVgprs: 20
; ScratchSize: 0
; MemoryBound: 0
; FloatMode: 240
; IeeeMode: 1
; LDSByteSize: 0 bytes/workgroup (compile time only)
; SGPRBlocks: 2
; VGPRBlocks: 2
; NumSGPRsForWavesPerEU: 24
; NumVGPRsForWavesPerEU: 20
; AccumOffset: 20
; Occupancy: 8
; WaveLimiterHint : 0
; COMPUTE_PGM_RSRC2:SCRATCH_EN: 0
; COMPUTE_PGM_RSRC2:USER_SGPR: 6
; COMPUTE_PGM_RSRC2:TRAP_HANDLER: 0
; COMPUTE_PGM_RSRC2:TGID_X_EN: 1
; COMPUTE_PGM_RSRC2:TGID_Y_EN: 0
; COMPUTE_PGM_RSRC2:TGID_Z_EN: 0
; COMPUTE_PGM_RSRC2:TIDIG_COMP_CNT: 1
; COMPUTE_PGM_RSRC3_GFX90A:ACCUM_OFFSET: 4
; COMPUTE_PGM_RSRC3_GFX90A:TG_SPLIT: 0
	.section	.text._ZL18rocblas_dot_kernelIlLb1ELi1024ELi32ELb0E16rocblas_bfloat16PKPKS0_fEviT5_lT_lS5_lS6_liPT6_PT4_,"axG",@progbits,_ZL18rocblas_dot_kernelIlLb1ELi1024ELi32ELb0E16rocblas_bfloat16PKPKS0_fEviT5_lT_lS5_lS6_liPT6_PT4_,comdat
	.globl	_ZL18rocblas_dot_kernelIlLb1ELi1024ELi32ELb0E16rocblas_bfloat16PKPKS0_fEviT5_lT_lS5_lS6_liPT6_PT4_ ; -- Begin function _ZL18rocblas_dot_kernelIlLb1ELi1024ELi32ELb0E16rocblas_bfloat16PKPKS0_fEviT5_lT_lS5_lS6_liPT6_PT4_
	.p2align	8
	.type	_ZL18rocblas_dot_kernelIlLb1ELi1024ELi32ELb0E16rocblas_bfloat16PKPKS0_fEviT5_lT_lS5_lS6_liPT6_PT4_,@function
_ZL18rocblas_dot_kernelIlLb1ELi1024ELi32ELb0E16rocblas_bfloat16PKPKS0_fEviT5_lT_lS5_lS6_liPT6_PT4_: ; @_ZL18rocblas_dot_kernelIlLb1ELi1024ELi32ELb0E16rocblas_bfloat16PKPKS0_fEviT5_lT_lS5_lS6_liPT6_PT4_
; %bb.0:
	s_load_dword s16, s[4:5], 0x0
	s_load_dwordx2 s[12:13], s[4:5], 0x58
	s_mov_b32 s6, s7
	s_mov_b32 s7, 0
	v_mov_b32_e32 v6, 0
	s_waitcnt lgkmcnt(0)
	v_cmp_gt_i32_e32 vcc, s16, v0
	s_and_saveexec_b64 s[14:15], vcc
	s_cbranch_execz .LBB172_4
; %bb.1:
	s_load_dwordx2 s[18:19], s[4:5], 0x8
	s_load_dwordx4 s[8:11], s[4:5], 0x10
	s_load_dwordx2 s[20:21], s[4:5], 0x28
	s_load_dwordx4 s[0:3], s[4:5], 0x30
	s_lshl_b64 s[22:23], s[6:7], 3
	s_waitcnt lgkmcnt(0)
	s_add_u32 s18, s18, s22
	s_addc_u32 s19, s19, s23
	s_load_dword s17, s[4:5], 0x60
	s_load_dwordx2 s[24:25], s[18:19], 0x0
	s_add_u32 s4, s20, s22
	s_addc_u32 s5, s21, s23
	s_load_dwordx2 s[18:19], s[4:5], 0x0
	v_mad_u64_u32 v[2:3], s[4:5], s10, v0, 0
	v_mov_b32_e32 v4, v3
	v_mad_u64_u32 v[4:5], s[4:5], s11, v0, v[4:5]
	s_waitcnt lgkmcnt(0)
	s_lshl_b32 s17, s17, 10
	s_lshl_b64 s[4:5], s[8:9], 1
	v_mov_b32_e32 v3, v4
	s_add_u32 s4, s24, s4
	v_lshlrev_b64 v[2:3], 1, v[2:3]
	s_addc_u32 s5, s25, s5
	s_ashr_i32 s20, s17, 31
	v_mov_b32_e32 v4, s5
	v_add_co_u32_e32 v2, vcc, s4, v2
	s_mul_i32 s4, s10, s20
	s_mul_hi_u32 s5, s10, s17
	v_addc_co_u32_e32 v3, vcc, v4, v3, vcc
	s_add_i32 s4, s5, s4
	s_mul_i32 s5, s11, s17
	v_mad_u64_u32 v[4:5], s[8:9], s2, v0, 0
	s_add_i32 s5, s4, s5
	s_mul_i32 s4, s10, s17
	v_mov_b32_e32 v6, v5
	s_lshl_b64 s[4:5], s[4:5], 1
	v_mad_u64_u32 v[6:7], s[8:9], s3, v0, v[6:7]
	s_lshl_b64 s[0:1], s[0:1], 1
	v_mov_b32_e32 v5, v6
	s_add_u32 s0, s18, s0
	v_lshlrev_b64 v[4:5], 1, v[4:5]
	s_addc_u32 s1, s19, s1
	v_mov_b32_e32 v6, s1
	v_add_co_u32_e32 v4, vcc, s0, v4
	s_mul_i32 s0, s2, s20
	s_mul_hi_u32 s1, s2, s17
	s_add_i32 s0, s1, s0
	s_mul_i32 s1, s3, s17
	s_add_i32 s1, s0, s1
	s_mul_i32 s0, s2, s17
	s_lshl_b64 s[8:9], s[0:1], 1
	v_or_b32_e32 v1, s17, v0
	v_addc_co_u32_e32 v5, vcc, v6, v5, vcc
	s_mov_b64 s[2:3], 0
	v_mov_b32_e32 v6, 0
	v_mov_b32_e32 v7, s5
	;; [unrolled: 1-line block ×3, first 2 shown]
	s_mov_b32 s5, s7
.LBB172_2:                              ; =>This Inner Loop Header: Depth=1
	global_load_ushort v9, v[4:5], off
	global_load_ushort v10, v[2:3], off
	v_add_co_u32_e64 v2, s[0:1], s4, v2
	v_addc_co_u32_e64 v3, s[0:1], v3, v7, s[0:1]
	s_add_i32 s9, s5, 1
	v_add_co_u32_e64 v4, s[0:1], s8, v4
	v_addc_co_u32_e64 v5, s[0:1], v5, v8, s[0:1]
	s_cmp_gt_u32 s5, 30
	v_cmp_le_i32_e32 vcc, s16, v1
	s_cselect_b64 s[0:1], -1, 0
	s_or_b64 s[0:1], s[0:1], vcc
	s_and_b64 s[0:1], exec, s[0:1]
	v_add_u32_e32 v1, s17, v1
	s_mov_b32 s5, s9
	s_or_b64 s[2:3], s[0:1], s[2:3]
	s_waitcnt vmcnt(1)
	v_lshlrev_b32_e32 v9, 16, v9
	s_waitcnt vmcnt(0)
	v_lshlrev_b32_e32 v10, 16, v10
	v_fmac_f32_e32 v6, v10, v9
	s_andn2_b64 exec, exec, s[2:3]
	s_cbranch_execnz .LBB172_2
; %bb.3:
	s_or_b64 exec, exec, s[2:3]
.LBB172_4:
	s_or_b64 exec, exec, s[14:15]
	v_and_b32_e32 v2, 63, v0
	v_cmp_gt_u32_e32 vcc, 64, v0
	v_lshlrev_b32_e32 v1, 2, v2
	s_and_saveexec_b64 s[0:1], vcc
	s_cbranch_execz .LBB172_6
; %bb.5:
	v_mov_b32_e32 v3, 0
	ds_write_b32 v1, v3
.LBB172_6:
	s_or_b64 exec, exec, s[0:1]
	v_mbcnt_lo_u32_b32 v3, -1, 0
	v_mbcnt_hi_u32_b32 v7, -1, v3
	v_and_b32_e32 v8, 63, v7
	v_cmp_gt_u32_e64 s[0:1], 32, v8
	v_cndmask_b32_e64 v3, 0, 1, s[0:1]
	v_lshlrev_b32_e32 v3, 5, v3
	v_add_lshl_u32 v3, v3, v7, 2
	ds_bpermute_b32 v3, v3, v6
	v_cmp_gt_u32_e64 s[0:1], 48, v8
	v_cndmask_b32_e64 v4, 0, 1, s[0:1]
	v_lshlrev_b32_e32 v4, 4, v4
	v_add_lshl_u32 v4, v4, v7, 2
	s_waitcnt lgkmcnt(0)
	v_add_f32_e32 v3, v6, v3
	ds_bpermute_b32 v4, v4, v3
	v_cmp_gt_u32_e64 s[0:1], 56, v8
	v_cndmask_b32_e64 v5, 0, 1, s[0:1]
	v_lshlrev_b32_e32 v5, 3, v5
	v_cmp_gt_u32_e64 s[0:1], 60, v8
	s_waitcnt lgkmcnt(0)
	v_add_f32_e32 v4, v3, v4
	v_add_lshl_u32 v3, v5, v7, 2
	ds_bpermute_b32 v5, v3, v4
	v_cndmask_b32_e64 v6, 0, 1, s[0:1]
	v_lshlrev_b32_e32 v6, 2, v6
	v_cmp_gt_u32_e64 s[0:1], 62, v8
	v_cndmask_b32_e64 v9, 0, 1, s[0:1]
	s_waitcnt lgkmcnt(0)
	v_add_f32_e32 v5, v4, v5
	v_add_lshl_u32 v4, v6, v7, 2
	ds_bpermute_b32 v6, v4, v5
	v_lshlrev_b32_e32 v9, 1, v9
	v_cmp_ne_u32_e64 s[0:1], 63, v8
	v_addc_co_u32_e64 v8, s[0:1], 0, v7, s[0:1]
	s_waitcnt lgkmcnt(0)
	v_add_f32_e32 v6, v5, v6
	v_add_lshl_u32 v5, v9, v7, 2
	ds_bpermute_b32 v9, v5, v6
	v_cmp_eq_u32_e64 s[0:1], 0, v2
	s_waitcnt lgkmcnt(0)
	s_barrier
	v_add_f32_e32 v7, v6, v9
	v_lshlrev_b32_e32 v6, 2, v8
	ds_bpermute_b32 v8, v6, v7
	s_and_saveexec_b64 s[2:3], s[0:1]
	s_cbranch_execz .LBB172_8
; %bb.7:
	s_waitcnt lgkmcnt(0)
	v_add_f32_e32 v2, v7, v8
	v_lshrrev_b32_e32 v7, 4, v0
	v_and_b32_e32 v7, 60, v7
	ds_write_b32 v7, v2
.LBB172_8:
	s_or_b64 exec, exec, s[2:3]
	v_cmp_gt_u32_e64 s[0:1], 16, v0
	v_mov_b32_e32 v2, 0
	s_waitcnt lgkmcnt(0)
	s_barrier
	s_and_saveexec_b64 s[2:3], s[0:1]
	s_cbranch_execnz .LBB172_12
; %bb.9:
	s_or_b64 exec, exec, s[2:3]
	s_and_saveexec_b64 s[0:1], vcc
	s_cbranch_execnz .LBB172_13
.LBB172_10:
	s_or_b64 exec, exec, s[0:1]
	v_cmp_eq_u32_e32 vcc, 0, v0
	s_and_saveexec_b64 s[0:1], vcc
	s_cbranch_execnz .LBB172_14
.LBB172_11:
	s_endpgm
.LBB172_12:
	ds_read_b32 v2, v1
	s_or_b64 exec, exec, s[2:3]
	s_and_saveexec_b64 s[0:1], vcc
	s_cbranch_execz .LBB172_10
.LBB172_13:
	s_waitcnt lgkmcnt(0)
	ds_bpermute_b32 v1, v3, v2
	s_waitcnt lgkmcnt(0)
	v_add_f32_e32 v1, v2, v1
	ds_bpermute_b32 v2, v4, v1
	s_waitcnt lgkmcnt(0)
	v_add_f32_e32 v1, v1, v2
	;; [unrolled: 3-line block ×4, first 2 shown]
	s_or_b64 exec, exec, s[0:1]
	v_cmp_eq_u32_e32 vcc, 0, v0
	s_and_saveexec_b64 s[0:1], vcc
	s_cbranch_execz .LBB172_11
.LBB172_14:
	s_mov_b32 s0, 0x7f800000
	s_waitcnt lgkmcnt(0)
	v_and_b32_e32 v0, 0x7f800000, v2
	v_cmp_ne_u32_e32 vcc, s0, v0
                                        ; implicit-def: $vgpr0
	s_and_saveexec_b64 s[0:1], vcc
	s_xor_b64 s[0:1], exec, s[0:1]
; %bb.15:
	v_bfe_u32 v0, v2, 16, 1
	s_movk_i32 s2, 0x7fff
	v_add3_u32 v0, v2, v0, s2
                                        ; implicit-def: $vgpr2
; %bb.16:
	s_andn2_saveexec_b64 s[0:1], s[0:1]
; %bb.17:
	v_mov_b32_e32 v0, 0
	v_or_b32_e32 v1, 0x10000, v2
	v_cmp_eq_u32_sdwa vcc, v2, v0 src0_sel:WORD_0 src1_sel:DWORD
	v_cndmask_b32_e32 v0, v1, v2, vcc
; %bb.18:
	s_or_b64 exec, exec, s[0:1]
	s_lshl_b64 s[0:1], s[6:7], 1
	s_add_u32 s0, s12, s0
	s_addc_u32 s1, s13, s1
	v_mov_b32_e32 v1, 0
	global_store_short_d16_hi v1, v0, s[0:1]
	s_endpgm
	.section	.rodata,"a",@progbits
	.p2align	6, 0x0
	.amdhsa_kernel _ZL18rocblas_dot_kernelIlLb1ELi1024ELi32ELb0E16rocblas_bfloat16PKPKS0_fEviT5_lT_lS5_lS6_liPT6_PT4_
		.amdhsa_group_segment_fixed_size 256
		.amdhsa_private_segment_fixed_size 0
		.amdhsa_kernarg_size 352
		.amdhsa_user_sgpr_count 6
		.amdhsa_user_sgpr_private_segment_buffer 1
		.amdhsa_user_sgpr_dispatch_ptr 0
		.amdhsa_user_sgpr_queue_ptr 0
		.amdhsa_user_sgpr_kernarg_segment_ptr 1
		.amdhsa_user_sgpr_dispatch_id 0
		.amdhsa_user_sgpr_flat_scratch_init 0
		.amdhsa_user_sgpr_kernarg_preload_length 0
		.amdhsa_user_sgpr_kernarg_preload_offset 0
		.amdhsa_user_sgpr_private_segment_size 0
		.amdhsa_uses_dynamic_stack 0
		.amdhsa_system_sgpr_private_segment_wavefront_offset 0
		.amdhsa_system_sgpr_workgroup_id_x 1
		.amdhsa_system_sgpr_workgroup_id_y 0
		.amdhsa_system_sgpr_workgroup_id_z 1
		.amdhsa_system_sgpr_workgroup_info 0
		.amdhsa_system_vgpr_workitem_id 0
		.amdhsa_next_free_vgpr 11
		.amdhsa_next_free_sgpr 26
		.amdhsa_accum_offset 12
		.amdhsa_reserve_vcc 1
		.amdhsa_reserve_flat_scratch 0
		.amdhsa_float_round_mode_32 0
		.amdhsa_float_round_mode_16_64 0
		.amdhsa_float_denorm_mode_32 3
		.amdhsa_float_denorm_mode_16_64 3
		.amdhsa_dx10_clamp 1
		.amdhsa_ieee_mode 1
		.amdhsa_fp16_overflow 0
		.amdhsa_tg_split 0
		.amdhsa_exception_fp_ieee_invalid_op 0
		.amdhsa_exception_fp_denorm_src 0
		.amdhsa_exception_fp_ieee_div_zero 0
		.amdhsa_exception_fp_ieee_overflow 0
		.amdhsa_exception_fp_ieee_underflow 0
		.amdhsa_exception_fp_ieee_inexact 0
		.amdhsa_exception_int_div_zero 0
	.end_amdhsa_kernel
	.section	.text._ZL18rocblas_dot_kernelIlLb1ELi1024ELi32ELb0E16rocblas_bfloat16PKPKS0_fEviT5_lT_lS5_lS6_liPT6_PT4_,"axG",@progbits,_ZL18rocblas_dot_kernelIlLb1ELi1024ELi32ELb0E16rocblas_bfloat16PKPKS0_fEviT5_lT_lS5_lS6_liPT6_PT4_,comdat
.Lfunc_end172:
	.size	_ZL18rocblas_dot_kernelIlLb1ELi1024ELi32ELb0E16rocblas_bfloat16PKPKS0_fEviT5_lT_lS5_lS6_liPT6_PT4_, .Lfunc_end172-_ZL18rocblas_dot_kernelIlLb1ELi1024ELi32ELb0E16rocblas_bfloat16PKPKS0_fEviT5_lT_lS5_lS6_liPT6_PT4_
                                        ; -- End function
	.section	.AMDGPU.csdata,"",@progbits
; Kernel info:
; codeLenInByte = 1076
; NumSgprs: 30
; NumVgprs: 11
; NumAgprs: 0
; TotalNumVgprs: 11
; ScratchSize: 0
; MemoryBound: 0
; FloatMode: 240
; IeeeMode: 1
; LDSByteSize: 256 bytes/workgroup (compile time only)
; SGPRBlocks: 3
; VGPRBlocks: 1
; NumSGPRsForWavesPerEU: 30
; NumVGPRsForWavesPerEU: 11
; AccumOffset: 12
; Occupancy: 8
; WaveLimiterHint : 0
; COMPUTE_PGM_RSRC2:SCRATCH_EN: 0
; COMPUTE_PGM_RSRC2:USER_SGPR: 6
; COMPUTE_PGM_RSRC2:TRAP_HANDLER: 0
; COMPUTE_PGM_RSRC2:TGID_X_EN: 1
; COMPUTE_PGM_RSRC2:TGID_Y_EN: 0
; COMPUTE_PGM_RSRC2:TGID_Z_EN: 1
; COMPUTE_PGM_RSRC2:TIDIG_COMP_CNT: 0
; COMPUTE_PGM_RSRC3_GFX90A:ACCUM_OFFSET: 2
; COMPUTE_PGM_RSRC3_GFX90A:TG_SPLIT: 0
	.section	.text._ZL24rocblas_dot_kernel_magsqIlLb1ELi1024ELi32ELb0E16rocblas_bfloat16PKPKS0_fEviT5_lT_liPT6_PT4_,"axG",@progbits,_ZL24rocblas_dot_kernel_magsqIlLb1ELi1024ELi32ELb0E16rocblas_bfloat16PKPKS0_fEviT5_lT_liPT6_PT4_,comdat
	.globl	_ZL24rocblas_dot_kernel_magsqIlLb1ELi1024ELi32ELb0E16rocblas_bfloat16PKPKS0_fEviT5_lT_liPT6_PT4_ ; -- Begin function _ZL24rocblas_dot_kernel_magsqIlLb1ELi1024ELi32ELb0E16rocblas_bfloat16PKPKS0_fEviT5_lT_liPT6_PT4_
	.p2align	8
	.type	_ZL24rocblas_dot_kernel_magsqIlLb1ELi1024ELi32ELb0E16rocblas_bfloat16PKPKS0_fEviT5_lT_liPT6_PT4_,@function
_ZL24rocblas_dot_kernel_magsqIlLb1ELi1024ELi32ELb0E16rocblas_bfloat16PKPKS0_fEviT5_lT_liPT6_PT4_: ; @_ZL24rocblas_dot_kernel_magsqIlLb1ELi1024ELi32ELb0E16rocblas_bfloat16PKPKS0_fEviT5_lT_liPT6_PT4_
; %bb.0:
	s_mov_b32 s2, s7
	s_load_dword s12, s[4:5], 0x0
	s_load_dwordx2 s[6:7], s[4:5], 0x38
	s_mov_b32 s3, 0
	v_mov_b32_e32 v1, 0
	s_waitcnt lgkmcnt(0)
	v_cmp_gt_i32_e32 vcc, s12, v0
	s_and_saveexec_b64 s[8:9], vcc
	s_cbranch_execz .LBB173_4
; %bb.1:
	s_load_dwordx2 s[0:1], s[4:5], 0x8
	s_load_dword s10, s[4:5], 0x40
	s_load_dwordx4 s[16:19], s[4:5], 0x10
	s_lshl_b64 s[4:5], s[2:3], 3
	s_waitcnt lgkmcnt(0)
	s_add_u32 s0, s0, s4
	s_addc_u32 s1, s1, s5
	s_load_dwordx2 s[0:1], s[0:1], 0x0
	v_mad_u64_u32 v[2:3], s[4:5], s18, v0, 0
	v_mov_b32_e32 v6, v3
	v_mad_u64_u32 v[6:7], s[4:5], s19, v0, v[6:7]
	s_lshl_b32 s13, s10, 10
	v_mov_b32_e32 v3, v6
	s_lshl_b64 s[4:5], s[16:17], 1
	v_lshlrev_b64 v[2:3], 1, v[2:3]
	s_waitcnt lgkmcnt(0)
	s_add_u32 s0, s0, s4
	s_addc_u32 s1, s1, s5
	v_add_co_u32_e32 v2, vcc, s0, v2
	s_ashr_i32 s0, s13, 31
	v_mov_b32_e32 v1, s1
	s_mul_i32 s0, s18, s0
	s_mul_hi_u32 s1, s18, s13
	s_add_i32 s0, s1, s0
	s_mul_i32 s1, s19, s13
	s_add_i32 s1, s0, s1
	s_mul_i32 s0, s18, s13
	s_lshl_b64 s[10:11], s[0:1], 1
	v_or_b32_e32 v4, s13, v0
	v_addc_co_u32_e32 v3, vcc, v1, v3, vcc
	s_mov_b64 s[4:5], 0
	v_mov_b32_e32 v1, 0
	v_mov_b32_e32 v5, s11
	s_mov_b32 s11, s3
.LBB173_2:                              ; =>This Inner Loop Header: Depth=1
	global_load_ushort v6, v[2:3], off
	s_add_i32 s14, s11, 1
	v_add_co_u32_e64 v2, s[0:1], s10, v2
	v_addc_co_u32_e64 v3, s[0:1], v3, v5, s[0:1]
	s_cmp_gt_u32 s11, 30
	v_cmp_le_i32_e32 vcc, s12, v4
	s_cselect_b64 s[0:1], -1, 0
	s_or_b64 s[0:1], s[0:1], vcc
	s_and_b64 s[0:1], exec, s[0:1]
	v_add_u32_e32 v4, s13, v4
	s_mov_b32 s11, s14
	s_or_b64 s[4:5], s[0:1], s[4:5]
	s_waitcnt vmcnt(0)
	v_lshlrev_b32_e32 v6, 16, v6
	v_fmac_f32_e32 v1, v6, v6
	s_andn2_b64 exec, exec, s[4:5]
	s_cbranch_execnz .LBB173_2
; %bb.3:
	s_or_b64 exec, exec, s[4:5]
.LBB173_4:
	s_or_b64 exec, exec, s[8:9]
	v_and_b32_e32 v3, 63, v0
	v_cmp_gt_u32_e32 vcc, 64, v0
	v_lshlrev_b32_e32 v2, 2, v3
	s_and_saveexec_b64 s[0:1], vcc
	s_cbranch_execz .LBB173_6
; %bb.5:
	v_mov_b32_e32 v4, 0
	ds_write_b32 v2, v4
.LBB173_6:
	s_or_b64 exec, exec, s[0:1]
	v_mbcnt_lo_u32_b32 v4, -1, 0
	v_mbcnt_hi_u32_b32 v6, -1, v4
	v_and_b32_e32 v7, 63, v6
	v_cmp_gt_u32_e64 s[0:1], 32, v7
	v_cndmask_b32_e64 v4, 0, 1, s[0:1]
	v_lshlrev_b32_e32 v4, 5, v4
	v_add_lshl_u32 v4, v4, v6, 2
	ds_bpermute_b32 v4, v4, v1
	v_cmp_gt_u32_e64 s[0:1], 48, v7
	v_cndmask_b32_e64 v5, 0, 1, s[0:1]
	v_lshlrev_b32_e32 v5, 4, v5
	v_cmp_gt_u32_e64 s[0:1], 56, v7
	s_waitcnt lgkmcnt(0)
	v_add_f32_e32 v1, v1, v4
	v_add_lshl_u32 v4, v5, v6, 2
	ds_bpermute_b32 v4, v4, v1
	v_cndmask_b32_e64 v5, 0, 1, s[0:1]
	v_lshlrev_b32_e32 v5, 3, v5
	v_cmp_gt_u32_e64 s[0:1], 60, v7
	v_cndmask_b32_e64 v8, 0, 1, s[0:1]
	s_waitcnt lgkmcnt(0)
	v_add_f32_e32 v4, v1, v4
	v_add_lshl_u32 v1, v5, v6, 2
	ds_bpermute_b32 v5, v1, v4
	v_lshlrev_b32_e32 v8, 2, v8
	v_cmp_gt_u32_e64 s[0:1], 62, v7
	v_cndmask_b32_e64 v9, 0, 1, s[0:1]
	v_lshlrev_b32_e32 v9, 1, v9
	s_waitcnt lgkmcnt(0)
	v_add_f32_e32 v5, v4, v5
	v_add_lshl_u32 v4, v8, v6, 2
	ds_bpermute_b32 v8, v4, v5
	v_cmp_ne_u32_e64 s[0:1], 63, v7
	s_waitcnt lgkmcnt(0)
	s_barrier
	v_add_f32_e32 v8, v5, v8
	v_add_lshl_u32 v5, v9, v6, 2
	ds_bpermute_b32 v9, v5, v8
	v_addc_co_u32_e64 v6, s[0:1], 0, v6, s[0:1]
	v_lshlrev_b32_e32 v6, 2, v6
	v_cmp_eq_u32_e64 s[0:1], 0, v3
	s_waitcnt lgkmcnt(0)
	v_add_f32_e32 v7, v8, v9
	ds_bpermute_b32 v8, v6, v7
	s_and_saveexec_b64 s[4:5], s[0:1]
	s_cbranch_execz .LBB173_8
; %bb.7:
	s_waitcnt lgkmcnt(0)
	v_add_f32_e32 v3, v7, v8
	v_lshrrev_b32_e32 v7, 4, v0
	v_and_b32_e32 v7, 60, v7
	ds_write_b32 v7, v3
.LBB173_8:
	s_or_b64 exec, exec, s[4:5]
	v_cmp_gt_u32_e64 s[0:1], 16, v0
	v_mov_b32_e32 v3, 0
	s_waitcnt lgkmcnt(0)
	s_barrier
	s_and_saveexec_b64 s[4:5], s[0:1]
	s_cbranch_execnz .LBB173_12
; %bb.9:
	s_or_b64 exec, exec, s[4:5]
	s_and_saveexec_b64 s[0:1], vcc
	s_cbranch_execnz .LBB173_13
.LBB173_10:
	s_or_b64 exec, exec, s[0:1]
	v_cmp_eq_u32_e32 vcc, 0, v0
	s_and_saveexec_b64 s[0:1], vcc
	s_cbranch_execnz .LBB173_14
.LBB173_11:
	s_endpgm
.LBB173_12:
	ds_read_b32 v3, v2
	s_or_b64 exec, exec, s[4:5]
	s_and_saveexec_b64 s[0:1], vcc
	s_cbranch_execz .LBB173_10
.LBB173_13:
	s_waitcnt lgkmcnt(0)
	ds_bpermute_b32 v1, v1, v3
	s_waitcnt lgkmcnt(0)
	v_add_f32_e32 v1, v3, v1
	ds_bpermute_b32 v2, v4, v1
	s_waitcnt lgkmcnt(0)
	v_add_f32_e32 v1, v1, v2
	;; [unrolled: 3-line block ×4, first 2 shown]
	s_or_b64 exec, exec, s[0:1]
	v_cmp_eq_u32_e32 vcc, 0, v0
	s_and_saveexec_b64 s[0:1], vcc
	s_cbranch_execz .LBB173_11
.LBB173_14:
	s_mov_b32 s0, 0x7f800000
	s_waitcnt lgkmcnt(0)
	v_and_b32_e32 v0, 0x7f800000, v3
	v_cmp_ne_u32_e32 vcc, s0, v0
                                        ; implicit-def: $vgpr0
	s_and_saveexec_b64 s[0:1], vcc
	s_xor_b64 s[0:1], exec, s[0:1]
; %bb.15:
	v_bfe_u32 v0, v3, 16, 1
	s_movk_i32 s4, 0x7fff
	v_add3_u32 v0, v3, v0, s4
                                        ; implicit-def: $vgpr3
; %bb.16:
	s_andn2_saveexec_b64 s[0:1], s[0:1]
; %bb.17:
	v_mov_b32_e32 v0, 0
	v_or_b32_e32 v1, 0x10000, v3
	v_cmp_eq_u32_sdwa vcc, v3, v0 src0_sel:WORD_0 src1_sel:DWORD
	v_cndmask_b32_e32 v0, v1, v3, vcc
; %bb.18:
	s_or_b64 exec, exec, s[0:1]
	s_lshl_b64 s[0:1], s[2:3], 1
	s_add_u32 s0, s6, s0
	s_addc_u32 s1, s7, s1
	v_mov_b32_e32 v1, 0
	global_store_short_d16_hi v1, v0, s[0:1]
	s_endpgm
	.section	.rodata,"a",@progbits
	.p2align	6, 0x0
	.amdhsa_kernel _ZL24rocblas_dot_kernel_magsqIlLb1ELi1024ELi32ELb0E16rocblas_bfloat16PKPKS0_fEviT5_lT_liPT6_PT4_
		.amdhsa_group_segment_fixed_size 256
		.amdhsa_private_segment_fixed_size 0
		.amdhsa_kernarg_size 320
		.amdhsa_user_sgpr_count 6
		.amdhsa_user_sgpr_private_segment_buffer 1
		.amdhsa_user_sgpr_dispatch_ptr 0
		.amdhsa_user_sgpr_queue_ptr 0
		.amdhsa_user_sgpr_kernarg_segment_ptr 1
		.amdhsa_user_sgpr_dispatch_id 0
		.amdhsa_user_sgpr_flat_scratch_init 0
		.amdhsa_user_sgpr_kernarg_preload_length 0
		.amdhsa_user_sgpr_kernarg_preload_offset 0
		.amdhsa_user_sgpr_private_segment_size 0
		.amdhsa_uses_dynamic_stack 0
		.amdhsa_system_sgpr_private_segment_wavefront_offset 0
		.amdhsa_system_sgpr_workgroup_id_x 1
		.amdhsa_system_sgpr_workgroup_id_y 0
		.amdhsa_system_sgpr_workgroup_id_z 1
		.amdhsa_system_sgpr_workgroup_info 0
		.amdhsa_system_vgpr_workitem_id 0
		.amdhsa_next_free_vgpr 10
		.amdhsa_next_free_sgpr 20
		.amdhsa_accum_offset 12
		.amdhsa_reserve_vcc 1
		.amdhsa_reserve_flat_scratch 0
		.amdhsa_float_round_mode_32 0
		.amdhsa_float_round_mode_16_64 0
		.amdhsa_float_denorm_mode_32 3
		.amdhsa_float_denorm_mode_16_64 3
		.amdhsa_dx10_clamp 1
		.amdhsa_ieee_mode 1
		.amdhsa_fp16_overflow 0
		.amdhsa_tg_split 0
		.amdhsa_exception_fp_ieee_invalid_op 0
		.amdhsa_exception_fp_denorm_src 0
		.amdhsa_exception_fp_ieee_div_zero 0
		.amdhsa_exception_fp_ieee_overflow 0
		.amdhsa_exception_fp_ieee_underflow 0
		.amdhsa_exception_fp_ieee_inexact 0
		.amdhsa_exception_int_div_zero 0
	.end_amdhsa_kernel
	.section	.text._ZL24rocblas_dot_kernel_magsqIlLb1ELi1024ELi32ELb0E16rocblas_bfloat16PKPKS0_fEviT5_lT_liPT6_PT4_,"axG",@progbits,_ZL24rocblas_dot_kernel_magsqIlLb1ELi1024ELi32ELb0E16rocblas_bfloat16PKPKS0_fEviT5_lT_liPT6_PT4_,comdat
.Lfunc_end173:
	.size	_ZL24rocblas_dot_kernel_magsqIlLb1ELi1024ELi32ELb0E16rocblas_bfloat16PKPKS0_fEviT5_lT_liPT6_PT4_, .Lfunc_end173-_ZL24rocblas_dot_kernel_magsqIlLb1ELi1024ELi32ELb0E16rocblas_bfloat16PKPKS0_fEviT5_lT_liPT6_PT4_
                                        ; -- End function
	.section	.AMDGPU.csdata,"",@progbits
; Kernel info:
; codeLenInByte = 924
; NumSgprs: 24
; NumVgprs: 10
; NumAgprs: 0
; TotalNumVgprs: 10
; ScratchSize: 0
; MemoryBound: 0
; FloatMode: 240
; IeeeMode: 1
; LDSByteSize: 256 bytes/workgroup (compile time only)
; SGPRBlocks: 2
; VGPRBlocks: 1
; NumSGPRsForWavesPerEU: 24
; NumVGPRsForWavesPerEU: 10
; AccumOffset: 12
; Occupancy: 8
; WaveLimiterHint : 0
; COMPUTE_PGM_RSRC2:SCRATCH_EN: 0
; COMPUTE_PGM_RSRC2:USER_SGPR: 6
; COMPUTE_PGM_RSRC2:TRAP_HANDLER: 0
; COMPUTE_PGM_RSRC2:TGID_X_EN: 1
; COMPUTE_PGM_RSRC2:TGID_Y_EN: 0
; COMPUTE_PGM_RSRC2:TGID_Z_EN: 1
; COMPUTE_PGM_RSRC2:TIDIG_COMP_CNT: 0
; COMPUTE_PGM_RSRC3_GFX90A:ACCUM_OFFSET: 2
; COMPUTE_PGM_RSRC3_GFX90A:TG_SPLIT: 0
	.section	.text._ZL38rocblas_dot_kernel_gfx942_float_doubleIlLi1024E16rocblas_bfloat16PKPKS0_fEviT2_lT_lS5_lS6_lPT3_PT1_,"axG",@progbits,_ZL38rocblas_dot_kernel_gfx942_float_doubleIlLi1024E16rocblas_bfloat16PKPKS0_fEviT2_lT_lS5_lS6_lPT3_PT1_,comdat
	.globl	_ZL38rocblas_dot_kernel_gfx942_float_doubleIlLi1024E16rocblas_bfloat16PKPKS0_fEviT2_lT_lS5_lS6_lPT3_PT1_ ; -- Begin function _ZL38rocblas_dot_kernel_gfx942_float_doubleIlLi1024E16rocblas_bfloat16PKPKS0_fEviT2_lT_lS5_lS6_lPT3_PT1_
	.p2align	8
	.type	_ZL38rocblas_dot_kernel_gfx942_float_doubleIlLi1024E16rocblas_bfloat16PKPKS0_fEviT2_lT_lS5_lS6_lPT3_PT1_,@function
_ZL38rocblas_dot_kernel_gfx942_float_doubleIlLi1024E16rocblas_bfloat16PKPKS0_fEviT2_lT_lS5_lS6_lPT3_PT1_: ; @_ZL38rocblas_dot_kernel_gfx942_float_doubleIlLi1024E16rocblas_bfloat16PKPKS0_fEviT2_lT_lS5_lS6_lPT3_PT1_
; %bb.0:
	s_endpgm
	.section	.rodata,"a",@progbits
	.p2align	6, 0x0
	.amdhsa_kernel _ZL38rocblas_dot_kernel_gfx942_float_doubleIlLi1024E16rocblas_bfloat16PKPKS0_fEviT2_lT_lS5_lS6_lPT3_PT1_
		.amdhsa_group_segment_fixed_size 0
		.amdhsa_private_segment_fixed_size 0
		.amdhsa_kernarg_size 88
		.amdhsa_user_sgpr_count 6
		.amdhsa_user_sgpr_private_segment_buffer 1
		.amdhsa_user_sgpr_dispatch_ptr 0
		.amdhsa_user_sgpr_queue_ptr 0
		.amdhsa_user_sgpr_kernarg_segment_ptr 1
		.amdhsa_user_sgpr_dispatch_id 0
		.amdhsa_user_sgpr_flat_scratch_init 0
		.amdhsa_user_sgpr_kernarg_preload_length 0
		.amdhsa_user_sgpr_kernarg_preload_offset 0
		.amdhsa_user_sgpr_private_segment_size 0
		.amdhsa_uses_dynamic_stack 0
		.amdhsa_system_sgpr_private_segment_wavefront_offset 0
		.amdhsa_system_sgpr_workgroup_id_x 1
		.amdhsa_system_sgpr_workgroup_id_y 0
		.amdhsa_system_sgpr_workgroup_id_z 0
		.amdhsa_system_sgpr_workgroup_info 0
		.amdhsa_system_vgpr_workitem_id 0
		.amdhsa_next_free_vgpr 1
		.amdhsa_next_free_sgpr 0
		.amdhsa_accum_offset 4
		.amdhsa_reserve_vcc 0
		.amdhsa_reserve_flat_scratch 0
		.amdhsa_float_round_mode_32 0
		.amdhsa_float_round_mode_16_64 0
		.amdhsa_float_denorm_mode_32 3
		.amdhsa_float_denorm_mode_16_64 3
		.amdhsa_dx10_clamp 1
		.amdhsa_ieee_mode 1
		.amdhsa_fp16_overflow 0
		.amdhsa_tg_split 0
		.amdhsa_exception_fp_ieee_invalid_op 0
		.amdhsa_exception_fp_denorm_src 0
		.amdhsa_exception_fp_ieee_div_zero 0
		.amdhsa_exception_fp_ieee_overflow 0
		.amdhsa_exception_fp_ieee_underflow 0
		.amdhsa_exception_fp_ieee_inexact 0
		.amdhsa_exception_int_div_zero 0
	.end_amdhsa_kernel
	.section	.text._ZL38rocblas_dot_kernel_gfx942_float_doubleIlLi1024E16rocblas_bfloat16PKPKS0_fEviT2_lT_lS5_lS6_lPT3_PT1_,"axG",@progbits,_ZL38rocblas_dot_kernel_gfx942_float_doubleIlLi1024E16rocblas_bfloat16PKPKS0_fEviT2_lT_lS5_lS6_lPT3_PT1_,comdat
.Lfunc_end174:
	.size	_ZL38rocblas_dot_kernel_gfx942_float_doubleIlLi1024E16rocblas_bfloat16PKPKS0_fEviT2_lT_lS5_lS6_lPT3_PT1_, .Lfunc_end174-_ZL38rocblas_dot_kernel_gfx942_float_doubleIlLi1024E16rocblas_bfloat16PKPKS0_fEviT2_lT_lS5_lS6_lPT3_PT1_
                                        ; -- End function
	.section	.AMDGPU.csdata,"",@progbits
; Kernel info:
; codeLenInByte = 4
; NumSgprs: 4
; NumVgprs: 0
; NumAgprs: 0
; TotalNumVgprs: 0
; ScratchSize: 0
; MemoryBound: 0
; FloatMode: 240
; IeeeMode: 1
; LDSByteSize: 0 bytes/workgroup (compile time only)
; SGPRBlocks: 0
; VGPRBlocks: 0
; NumSGPRsForWavesPerEU: 4
; NumVGPRsForWavesPerEU: 1
; AccumOffset: 4
; Occupancy: 8
; WaveLimiterHint : 0
; COMPUTE_PGM_RSRC2:SCRATCH_EN: 0
; COMPUTE_PGM_RSRC2:USER_SGPR: 6
; COMPUTE_PGM_RSRC2:TRAP_HANDLER: 0
; COMPUTE_PGM_RSRC2:TGID_X_EN: 1
; COMPUTE_PGM_RSRC2:TGID_Y_EN: 0
; COMPUTE_PGM_RSRC2:TGID_Z_EN: 0
; COMPUTE_PGM_RSRC2:TIDIG_COMP_CNT: 0
; COMPUTE_PGM_RSRC3_GFX90A:ACCUM_OFFSET: 0
; COMPUTE_PGM_RSRC3_GFX90A:TG_SPLIT: 0
	.section	.text._ZL18rocblas_dot_kernelIlLb0ELi512ELi8ELb0E16rocblas_bfloat16PKPKS0_fEviT5_lT_lS5_lS6_liPT6_PT4_,"axG",@progbits,_ZL18rocblas_dot_kernelIlLb0ELi512ELi8ELb0E16rocblas_bfloat16PKPKS0_fEviT5_lT_lS5_lS6_liPT6_PT4_,comdat
	.globl	_ZL18rocblas_dot_kernelIlLb0ELi512ELi8ELb0E16rocblas_bfloat16PKPKS0_fEviT5_lT_lS5_lS6_liPT6_PT4_ ; -- Begin function _ZL18rocblas_dot_kernelIlLb0ELi512ELi8ELb0E16rocblas_bfloat16PKPKS0_fEviT5_lT_lS5_lS6_liPT6_PT4_
	.p2align	8
	.type	_ZL18rocblas_dot_kernelIlLb0ELi512ELi8ELb0E16rocblas_bfloat16PKPKS0_fEviT5_lT_lS5_lS6_liPT6_PT4_,@function
_ZL18rocblas_dot_kernelIlLb0ELi512ELi8ELb0E16rocblas_bfloat16PKPKS0_fEviT5_lT_lS5_lS6_liPT6_PT4_: ; @_ZL18rocblas_dot_kernelIlLb0ELi512ELi8ELb0E16rocblas_bfloat16PKPKS0_fEviT5_lT_lS5_lS6_liPT6_PT4_
; %bb.0:
	s_mov_b32 s16, s7
	s_load_dword s20, s[4:5], 0x60
	s_load_dword s7, s[4:5], 0x0
	s_load_dwordx4 s[8:11], s[4:5], 0x50
	v_lshl_or_b32 v4, s6, 9, v0
	s_mov_b32 s17, 0
	v_mov_b32_e32 v6, 0
	s_waitcnt lgkmcnt(0)
	v_cmp_gt_i32_e32 vcc, s7, v4
	s_and_saveexec_b64 s[18:19], vcc
	s_cbranch_execz .LBB175_4
; %bb.1:
	s_load_dwordx2 s[22:23], s[4:5], 0x8
	s_load_dwordx4 s[12:15], s[4:5], 0x10
	s_load_dwordx2 s[24:25], s[4:5], 0x28
	s_load_dwordx4 s[0:3], s[4:5], 0x30
	s_lshl_b64 s[4:5], s[16:17], 3
	s_waitcnt lgkmcnt(0)
	s_add_u32 s22, s22, s4
	s_addc_u32 s23, s23, s5
	s_load_dwordx2 s[22:23], s[22:23], 0x0
	s_add_u32 s4, s24, s4
	s_addc_u32 s5, s25, s5
	s_load_dwordx2 s[24:25], s[4:5], 0x0
	v_ashrrev_i32_e32 v5, 31, v4
	v_mad_u64_u32 v[2:3], s[4:5], s14, v4, 0
	s_lshl_b32 s21, s20, 9
	v_mul_lo_u32 v6, s15, v4
	v_mul_lo_u32 v7, s14, v5
	s_lshl_b64 s[4:5], s[12:13], 1
	v_add3_u32 v3, v3, v7, v6
	s_waitcnt lgkmcnt(0)
	s_add_u32 s4, s22, s4
	v_lshlrev_b64 v[2:3], 1, v[2:3]
	s_addc_u32 s5, s23, s5
	s_ashr_i32 s22, s21, 31
	v_mov_b32_e32 v6, s5
	v_add_co_u32_e32 v2, vcc, s4, v2
	s_mul_i32 s4, s14, s22
	s_mul_hi_u32 s5, s14, s21
	s_add_i32 s4, s5, s4
	s_mul_i32 s5, s15, s21
	s_add_i32 s5, s4, s5
	s_mul_i32 s4, s14, s21
	v_add_u32_e32 v1, s21, v4
	v_addc_co_u32_e32 v3, vcc, v6, v3, vcc
	s_lshl_b64 s[4:5], s[4:5], 1
	v_mul_lo_u32 v6, s3, v4
	v_mul_lo_u32 v7, s2, v5
	v_mad_u64_u32 v[4:5], s[12:13], s2, v4, 0
	s_lshl_b64 s[0:1], s[0:1], 1
	v_add3_u32 v5, v5, v7, v6
	s_add_u32 s0, s24, s0
	v_lshlrev_b64 v[4:5], 1, v[4:5]
	s_addc_u32 s1, s25, s1
	v_mov_b32_e32 v6, s1
	v_add_co_u32_e32 v4, vcc, s0, v4
	s_mul_i32 s0, s2, s22
	s_mul_hi_u32 s1, s2, s21
	s_add_i32 s0, s1, s0
	s_mul_i32 s1, s3, s21
	s_add_i32 s1, s0, s1
	s_mul_i32 s0, s2, s21
	s_lshl_b64 s[12:13], s[0:1], 1
	v_addc_co_u32_e32 v5, vcc, v6, v5, vcc
	s_mov_b64 s[2:3], 0
	v_mov_b32_e32 v6, 0
	v_mov_b32_e32 v7, s5
	;; [unrolled: 1-line block ×3, first 2 shown]
	s_mov_b32 s5, s17
.LBB175_2:                              ; =>This Inner Loop Header: Depth=1
	global_load_ushort v9, v[4:5], off
	global_load_ushort v10, v[2:3], off
	v_add_co_u32_e64 v2, s[0:1], s4, v2
	v_addc_co_u32_e64 v3, s[0:1], v3, v7, s[0:1]
	s_add_i32 s13, s5, 1
	v_add_co_u32_e64 v4, s[0:1], s12, v4
	v_addc_co_u32_e64 v5, s[0:1], v5, v8, s[0:1]
	s_cmp_gt_u32 s5, 6
	v_cmp_le_i32_e32 vcc, s7, v1
	s_cselect_b64 s[0:1], -1, 0
	s_or_b64 s[0:1], s[0:1], vcc
	s_and_b64 s[0:1], exec, s[0:1]
	v_add_u32_e32 v1, s21, v1
	s_mov_b32 s5, s13
	s_or_b64 s[2:3], s[0:1], s[2:3]
	s_waitcnt vmcnt(1)
	v_lshlrev_b32_e32 v9, 16, v9
	s_waitcnt vmcnt(0)
	v_lshlrev_b32_e32 v10, 16, v10
	v_fmac_f32_e32 v6, v10, v9
	s_andn2_b64 exec, exec, s[2:3]
	s_cbranch_execnz .LBB175_2
; %bb.3:
	s_or_b64 exec, exec, s[2:3]
.LBB175_4:
	s_or_b64 exec, exec, s[18:19]
	v_and_b32_e32 v1, 63, v0
	v_cmp_gt_u32_e32 vcc, 64, v0
	v_lshlrev_b32_e32 v2, 2, v1
	s_and_saveexec_b64 s[0:1], vcc
	s_cbranch_execz .LBB175_6
; %bb.5:
	v_mov_b32_e32 v3, 0
	ds_write_b32 v2, v3
.LBB175_6:
	s_or_b64 exec, exec, s[0:1]
	v_mbcnt_lo_u32_b32 v3, -1, 0
	v_mbcnt_hi_u32_b32 v5, -1, v3
	v_and_b32_e32 v7, 63, v5
	v_cmp_gt_u32_e64 s[0:1], 32, v7
	v_cndmask_b32_e64 v3, 0, 1, s[0:1]
	v_lshlrev_b32_e32 v3, 5, v3
	v_add_lshl_u32 v3, v3, v5, 2
	ds_bpermute_b32 v3, v3, v6
	v_cmp_gt_u32_e64 s[0:1], 48, v7
	v_cndmask_b32_e64 v4, 0, 1, s[0:1]
	v_lshlrev_b32_e32 v4, 4, v4
	v_add_lshl_u32 v4, v4, v5, 2
	s_waitcnt lgkmcnt(0)
	v_add_f32_e32 v3, v6, v3
	ds_bpermute_b32 v4, v4, v3
	v_cmp_gt_u32_e64 s[0:1], 56, v7
	v_cndmask_b32_e64 v6, 0, 1, s[0:1]
	v_lshlrev_b32_e32 v6, 3, v6
	v_cmp_gt_u32_e64 s[0:1], 60, v7
	s_waitcnt lgkmcnt(0)
	v_add_f32_e32 v3, v3, v4
	v_add_lshl_u32 v4, v6, v5, 2
	ds_bpermute_b32 v4, v4, v3
	v_cndmask_b32_e64 v6, 0, 1, s[0:1]
	v_lshlrev_b32_e32 v6, 2, v6
	v_cmp_gt_u32_e64 s[0:1], 62, v7
	v_cndmask_b32_e64 v8, 0, 1, s[0:1]
	s_waitcnt lgkmcnt(0)
	v_add_f32_e32 v4, v3, v4
	v_add_lshl_u32 v3, v6, v5, 2
	ds_bpermute_b32 v6, v3, v4
	v_lshlrev_b32_e32 v8, 1, v8
	v_cmp_ne_u32_e64 s[0:1], 63, v7
	s_waitcnt lgkmcnt(0)
	s_barrier
	v_add_f32_e32 v6, v4, v6
	v_add_lshl_u32 v4, v8, v5, 2
	ds_bpermute_b32 v8, v4, v6
	v_addc_co_u32_e64 v5, s[0:1], 0, v5, s[0:1]
	v_lshlrev_b32_e32 v5, 2, v5
	v_cmp_eq_u32_e64 s[0:1], 0, v1
	s_waitcnt lgkmcnt(0)
	v_add_f32_e32 v6, v6, v8
	ds_bpermute_b32 v7, v5, v6
	s_waitcnt lgkmcnt(0)
	s_and_saveexec_b64 s[2:3], s[0:1]
	s_cbranch_execz .LBB175_8
; %bb.7:
	v_add_f32_e32 v1, v6, v7
	v_lshrrev_b32_e32 v6, 4, v0
	v_and_b32_e32 v6, 28, v6
	ds_write_b32 v6, v1
.LBB175_8:
	s_or_b64 exec, exec, s[2:3]
	v_cmp_gt_u32_e64 s[0:1], 8, v0
	v_mov_b32_e32 v1, 0
	s_waitcnt lgkmcnt(0)
	s_barrier
	s_and_saveexec_b64 s[2:3], s[0:1]
	s_cbranch_execnz .LBB175_12
; %bb.9:
	s_or_b64 exec, exec, s[2:3]
	s_and_saveexec_b64 s[0:1], vcc
	s_cbranch_execnz .LBB175_13
.LBB175_10:
	s_or_b64 exec, exec, s[0:1]
	v_cmp_eq_u32_e32 vcc, 0, v0
	s_and_saveexec_b64 s[0:1], vcc
	s_cbranch_execnz .LBB175_14
.LBB175_11:
	s_endpgm
.LBB175_12:
	ds_read_b32 v1, v2
	s_or_b64 exec, exec, s[2:3]
	s_and_saveexec_b64 s[0:1], vcc
	s_cbranch_execz .LBB175_10
.LBB175_13:
	s_waitcnt lgkmcnt(0)
	ds_bpermute_b32 v2, v3, v1
	s_waitcnt lgkmcnt(0)
	v_add_f32_e32 v1, v1, v2
	ds_bpermute_b32 v2, v4, v1
	s_waitcnt lgkmcnt(0)
	v_add_f32_e32 v1, v1, v2
	;; [unrolled: 3-line block ×3, first 2 shown]
	s_or_b64 exec, exec, s[0:1]
	v_cmp_eq_u32_e32 vcc, 0, v0
	s_and_saveexec_b64 s[0:1], vcc
	s_cbranch_execz .LBB175_11
.LBB175_14:
	s_cmp_lg_u32 s20, 1
	s_mov_b64 s[0:1], -1
	s_cbranch_scc0 .LBB175_16
; %bb.15:
	s_mul_hi_u32 s1, s20, s16
	s_mul_i32 s0, s20, s16
	s_lshl_b64 s[0:1], s[0:1], 2
	s_mov_b32 s7, 0
	s_add_u32 s2, s8, s0
	s_addc_u32 s3, s9, s1
	s_lshl_b64 s[0:1], s[6:7], 2
	s_add_u32 s0, s2, s0
	s_addc_u32 s1, s3, s1
	v_mov_b32_e32 v0, 0
	s_waitcnt lgkmcnt(0)
	global_store_dword v0, v1, s[0:1]
	s_mov_b64 s[0:1], 0
.LBB175_16:
	s_andn2_b64 vcc, exec, s[0:1]
	s_cbranch_vccnz .LBB175_11
; %bb.17:
	s_mov_b32 s0, 0x7f800000
	s_waitcnt lgkmcnt(0)
	v_and_b32_e32 v0, 0x7f800000, v1
	v_cmp_ne_u32_e32 vcc, s0, v0
                                        ; implicit-def: $vgpr0
	s_and_saveexec_b64 s[0:1], vcc
	s_xor_b64 s[0:1], exec, s[0:1]
; %bb.18:
	v_bfe_u32 v0, v1, 16, 1
	s_movk_i32 s2, 0x7fff
	v_add3_u32 v0, v1, v0, s2
                                        ; implicit-def: $vgpr1
; %bb.19:
	s_andn2_saveexec_b64 s[0:1], s[0:1]
; %bb.20:
	v_mov_b32_e32 v0, 0
	v_or_b32_e32 v2, 0x10000, v1
	v_cmp_eq_u32_sdwa vcc, v1, v0 src0_sel:WORD_0 src1_sel:DWORD
	v_cndmask_b32_e32 v0, v2, v1, vcc
; %bb.21:
	s_or_b64 exec, exec, s[0:1]
	s_lshl_b64 s[0:1], s[16:17], 1
	s_add_u32 s0, s10, s0
	s_addc_u32 s1, s11, s1
	v_mov_b32_e32 v1, 0
	global_store_short_d16_hi v1, v0, s[0:1]
	s_endpgm
	.section	.rodata,"a",@progbits
	.p2align	6, 0x0
	.amdhsa_kernel _ZL18rocblas_dot_kernelIlLb0ELi512ELi8ELb0E16rocblas_bfloat16PKPKS0_fEviT5_lT_lS5_lS6_liPT6_PT4_
		.amdhsa_group_segment_fixed_size 256
		.amdhsa_private_segment_fixed_size 0
		.amdhsa_kernarg_size 352
		.amdhsa_user_sgpr_count 6
		.amdhsa_user_sgpr_private_segment_buffer 1
		.amdhsa_user_sgpr_dispatch_ptr 0
		.amdhsa_user_sgpr_queue_ptr 0
		.amdhsa_user_sgpr_kernarg_segment_ptr 1
		.amdhsa_user_sgpr_dispatch_id 0
		.amdhsa_user_sgpr_flat_scratch_init 0
		.amdhsa_user_sgpr_kernarg_preload_length 0
		.amdhsa_user_sgpr_kernarg_preload_offset 0
		.amdhsa_user_sgpr_private_segment_size 0
		.amdhsa_uses_dynamic_stack 0
		.amdhsa_system_sgpr_private_segment_wavefront_offset 0
		.amdhsa_system_sgpr_workgroup_id_x 1
		.amdhsa_system_sgpr_workgroup_id_y 0
		.amdhsa_system_sgpr_workgroup_id_z 1
		.amdhsa_system_sgpr_workgroup_info 0
		.amdhsa_system_vgpr_workitem_id 0
		.amdhsa_next_free_vgpr 11
		.amdhsa_next_free_sgpr 26
		.amdhsa_accum_offset 12
		.amdhsa_reserve_vcc 1
		.amdhsa_reserve_flat_scratch 0
		.amdhsa_float_round_mode_32 0
		.amdhsa_float_round_mode_16_64 0
		.amdhsa_float_denorm_mode_32 3
		.amdhsa_float_denorm_mode_16_64 3
		.amdhsa_dx10_clamp 1
		.amdhsa_ieee_mode 1
		.amdhsa_fp16_overflow 0
		.amdhsa_tg_split 0
		.amdhsa_exception_fp_ieee_invalid_op 0
		.amdhsa_exception_fp_denorm_src 0
		.amdhsa_exception_fp_ieee_div_zero 0
		.amdhsa_exception_fp_ieee_overflow 0
		.amdhsa_exception_fp_ieee_underflow 0
		.amdhsa_exception_fp_ieee_inexact 0
		.amdhsa_exception_int_div_zero 0
	.end_amdhsa_kernel
	.section	.text._ZL18rocblas_dot_kernelIlLb0ELi512ELi8ELb0E16rocblas_bfloat16PKPKS0_fEviT5_lT_lS5_lS6_liPT6_PT4_,"axG",@progbits,_ZL18rocblas_dot_kernelIlLb0ELi512ELi8ELb0E16rocblas_bfloat16PKPKS0_fEviT5_lT_lS5_lS6_liPT6_PT4_,comdat
.Lfunc_end175:
	.size	_ZL18rocblas_dot_kernelIlLb0ELi512ELi8ELb0E16rocblas_bfloat16PKPKS0_fEviT5_lT_lS5_lS6_liPT6_PT4_, .Lfunc_end175-_ZL18rocblas_dot_kernelIlLb0ELi512ELi8ELb0E16rocblas_bfloat16PKPKS0_fEviT5_lT_lS5_lS6_liPT6_PT4_
                                        ; -- End function
	.section	.AMDGPU.csdata,"",@progbits
; Kernel info:
; codeLenInByte = 1164
; NumSgprs: 30
; NumVgprs: 11
; NumAgprs: 0
; TotalNumVgprs: 11
; ScratchSize: 0
; MemoryBound: 0
; FloatMode: 240
; IeeeMode: 1
; LDSByteSize: 256 bytes/workgroup (compile time only)
; SGPRBlocks: 3
; VGPRBlocks: 1
; NumSGPRsForWavesPerEU: 30
; NumVGPRsForWavesPerEU: 11
; AccumOffset: 12
; Occupancy: 8
; WaveLimiterHint : 0
; COMPUTE_PGM_RSRC2:SCRATCH_EN: 0
; COMPUTE_PGM_RSRC2:USER_SGPR: 6
; COMPUTE_PGM_RSRC2:TRAP_HANDLER: 0
; COMPUTE_PGM_RSRC2:TGID_X_EN: 1
; COMPUTE_PGM_RSRC2:TGID_Y_EN: 0
; COMPUTE_PGM_RSRC2:TGID_Z_EN: 1
; COMPUTE_PGM_RSRC2:TIDIG_COMP_CNT: 0
; COMPUTE_PGM_RSRC3_GFX90A:ACCUM_OFFSET: 2
; COMPUTE_PGM_RSRC3_GFX90A:TG_SPLIT: 0
	.section	.text._ZL24rocblas_dot_kernel_magsqIlLb0ELi512ELi8ELb0E16rocblas_bfloat16PKPKS0_fEviT5_lT_liPT6_PT4_,"axG",@progbits,_ZL24rocblas_dot_kernel_magsqIlLb0ELi512ELi8ELb0E16rocblas_bfloat16PKPKS0_fEviT5_lT_liPT6_PT4_,comdat
	.globl	_ZL24rocblas_dot_kernel_magsqIlLb0ELi512ELi8ELb0E16rocblas_bfloat16PKPKS0_fEviT5_lT_liPT6_PT4_ ; -- Begin function _ZL24rocblas_dot_kernel_magsqIlLb0ELi512ELi8ELb0E16rocblas_bfloat16PKPKS0_fEviT5_lT_liPT6_PT4_
	.p2align	8
	.type	_ZL24rocblas_dot_kernel_magsqIlLb0ELi512ELi8ELb0E16rocblas_bfloat16PKPKS0_fEviT5_lT_liPT6_PT4_,@function
_ZL24rocblas_dot_kernel_magsqIlLb0ELi512ELi8ELb0E16rocblas_bfloat16PKPKS0_fEviT5_lT_liPT6_PT4_: ; @_ZL24rocblas_dot_kernel_magsqIlLb0ELi512ELi8ELb0E16rocblas_bfloat16PKPKS0_fEviT5_lT_liPT6_PT4_
; %bb.0:
	s_mov_b32 s2, s7
	s_load_dword s7, s[4:5], 0x0
	s_load_dwordx4 s[8:11], s[4:5], 0x30
	s_load_dword s16, s[4:5], 0x40
	v_lshl_or_b32 v2, s6, 9, v0
	s_mov_b32 s3, 0
	s_waitcnt lgkmcnt(0)
	v_cmp_gt_i32_e32 vcc, s7, v2
	v_mov_b32_e32 v1, 0
	s_and_saveexec_b64 s[12:13], vcc
	s_cbranch_execz .LBB176_4
; %bb.1:
	s_load_dwordx2 s[0:1], s[4:5], 0x8
	s_load_dwordx4 s[20:23], s[4:5], 0x10
	s_lshl_b64 s[4:5], s[2:3], 3
	v_ashrrev_i32_e32 v1, 31, v2
	s_waitcnt lgkmcnt(0)
	s_add_u32 s0, s0, s4
	s_addc_u32 s1, s1, s5
	s_load_dwordx2 s[0:1], s[0:1], 0x0
	s_lshl_b32 s17, s16, 9
	v_add_u32_e32 v4, s17, v2
	v_mul_lo_u32 v5, s23, v2
	v_mul_lo_u32 v1, s22, v1
	v_mad_u64_u32 v[2:3], s[4:5], s22, v2, 0
	v_add3_u32 v3, v3, v1, v5
	s_lshl_b64 s[4:5], s[20:21], 1
	v_lshlrev_b64 v[2:3], 1, v[2:3]
	s_waitcnt lgkmcnt(0)
	s_add_u32 s0, s0, s4
	s_addc_u32 s1, s1, s5
	v_add_co_u32_e32 v2, vcc, s0, v2
	s_ashr_i32 s0, s17, 31
	v_mov_b32_e32 v1, s1
	s_mul_i32 s0, s22, s0
	s_mul_hi_u32 s1, s22, s17
	s_add_i32 s0, s1, s0
	s_mul_i32 s1, s23, s17
	s_add_i32 s1, s0, s1
	s_mul_i32 s0, s22, s17
	s_lshl_b64 s[14:15], s[0:1], 1
	v_addc_co_u32_e32 v3, vcc, v1, v3, vcc
	s_mov_b64 s[4:5], 0
	v_mov_b32_e32 v1, 0
	v_mov_b32_e32 v5, s15
	s_mov_b32 s15, s3
.LBB176_2:                              ; =>This Inner Loop Header: Depth=1
	global_load_ushort v6, v[2:3], off
	s_add_i32 s18, s15, 1
	v_add_co_u32_e64 v2, s[0:1], s14, v2
	v_addc_co_u32_e64 v3, s[0:1], v3, v5, s[0:1]
	s_cmp_gt_u32 s15, 6
	v_cmp_le_i32_e32 vcc, s7, v4
	s_cselect_b64 s[0:1], -1, 0
	s_or_b64 s[0:1], s[0:1], vcc
	s_and_b64 s[0:1], exec, s[0:1]
	v_add_u32_e32 v4, s17, v4
	s_mov_b32 s15, s18
	s_or_b64 s[4:5], s[0:1], s[4:5]
	s_waitcnt vmcnt(0)
	v_lshlrev_b32_e32 v6, 16, v6
	v_fmac_f32_e32 v1, v6, v6
	s_andn2_b64 exec, exec, s[4:5]
	s_cbranch_execnz .LBB176_2
; %bb.3:
	s_or_b64 exec, exec, s[4:5]
.LBB176_4:
	s_or_b64 exec, exec, s[12:13]
	v_and_b32_e32 v3, 63, v0
	v_cmp_gt_u32_e32 vcc, 64, v0
	v_lshlrev_b32_e32 v2, 2, v3
	s_and_saveexec_b64 s[0:1], vcc
	s_cbranch_execz .LBB176_6
; %bb.5:
	v_mov_b32_e32 v4, 0
	ds_write_b32 v2, v4
.LBB176_6:
	s_or_b64 exec, exec, s[0:1]
	v_mbcnt_lo_u32_b32 v4, -1, 0
	v_mbcnt_hi_u32_b32 v6, -1, v4
	v_and_b32_e32 v7, 63, v6
	v_cmp_gt_u32_e64 s[0:1], 32, v7
	v_cndmask_b32_e64 v4, 0, 1, s[0:1]
	v_lshlrev_b32_e32 v4, 5, v4
	v_add_lshl_u32 v4, v4, v6, 2
	ds_bpermute_b32 v4, v4, v1
	v_cmp_gt_u32_e64 s[0:1], 48, v7
	v_cndmask_b32_e64 v5, 0, 1, s[0:1]
	v_lshlrev_b32_e32 v5, 4, v5
	v_cmp_gt_u32_e64 s[0:1], 56, v7
	s_waitcnt lgkmcnt(0)
	v_add_f32_e32 v1, v1, v4
	v_add_lshl_u32 v4, v5, v6, 2
	ds_bpermute_b32 v4, v4, v1
	v_cndmask_b32_e64 v5, 0, 1, s[0:1]
	v_lshlrev_b32_e32 v5, 3, v5
	v_cmp_gt_u32_e64 s[0:1], 60, v7
	s_waitcnt lgkmcnt(0)
	v_add_f32_e32 v1, v1, v4
	v_add_lshl_u32 v4, v5, v6, 2
	ds_bpermute_b32 v4, v4, v1
	v_cndmask_b32_e64 v5, 0, 1, s[0:1]
	v_lshlrev_b32_e32 v5, 2, v5
	v_cmp_gt_u32_e64 s[0:1], 62, v7
	v_cndmask_b32_e64 v8, 0, 1, s[0:1]
	s_waitcnt lgkmcnt(0)
	v_add_f32_e32 v1, v1, v4
	v_add_lshl_u32 v4, v5, v6, 2
	ds_bpermute_b32 v5, v4, v1
	v_lshlrev_b32_e32 v8, 1, v8
	v_cmp_ne_u32_e64 s[0:1], 63, v7
	s_barrier
	s_waitcnt lgkmcnt(0)
	v_add_f32_e32 v1, v1, v5
	v_add_lshl_u32 v5, v8, v6, 2
	ds_bpermute_b32 v8, v5, v1
	v_addc_co_u32_e64 v6, s[0:1], 0, v6, s[0:1]
	v_lshlrev_b32_e32 v6, 2, v6
	v_cmp_eq_u32_e64 s[0:1], 0, v3
	s_waitcnt lgkmcnt(0)
	v_add_f32_e32 v1, v1, v8
	ds_bpermute_b32 v7, v6, v1
	s_and_saveexec_b64 s[4:5], s[0:1]
	s_cbranch_execz .LBB176_8
; %bb.7:
	v_lshrrev_b32_e32 v3, 4, v0
	s_waitcnt lgkmcnt(0)
	v_add_f32_e32 v1, v1, v7
	v_and_b32_e32 v3, 28, v3
	ds_write_b32 v3, v1
.LBB176_8:
	s_or_b64 exec, exec, s[4:5]
	v_cmp_gt_u32_e64 s[0:1], 8, v0
	v_mov_b32_e32 v1, 0
	s_waitcnt lgkmcnt(0)
	s_barrier
	s_and_saveexec_b64 s[4:5], s[0:1]
	s_cbranch_execnz .LBB176_12
; %bb.9:
	s_or_b64 exec, exec, s[4:5]
	s_and_saveexec_b64 s[0:1], vcc
	s_cbranch_execnz .LBB176_13
.LBB176_10:
	s_or_b64 exec, exec, s[0:1]
	v_cmp_eq_u32_e32 vcc, 0, v0
	s_and_saveexec_b64 s[0:1], vcc
	s_cbranch_execnz .LBB176_14
.LBB176_11:
	s_endpgm
.LBB176_12:
	ds_read_b32 v1, v2
	s_or_b64 exec, exec, s[4:5]
	s_and_saveexec_b64 s[0:1], vcc
	s_cbranch_execz .LBB176_10
.LBB176_13:
	s_waitcnt lgkmcnt(0)
	ds_bpermute_b32 v2, v4, v1
	s_waitcnt lgkmcnt(0)
	v_add_f32_e32 v1, v1, v2
	ds_bpermute_b32 v2, v5, v1
	s_waitcnt lgkmcnt(0)
	v_add_f32_e32 v1, v1, v2
	;; [unrolled: 3-line block ×3, first 2 shown]
	s_or_b64 exec, exec, s[0:1]
	v_cmp_eq_u32_e32 vcc, 0, v0
	s_and_saveexec_b64 s[0:1], vcc
	s_cbranch_execz .LBB176_11
.LBB176_14:
	s_cmp_lg_u32 s16, 1
	s_mov_b64 s[0:1], -1
	s_cbranch_scc0 .LBB176_16
; %bb.15:
	s_mul_hi_u32 s1, s16, s2
	s_mul_i32 s0, s16, s2
	s_lshl_b64 s[0:1], s[0:1], 2
	s_mov_b32 s7, 0
	s_add_u32 s4, s8, s0
	s_addc_u32 s5, s9, s1
	s_lshl_b64 s[0:1], s[6:7], 2
	s_add_u32 s0, s4, s0
	s_addc_u32 s1, s5, s1
	v_mov_b32_e32 v0, 0
	s_waitcnt lgkmcnt(0)
	global_store_dword v0, v1, s[0:1]
	s_mov_b64 s[0:1], 0
.LBB176_16:
	s_andn2_b64 vcc, exec, s[0:1]
	s_cbranch_vccnz .LBB176_11
; %bb.17:
	s_mov_b32 s0, 0x7f800000
	s_waitcnt lgkmcnt(0)
	v_and_b32_e32 v0, 0x7f800000, v1
	v_cmp_ne_u32_e32 vcc, s0, v0
                                        ; implicit-def: $vgpr0
	s_and_saveexec_b64 s[0:1], vcc
	s_xor_b64 s[0:1], exec, s[0:1]
; %bb.18:
	v_bfe_u32 v0, v1, 16, 1
	s_movk_i32 s4, 0x7fff
	v_add3_u32 v0, v1, v0, s4
                                        ; implicit-def: $vgpr1
; %bb.19:
	s_andn2_saveexec_b64 s[0:1], s[0:1]
; %bb.20:
	v_mov_b32_e32 v0, 0
	v_or_b32_e32 v2, 0x10000, v1
	v_cmp_eq_u32_sdwa vcc, v1, v0 src0_sel:WORD_0 src1_sel:DWORD
	v_cndmask_b32_e32 v0, v2, v1, vcc
; %bb.21:
	s_or_b64 exec, exec, s[0:1]
	s_lshl_b64 s[0:1], s[2:3], 1
	s_add_u32 s0, s10, s0
	s_addc_u32 s1, s11, s1
	v_mov_b32_e32 v1, 0
	global_store_short_d16_hi v1, v0, s[0:1]
	s_endpgm
	.section	.rodata,"a",@progbits
	.p2align	6, 0x0
	.amdhsa_kernel _ZL24rocblas_dot_kernel_magsqIlLb0ELi512ELi8ELb0E16rocblas_bfloat16PKPKS0_fEviT5_lT_liPT6_PT4_
		.amdhsa_group_segment_fixed_size 256
		.amdhsa_private_segment_fixed_size 0
		.amdhsa_kernarg_size 320
		.amdhsa_user_sgpr_count 6
		.amdhsa_user_sgpr_private_segment_buffer 1
		.amdhsa_user_sgpr_dispatch_ptr 0
		.amdhsa_user_sgpr_queue_ptr 0
		.amdhsa_user_sgpr_kernarg_segment_ptr 1
		.amdhsa_user_sgpr_dispatch_id 0
		.amdhsa_user_sgpr_flat_scratch_init 0
		.amdhsa_user_sgpr_kernarg_preload_length 0
		.amdhsa_user_sgpr_kernarg_preload_offset 0
		.amdhsa_user_sgpr_private_segment_size 0
		.amdhsa_uses_dynamic_stack 0
		.amdhsa_system_sgpr_private_segment_wavefront_offset 0
		.amdhsa_system_sgpr_workgroup_id_x 1
		.amdhsa_system_sgpr_workgroup_id_y 0
		.amdhsa_system_sgpr_workgroup_id_z 1
		.amdhsa_system_sgpr_workgroup_info 0
		.amdhsa_system_vgpr_workitem_id 0
		.amdhsa_next_free_vgpr 9
		.amdhsa_next_free_sgpr 24
		.amdhsa_accum_offset 12
		.amdhsa_reserve_vcc 1
		.amdhsa_reserve_flat_scratch 0
		.amdhsa_float_round_mode_32 0
		.amdhsa_float_round_mode_16_64 0
		.amdhsa_float_denorm_mode_32 3
		.amdhsa_float_denorm_mode_16_64 3
		.amdhsa_dx10_clamp 1
		.amdhsa_ieee_mode 1
		.amdhsa_fp16_overflow 0
		.amdhsa_tg_split 0
		.amdhsa_exception_fp_ieee_invalid_op 0
		.amdhsa_exception_fp_denorm_src 0
		.amdhsa_exception_fp_ieee_div_zero 0
		.amdhsa_exception_fp_ieee_overflow 0
		.amdhsa_exception_fp_ieee_underflow 0
		.amdhsa_exception_fp_ieee_inexact 0
		.amdhsa_exception_int_div_zero 0
	.end_amdhsa_kernel
	.section	.text._ZL24rocblas_dot_kernel_magsqIlLb0ELi512ELi8ELb0E16rocblas_bfloat16PKPKS0_fEviT5_lT_liPT6_PT4_,"axG",@progbits,_ZL24rocblas_dot_kernel_magsqIlLb0ELi512ELi8ELb0E16rocblas_bfloat16PKPKS0_fEviT5_lT_liPT6_PT4_,comdat
.Lfunc_end176:
	.size	_ZL24rocblas_dot_kernel_magsqIlLb0ELi512ELi8ELb0E16rocblas_bfloat16PKPKS0_fEviT5_lT_liPT6_PT4_, .Lfunc_end176-_ZL24rocblas_dot_kernel_magsqIlLb0ELi512ELi8ELb0E16rocblas_bfloat16PKPKS0_fEviT5_lT_liPT6_PT4_
                                        ; -- End function
	.section	.AMDGPU.csdata,"",@progbits
; Kernel info:
; codeLenInByte = 1004
; NumSgprs: 28
; NumVgprs: 9
; NumAgprs: 0
; TotalNumVgprs: 9
; ScratchSize: 0
; MemoryBound: 0
; FloatMode: 240
; IeeeMode: 1
; LDSByteSize: 256 bytes/workgroup (compile time only)
; SGPRBlocks: 3
; VGPRBlocks: 1
; NumSGPRsForWavesPerEU: 28
; NumVGPRsForWavesPerEU: 9
; AccumOffset: 12
; Occupancy: 8
; WaveLimiterHint : 0
; COMPUTE_PGM_RSRC2:SCRATCH_EN: 0
; COMPUTE_PGM_RSRC2:USER_SGPR: 6
; COMPUTE_PGM_RSRC2:TRAP_HANDLER: 0
; COMPUTE_PGM_RSRC2:TGID_X_EN: 1
; COMPUTE_PGM_RSRC2:TGID_Y_EN: 0
; COMPUTE_PGM_RSRC2:TGID_Z_EN: 1
; COMPUTE_PGM_RSRC2:TIDIG_COMP_CNT: 0
; COMPUTE_PGM_RSRC3_GFX90A:ACCUM_OFFSET: 2
; COMPUTE_PGM_RSRC3_GFX90A:TG_SPLIT: 0
	.section	.text._ZL28rocblas_dot_batched_4_kernelIiLi32ELi4ELb0EffPKPKfEviT5_lT_lS4_lS5_liPT4_,"axG",@progbits,_ZL28rocblas_dot_batched_4_kernelIiLi32ELi4ELb0EffPKPKfEviT5_lT_lS4_lS5_liPT4_,comdat
	.globl	_ZL28rocblas_dot_batched_4_kernelIiLi32ELi4ELb0EffPKPKfEviT5_lT_lS4_lS5_liPT4_ ; -- Begin function _ZL28rocblas_dot_batched_4_kernelIiLi32ELi4ELb0EffPKPKfEviT5_lT_lS4_lS5_liPT4_
	.p2align	8
	.type	_ZL28rocblas_dot_batched_4_kernelIiLi32ELi4ELb0EffPKPKfEviT5_lT_lS4_lS5_liPT4_,@function
_ZL28rocblas_dot_batched_4_kernelIiLi32ELi4ELb0EffPKPKfEviT5_lT_lS4_lS5_liPT4_: ; @_ZL28rocblas_dot_batched_4_kernelIiLi32ELi4ELb0EffPKPKfEviT5_lT_lS4_lS5_liPT4_
; %bb.0:
	s_load_dword s0, s[4:5], 0x48
	v_bfe_u32 v1, v0, 10, 10
	v_lshl_add_u32 v2, s6, 2, v1
	s_waitcnt lgkmcnt(0)
	v_cmp_gt_u32_e32 vcc, s0, v2
	s_and_saveexec_b64 s[0:1], vcc
	s_cbranch_execz .LBB177_7
; %bb.1:
	s_load_dword s14, s[4:5], 0x0
	s_load_dwordx2 s[6:7], s[4:5], 0x50
	v_mov_b32_e32 v3, 0
	v_and_b32_e32 v6, 0x3ff, v0
	v_mov_b32_e32 v7, v3
	s_waitcnt lgkmcnt(0)
	v_cmp_gt_i32_e32 vcc, s14, v6
	s_and_saveexec_b64 s[12:13], vcc
	s_cbranch_execz .LBB177_5
; %bb.2:
	s_load_dwordx4 s[0:3], s[4:5], 0x8
	s_load_dwordx4 s[8:11], s[4:5], 0x28
	v_lshlrev_b64 v[0:1], 3, v[2:3]
	s_load_dword s16, s[4:5], 0x18
	s_waitcnt lgkmcnt(0)
	v_mov_b32_e32 v5, s1
	v_add_co_u32_e32 v4, vcc, s0, v0
	v_addc_co_u32_e32 v5, vcc, v5, v1, vcc
	global_load_dwordx2 v[4:5], v[4:5], off
	v_mov_b32_e32 v7, s9
	v_add_co_u32_e32 v0, vcc, s8, v0
	v_addc_co_u32_e32 v1, vcc, v7, v1, vcc
	global_load_dwordx2 v[10:11], v[0:1], off
	s_load_dword s4, s[4:5], 0x38
	v_mad_i64_i32 v[0:1], s[8:9], s16, v6, 0
	s_lshl_b64 s[8:9], s[2:3], 2
	v_lshlrev_b64 v[0:1], 2, v[0:1]
	s_waitcnt lgkmcnt(0)
	v_mad_i64_i32 v[8:9], s[2:3], s4, v6, 0
	v_mov_b32_e32 v12, s9
	v_add_co_u32_e32 v0, vcc, s8, v0
	s_lshl_b64 s[10:11], s[10:11], 2
	v_lshlrev_b64 v[8:9], 2, v[8:9]
	v_addc_co_u32_e32 v1, vcc, v1, v12, vcc
	v_mov_b32_e32 v13, s11
	v_add_co_u32_e32 v12, vcc, s10, v8
	v_addc_co_u32_e32 v13, vcc, v9, v13, vcc
	s_ashr_i32 s17, s16, 31
	s_ashr_i32 s5, s4, 31
	s_lshl_b64 s[2:3], s[16:17], 7
	s_lshl_b64 s[4:5], s[4:5], 7
	s_mov_b64 s[0:1], 0
	v_mov_b32_e32 v7, 0
	v_mov_b32_e32 v8, s3
	;; [unrolled: 1-line block ×3, first 2 shown]
	s_waitcnt vmcnt(1)
	v_add_co_u32_e32 v0, vcc, v4, v0
	v_addc_co_u32_e32 v1, vcc, v5, v1, vcc
	s_waitcnt vmcnt(0)
	v_add_co_u32_e32 v4, vcc, v10, v12
	v_addc_co_u32_e32 v5, vcc, v11, v13, vcc
	v_mov_b32_e32 v10, v6
.LBB177_3:                              ; =>This Inner Loop Header: Depth=1
	global_load_dword v11, v[0:1], off
	global_load_dword v12, v[4:5], off
	v_add_co_u32_e32 v0, vcc, s2, v0
	v_addc_co_u32_e32 v1, vcc, v1, v8, vcc
	v_add_co_u32_e32 v4, vcc, s4, v4
	v_add_u32_e32 v10, 32, v10
	v_addc_co_u32_e32 v5, vcc, v5, v9, vcc
	v_cmp_le_i32_e32 vcc, s14, v10
	s_or_b64 s[0:1], vcc, s[0:1]
	s_waitcnt vmcnt(0)
	v_fmac_f32_e32 v7, v11, v12
	s_andn2_b64 exec, exec, s[0:1]
	s_cbranch_execnz .LBB177_3
; %bb.4:
	s_or_b64 exec, exec, s[0:1]
.LBB177_5:
	s_or_b64 exec, exec, s[12:13]
	v_mbcnt_lo_u32_b32 v0, -1, 0
	v_mbcnt_hi_u32_b32 v0, -1, v0
	v_and_b32_e32 v1, 63, v0
	v_cmp_gt_u32_e32 vcc, 48, v1
	v_cndmask_b32_e64 v4, 0, 1, vcc
	v_lshlrev_b32_e32 v4, 4, v4
	v_add_lshl_u32 v4, v4, v0, 2
	ds_bpermute_b32 v4, v4, v7
	v_cmp_gt_u32_e32 vcc, 56, v1
	v_cndmask_b32_e64 v5, 0, 1, vcc
	v_lshlrev_b32_e32 v5, 3, v5
	v_add_lshl_u32 v5, v5, v0, 2
	s_waitcnt lgkmcnt(0)
	v_add_f32_e32 v4, v7, v4
	ds_bpermute_b32 v5, v5, v4
	v_cmp_gt_u32_e32 vcc, 60, v1
	v_cndmask_b32_e64 v7, 0, 1, vcc
	v_lshlrev_b32_e32 v7, 2, v7
	v_cmp_gt_u32_e32 vcc, 62, v1
	s_waitcnt lgkmcnt(0)
	v_add_f32_e32 v4, v4, v5
	v_add_lshl_u32 v5, v7, v0, 2
	ds_bpermute_b32 v5, v5, v4
	v_cndmask_b32_e64 v7, 0, 1, vcc
	v_lshlrev_b32_e32 v7, 1, v7
	v_cmp_ne_u32_e32 vcc, 63, v1
	v_addc_co_u32_e32 v1, vcc, 0, v0, vcc
	s_waitcnt lgkmcnt(0)
	v_add_f32_e32 v4, v4, v5
	v_add_lshl_u32 v5, v7, v0, 2
	ds_bpermute_b32 v5, v5, v4
	v_lshlrev_b32_e32 v1, 2, v1
	v_cmp_eq_u32_e32 vcc, 0, v6
	s_waitcnt lgkmcnt(0)
	s_barrier
	v_add_f32_e32 v0, v4, v5
	ds_bpermute_b32 v1, v1, v0
	s_waitcnt lgkmcnt(0)
	s_and_b64 exec, exec, vcc
	s_cbranch_execz .LBB177_7
; %bb.6:
	v_lshlrev_b64 v[2:3], 2, v[2:3]
	v_mov_b32_e32 v4, s7
	v_add_co_u32_e32 v2, vcc, s6, v2
	v_addc_co_u32_e32 v3, vcc, v4, v3, vcc
	v_add_f32_e32 v0, v0, v1
	global_store_dword v[2:3], v0, off
.LBB177_7:
	s_endpgm
	.section	.rodata,"a",@progbits
	.p2align	6, 0x0
	.amdhsa_kernel _ZL28rocblas_dot_batched_4_kernelIiLi32ELi4ELb0EffPKPKfEviT5_lT_lS4_lS5_liPT4_
		.amdhsa_group_segment_fixed_size 0
		.amdhsa_private_segment_fixed_size 0
		.amdhsa_kernarg_size 88
		.amdhsa_user_sgpr_count 6
		.amdhsa_user_sgpr_private_segment_buffer 1
		.amdhsa_user_sgpr_dispatch_ptr 0
		.amdhsa_user_sgpr_queue_ptr 0
		.amdhsa_user_sgpr_kernarg_segment_ptr 1
		.amdhsa_user_sgpr_dispatch_id 0
		.amdhsa_user_sgpr_flat_scratch_init 0
		.amdhsa_user_sgpr_kernarg_preload_length 0
		.amdhsa_user_sgpr_kernarg_preload_offset 0
		.amdhsa_user_sgpr_private_segment_size 0
		.amdhsa_uses_dynamic_stack 0
		.amdhsa_system_sgpr_private_segment_wavefront_offset 0
		.amdhsa_system_sgpr_workgroup_id_x 1
		.amdhsa_system_sgpr_workgroup_id_y 0
		.amdhsa_system_sgpr_workgroup_id_z 0
		.amdhsa_system_sgpr_workgroup_info 0
		.amdhsa_system_vgpr_workitem_id 1
		.amdhsa_next_free_vgpr 14
		.amdhsa_next_free_sgpr 18
		.amdhsa_accum_offset 16
		.amdhsa_reserve_vcc 1
		.amdhsa_reserve_flat_scratch 0
		.amdhsa_float_round_mode_32 0
		.amdhsa_float_round_mode_16_64 0
		.amdhsa_float_denorm_mode_32 3
		.amdhsa_float_denorm_mode_16_64 3
		.amdhsa_dx10_clamp 1
		.amdhsa_ieee_mode 1
		.amdhsa_fp16_overflow 0
		.amdhsa_tg_split 0
		.amdhsa_exception_fp_ieee_invalid_op 0
		.amdhsa_exception_fp_denorm_src 0
		.amdhsa_exception_fp_ieee_div_zero 0
		.amdhsa_exception_fp_ieee_overflow 0
		.amdhsa_exception_fp_ieee_underflow 0
		.amdhsa_exception_fp_ieee_inexact 0
		.amdhsa_exception_int_div_zero 0
	.end_amdhsa_kernel
	.section	.text._ZL28rocblas_dot_batched_4_kernelIiLi32ELi4ELb0EffPKPKfEviT5_lT_lS4_lS5_liPT4_,"axG",@progbits,_ZL28rocblas_dot_batched_4_kernelIiLi32ELi4ELb0EffPKPKfEviT5_lT_lS4_lS5_liPT4_,comdat
.Lfunc_end177:
	.size	_ZL28rocblas_dot_batched_4_kernelIiLi32ELi4ELb0EffPKPKfEviT5_lT_lS4_lS5_liPT4_, .Lfunc_end177-_ZL28rocblas_dot_batched_4_kernelIiLi32ELi4ELb0EffPKPKfEviT5_lT_lS4_lS5_liPT4_
                                        ; -- End function
	.section	.AMDGPU.csdata,"",@progbits
; Kernel info:
; codeLenInByte = 624
; NumSgprs: 22
; NumVgprs: 14
; NumAgprs: 0
; TotalNumVgprs: 14
; ScratchSize: 0
; MemoryBound: 0
; FloatMode: 240
; IeeeMode: 1
; LDSByteSize: 0 bytes/workgroup (compile time only)
; SGPRBlocks: 2
; VGPRBlocks: 1
; NumSGPRsForWavesPerEU: 22
; NumVGPRsForWavesPerEU: 14
; AccumOffset: 16
; Occupancy: 8
; WaveLimiterHint : 0
; COMPUTE_PGM_RSRC2:SCRATCH_EN: 0
; COMPUTE_PGM_RSRC2:USER_SGPR: 6
; COMPUTE_PGM_RSRC2:TRAP_HANDLER: 0
; COMPUTE_PGM_RSRC2:TGID_X_EN: 1
; COMPUTE_PGM_RSRC2:TGID_Y_EN: 0
; COMPUTE_PGM_RSRC2:TGID_Z_EN: 0
; COMPUTE_PGM_RSRC2:TIDIG_COMP_CNT: 1
; COMPUTE_PGM_RSRC3_GFX90A:ACCUM_OFFSET: 3
; COMPUTE_PGM_RSRC3_GFX90A:TG_SPLIT: 0
	.section	.text._ZL28rocblas_dot_batched_4_kernelIiLi64ELi4ELb0EffPKPKfEviT5_lT_lS4_lS5_liPT4_,"axG",@progbits,_ZL28rocblas_dot_batched_4_kernelIiLi64ELi4ELb0EffPKPKfEviT5_lT_lS4_lS5_liPT4_,comdat
	.globl	_ZL28rocblas_dot_batched_4_kernelIiLi64ELi4ELb0EffPKPKfEviT5_lT_lS4_lS5_liPT4_ ; -- Begin function _ZL28rocblas_dot_batched_4_kernelIiLi64ELi4ELb0EffPKPKfEviT5_lT_lS4_lS5_liPT4_
	.p2align	8
	.type	_ZL28rocblas_dot_batched_4_kernelIiLi64ELi4ELb0EffPKPKfEviT5_lT_lS4_lS5_liPT4_,@function
_ZL28rocblas_dot_batched_4_kernelIiLi64ELi4ELb0EffPKPKfEviT5_lT_lS4_lS5_liPT4_: ; @_ZL28rocblas_dot_batched_4_kernelIiLi64ELi4ELb0EffPKPKfEviT5_lT_lS4_lS5_liPT4_
; %bb.0:
	s_load_dword s0, s[4:5], 0x48
	v_bfe_u32 v1, v0, 10, 10
	v_lshl_add_u32 v2, s6, 2, v1
	s_waitcnt lgkmcnt(0)
	v_cmp_gt_u32_e32 vcc, s0, v2
	s_and_saveexec_b64 s[0:1], vcc
	s_cbranch_execz .LBB178_7
; %bb.1:
	s_load_dword s14, s[4:5], 0x0
	s_load_dwordx2 s[6:7], s[4:5], 0x50
	v_mov_b32_e32 v3, 0
	v_and_b32_e32 v6, 0x3ff, v0
	v_mov_b32_e32 v7, v3
	s_waitcnt lgkmcnt(0)
	v_cmp_gt_i32_e32 vcc, s14, v6
	s_and_saveexec_b64 s[12:13], vcc
	s_cbranch_execz .LBB178_5
; %bb.2:
	s_load_dwordx4 s[0:3], s[4:5], 0x8
	s_load_dwordx4 s[8:11], s[4:5], 0x28
	v_lshlrev_b64 v[0:1], 3, v[2:3]
	s_load_dword s16, s[4:5], 0x18
	s_waitcnt lgkmcnt(0)
	v_mov_b32_e32 v5, s1
	v_add_co_u32_e32 v4, vcc, s0, v0
	v_addc_co_u32_e32 v5, vcc, v5, v1, vcc
	global_load_dwordx2 v[4:5], v[4:5], off
	v_mov_b32_e32 v7, s9
	v_add_co_u32_e32 v0, vcc, s8, v0
	v_addc_co_u32_e32 v1, vcc, v7, v1, vcc
	global_load_dwordx2 v[10:11], v[0:1], off
	s_load_dword s4, s[4:5], 0x38
	v_mad_i64_i32 v[0:1], s[8:9], s16, v6, 0
	s_lshl_b64 s[8:9], s[2:3], 2
	v_lshlrev_b64 v[0:1], 2, v[0:1]
	s_waitcnt lgkmcnt(0)
	v_mad_i64_i32 v[8:9], s[2:3], s4, v6, 0
	v_mov_b32_e32 v12, s9
	v_add_co_u32_e32 v0, vcc, s8, v0
	s_lshl_b64 s[10:11], s[10:11], 2
	v_lshlrev_b64 v[8:9], 2, v[8:9]
	v_addc_co_u32_e32 v1, vcc, v1, v12, vcc
	v_mov_b32_e32 v13, s11
	v_add_co_u32_e32 v12, vcc, s10, v8
	v_addc_co_u32_e32 v13, vcc, v9, v13, vcc
	s_ashr_i32 s17, s16, 31
	s_ashr_i32 s5, s4, 31
	s_lshl_b64 s[2:3], s[16:17], 8
	s_lshl_b64 s[4:5], s[4:5], 8
	s_mov_b64 s[0:1], 0
	v_mov_b32_e32 v7, 0
	v_mov_b32_e32 v8, s3
	v_mov_b32_e32 v9, s5
	s_waitcnt vmcnt(1)
	v_add_co_u32_e32 v0, vcc, v4, v0
	v_addc_co_u32_e32 v1, vcc, v5, v1, vcc
	s_waitcnt vmcnt(0)
	v_add_co_u32_e32 v4, vcc, v10, v12
	v_addc_co_u32_e32 v5, vcc, v11, v13, vcc
	v_mov_b32_e32 v10, v6
.LBB178_3:                              ; =>This Inner Loop Header: Depth=1
	global_load_dword v11, v[0:1], off
	global_load_dword v12, v[4:5], off
	v_add_co_u32_e32 v0, vcc, s2, v0
	v_addc_co_u32_e32 v1, vcc, v1, v8, vcc
	v_add_co_u32_e32 v4, vcc, s4, v4
	v_add_u32_e32 v10, 64, v10
	v_addc_co_u32_e32 v5, vcc, v5, v9, vcc
	v_cmp_le_i32_e32 vcc, s14, v10
	s_or_b64 s[0:1], vcc, s[0:1]
	s_waitcnt vmcnt(0)
	v_fmac_f32_e32 v7, v11, v12
	s_andn2_b64 exec, exec, s[0:1]
	s_cbranch_execnz .LBB178_3
; %bb.4:
	s_or_b64 exec, exec, s[0:1]
.LBB178_5:
	s_or_b64 exec, exec, s[12:13]
	v_mbcnt_lo_u32_b32 v0, -1, 0
	v_mbcnt_hi_u32_b32 v0, -1, v0
	v_and_b32_e32 v1, 63, v0
	v_cmp_gt_u32_e32 vcc, 32, v1
	v_cndmask_b32_e64 v4, 0, 1, vcc
	v_lshlrev_b32_e32 v4, 5, v4
	v_add_lshl_u32 v4, v4, v0, 2
	ds_bpermute_b32 v4, v4, v7
	v_cmp_gt_u32_e32 vcc, 48, v1
	v_cndmask_b32_e64 v5, 0, 1, vcc
	v_lshlrev_b32_e32 v5, 4, v5
	v_add_lshl_u32 v5, v5, v0, 2
	s_waitcnt lgkmcnt(0)
	v_add_f32_e32 v4, v7, v4
	ds_bpermute_b32 v5, v5, v4
	v_cmp_gt_u32_e32 vcc, 56, v1
	v_cndmask_b32_e64 v7, 0, 1, vcc
	v_lshlrev_b32_e32 v7, 3, v7
	v_cmp_gt_u32_e32 vcc, 60, v1
	s_waitcnt lgkmcnt(0)
	v_add_f32_e32 v4, v4, v5
	v_add_lshl_u32 v5, v7, v0, 2
	ds_bpermute_b32 v5, v5, v4
	v_cndmask_b32_e64 v7, 0, 1, vcc
	v_lshlrev_b32_e32 v7, 2, v7
	v_cmp_gt_u32_e32 vcc, 62, v1
	s_waitcnt lgkmcnt(0)
	v_add_f32_e32 v4, v4, v5
	v_add_lshl_u32 v5, v7, v0, 2
	ds_bpermute_b32 v5, v5, v4
	v_cndmask_b32_e64 v7, 0, 1, vcc
	v_lshlrev_b32_e32 v7, 1, v7
	v_cmp_ne_u32_e32 vcc, 63, v1
	v_addc_co_u32_e32 v1, vcc, 0, v0, vcc
	s_waitcnt lgkmcnt(0)
	v_add_f32_e32 v4, v4, v5
	v_add_lshl_u32 v5, v7, v0, 2
	ds_bpermute_b32 v5, v5, v4
	v_lshlrev_b32_e32 v1, 2, v1
	v_cmp_eq_u32_e32 vcc, 0, v6
	s_barrier
	s_waitcnt lgkmcnt(0)
	v_add_f32_e32 v0, v4, v5
	ds_bpermute_b32 v1, v1, v0
	s_and_b64 exec, exec, vcc
	s_cbranch_execz .LBB178_7
; %bb.6:
	v_lshlrev_b64 v[2:3], 2, v[2:3]
	v_mov_b32_e32 v4, s7
	v_add_co_u32_e32 v2, vcc, s6, v2
	v_addc_co_u32_e32 v3, vcc, v4, v3, vcc
	s_waitcnt lgkmcnt(0)
	v_add_f32_e32 v0, v0, v1
	global_store_dword v[2:3], v0, off
.LBB178_7:
	s_endpgm
	.section	.rodata,"a",@progbits
	.p2align	6, 0x0
	.amdhsa_kernel _ZL28rocblas_dot_batched_4_kernelIiLi64ELi4ELb0EffPKPKfEviT5_lT_lS4_lS5_liPT4_
		.amdhsa_group_segment_fixed_size 0
		.amdhsa_private_segment_fixed_size 0
		.amdhsa_kernarg_size 88
		.amdhsa_user_sgpr_count 6
		.amdhsa_user_sgpr_private_segment_buffer 1
		.amdhsa_user_sgpr_dispatch_ptr 0
		.amdhsa_user_sgpr_queue_ptr 0
		.amdhsa_user_sgpr_kernarg_segment_ptr 1
		.amdhsa_user_sgpr_dispatch_id 0
		.amdhsa_user_sgpr_flat_scratch_init 0
		.amdhsa_user_sgpr_kernarg_preload_length 0
		.amdhsa_user_sgpr_kernarg_preload_offset 0
		.amdhsa_user_sgpr_private_segment_size 0
		.amdhsa_uses_dynamic_stack 0
		.amdhsa_system_sgpr_private_segment_wavefront_offset 0
		.amdhsa_system_sgpr_workgroup_id_x 1
		.amdhsa_system_sgpr_workgroup_id_y 0
		.amdhsa_system_sgpr_workgroup_id_z 0
		.amdhsa_system_sgpr_workgroup_info 0
		.amdhsa_system_vgpr_workitem_id 1
		.amdhsa_next_free_vgpr 14
		.amdhsa_next_free_sgpr 18
		.amdhsa_accum_offset 16
		.amdhsa_reserve_vcc 1
		.amdhsa_reserve_flat_scratch 0
		.amdhsa_float_round_mode_32 0
		.amdhsa_float_round_mode_16_64 0
		.amdhsa_float_denorm_mode_32 3
		.amdhsa_float_denorm_mode_16_64 3
		.amdhsa_dx10_clamp 1
		.amdhsa_ieee_mode 1
		.amdhsa_fp16_overflow 0
		.amdhsa_tg_split 0
		.amdhsa_exception_fp_ieee_invalid_op 0
		.amdhsa_exception_fp_denorm_src 0
		.amdhsa_exception_fp_ieee_div_zero 0
		.amdhsa_exception_fp_ieee_overflow 0
		.amdhsa_exception_fp_ieee_underflow 0
		.amdhsa_exception_fp_ieee_inexact 0
		.amdhsa_exception_int_div_zero 0
	.end_amdhsa_kernel
	.section	.text._ZL28rocblas_dot_batched_4_kernelIiLi64ELi4ELb0EffPKPKfEviT5_lT_lS4_lS5_liPT4_,"axG",@progbits,_ZL28rocblas_dot_batched_4_kernelIiLi64ELi4ELb0EffPKPKfEviT5_lT_lS4_lS5_liPT4_,comdat
.Lfunc_end178:
	.size	_ZL28rocblas_dot_batched_4_kernelIiLi64ELi4ELb0EffPKPKfEviT5_lT_lS4_lS5_liPT4_, .Lfunc_end178-_ZL28rocblas_dot_batched_4_kernelIiLi64ELi4ELb0EffPKPKfEviT5_lT_lS4_lS5_liPT4_
                                        ; -- End function
	.section	.AMDGPU.csdata,"",@progbits
; Kernel info:
; codeLenInByte = 664
; NumSgprs: 22
; NumVgprs: 14
; NumAgprs: 0
; TotalNumVgprs: 14
; ScratchSize: 0
; MemoryBound: 0
; FloatMode: 240
; IeeeMode: 1
; LDSByteSize: 0 bytes/workgroup (compile time only)
; SGPRBlocks: 2
; VGPRBlocks: 1
; NumSGPRsForWavesPerEU: 22
; NumVGPRsForWavesPerEU: 14
; AccumOffset: 16
; Occupancy: 8
; WaveLimiterHint : 0
; COMPUTE_PGM_RSRC2:SCRATCH_EN: 0
; COMPUTE_PGM_RSRC2:USER_SGPR: 6
; COMPUTE_PGM_RSRC2:TRAP_HANDLER: 0
; COMPUTE_PGM_RSRC2:TGID_X_EN: 1
; COMPUTE_PGM_RSRC2:TGID_Y_EN: 0
; COMPUTE_PGM_RSRC2:TGID_Z_EN: 0
; COMPUTE_PGM_RSRC2:TIDIG_COMP_CNT: 1
; COMPUTE_PGM_RSRC3_GFX90A:ACCUM_OFFSET: 3
; COMPUTE_PGM_RSRC3_GFX90A:TG_SPLIT: 0
	.section	.text._ZL26rocblas_dot_kernel_inc1by2ILb1ELi1024ELi32ELb0EfPKPKffEviT4_llS4_lliPT5_PT3_,"axG",@progbits,_ZL26rocblas_dot_kernel_inc1by2ILb1ELi1024ELi32ELb0EfPKPKffEviT4_llS4_lliPT5_PT3_,comdat
	.globl	_ZL26rocblas_dot_kernel_inc1by2ILb1ELi1024ELi32ELb0EfPKPKffEviT4_llS4_lliPT5_PT3_ ; -- Begin function _ZL26rocblas_dot_kernel_inc1by2ILb1ELi1024ELi32ELb0EfPKPKffEviT4_llS4_lliPT5_PT3_
	.p2align	8
	.type	_ZL26rocblas_dot_kernel_inc1by2ILb1ELi1024ELi32ELb0EfPKPKffEviT4_llS4_lliPT5_PT3_,@function
_ZL26rocblas_dot_kernel_inc1by2ILb1ELi1024ELi32ELb0EfPKPKffEviT4_llS4_lliPT5_PT3_: ; @_ZL26rocblas_dot_kernel_inc1by2ILb1ELi1024ELi32ELb0EfPKPKffEviT4_llS4_lliPT5_PT3_
; %bb.0:
	s_load_dword s20, s[4:5], 0x0
	s_load_dwordx4 s[0:3], s[4:5], 0x8
	s_load_dwordx2 s[12:13], s[4:5], 0x48
	s_load_dwordx4 s[8:11], s[4:5], 0x20
	s_mov_b32 s6, s7
	s_mov_b32 s7, 0
	s_lshl_b64 s[14:15], s[6:7], 3
	s_waitcnt lgkmcnt(0)
	s_add_u32 s0, s0, s14
	s_addc_u32 s1, s1, s15
	s_load_dwordx2 s[4:5], s[0:1], 0x0
	s_add_u32 s0, s8, s14
	s_addc_u32 s1, s9, s15
	s_load_dwordx2 s[14:15], s[0:1], 0x0
	v_lshlrev_b32_e32 v6, 1, v0
	s_add_i32 s8, s20, -1
	v_cmp_gt_i32_e32 vcc, s8, v6
	v_mov_b32_e32 v1, 0
	s_and_saveexec_b64 s[16:17], vcc
	s_cbranch_execz .LBB179_4
; %bb.1:
	s_lshl_b64 s[0:1], s[10:11], 2
	s_waitcnt lgkmcnt(0)
	s_add_u32 s0, s14, s0
	v_lshlrev_b32_e32 v4, 3, v0
	s_addc_u32 s1, s15, s1
	v_mov_b32_e32 v3, s1
	v_add_co_u32_e32 v2, vcc, s0, v4
	s_lshl_b64 s[0:1], s[2:3], 2
	s_add_u32 s0, s4, s0
	v_addc_co_u32_e32 v3, vcc, 0, v3, vcc
	s_addc_u32 s1, s5, s1
	v_mov_b32_e32 v5, s1
	v_add_co_u32_e32 v4, vcc, s0, v4
	v_mov_b32_e32 v1, 0
	v_addc_co_u32_e32 v5, vcc, 0, v5, vcc
	s_mov_b64 s[18:19], 0
	s_mov_b32 s9, s7
.LBB179_2:                              ; =>This Inner Loop Header: Depth=1
	global_load_dwordx2 v[8:9], v[2:3], off
	global_load_dwordx2 v[10:11], v[4:5], off
	s_add_i32 s21, s9, 1
	v_add_u32_e32 v6, 0x800, v6
	s_cmp_gt_u32 s9, 30
	v_add_co_u32_e32 v2, vcc, 0x2000, v2
	v_cmp_le_i32_e64 s[0:1], s8, v6
	s_cselect_b64 s[22:23], -1, 0
	v_addc_co_u32_e32 v3, vcc, 0, v3, vcc
	s_or_b64 s[0:1], s[22:23], s[0:1]
	v_add_co_u32_e32 v4, vcc, 0x2000, v4
	s_and_b64 s[0:1], exec, s[0:1]
	s_mov_b32 s9, s21
	v_addc_co_u32_e32 v5, vcc, 0, v5, vcc
	s_or_b64 s[18:19], s[0:1], s[18:19]
	s_waitcnt vmcnt(0)
	v_pk_mul_f32 v[8:9], v[8:9], v[10:11]
	v_add_f32_e32 v1, v1, v8
	v_add_f32_e32 v1, v1, v9
	s_andn2_b64 exec, exec, s[18:19]
	s_cbranch_execnz .LBB179_2
; %bb.3:
	s_or_b64 exec, exec, s[18:19]
.LBB179_4:
	s_or_b64 exec, exec, s[16:17]
	s_bitcmp1_b32 s20, 0
	s_cselect_b64 s[0:1], -1, 0
	v_cmp_eq_u32_e32 vcc, s8, v6
	s_and_b64 s[16:17], s[0:1], vcc
	s_and_saveexec_b64 s[0:1], s[16:17]
	s_cbranch_execz .LBB179_6
; %bb.5:
	s_lshl_b64 s[2:3], s[2:3], 2
	s_waitcnt lgkmcnt(0)
	s_add_u32 s4, s4, s2
	s_addc_u32 s5, s5, s3
	s_lshl_b64 s[2:3], s[10:11], 2
	s_add_u32 s10, s14, s2
	s_mov_b32 s9, 0
	s_addc_u32 s11, s15, s3
	s_lshl_b64 s[2:3], s[8:9], 2
	s_add_u32 s4, s4, s2
	s_addc_u32 s5, s5, s3
	s_add_u32 s2, s10, s2
	s_addc_u32 s3, s11, s3
	s_load_dword s8, s[4:5], 0x0
	s_load_dword s9, s[2:3], 0x0
	s_waitcnt lgkmcnt(0)
	v_mov_b32_e32 v2, s8
	v_fmac_f32_e32 v1, s9, v2
.LBB179_6:
	s_or_b64 exec, exec, s[0:1]
	v_and_b32_e32 v3, 63, v0
	v_cmp_gt_u32_e32 vcc, 64, v0
	v_lshlrev_b32_e32 v2, 2, v3
	s_and_saveexec_b64 s[0:1], vcc
	s_cbranch_execz .LBB179_8
; %bb.7:
	v_mov_b32_e32 v4, 0
	ds_write_b32 v2, v4
.LBB179_8:
	s_or_b64 exec, exec, s[0:1]
	v_mbcnt_lo_u32_b32 v4, -1, 0
	v_mbcnt_hi_u32_b32 v6, -1, v4
	v_and_b32_e32 v7, 63, v6
	v_cmp_gt_u32_e64 s[0:1], 32, v7
	v_cndmask_b32_e64 v4, 0, 1, s[0:1]
	v_lshlrev_b32_e32 v4, 5, v4
	v_add_lshl_u32 v4, v4, v6, 2
	ds_bpermute_b32 v4, v4, v1
	v_cmp_gt_u32_e64 s[0:1], 48, v7
	v_cndmask_b32_e64 v5, 0, 1, s[0:1]
	v_lshlrev_b32_e32 v5, 4, v5
	v_cmp_gt_u32_e64 s[0:1], 56, v7
	s_waitcnt lgkmcnt(0)
	v_add_f32_e32 v1, v1, v4
	v_add_lshl_u32 v4, v5, v6, 2
	ds_bpermute_b32 v4, v4, v1
	v_cndmask_b32_e64 v5, 0, 1, s[0:1]
	v_lshlrev_b32_e32 v5, 3, v5
	v_cmp_gt_u32_e64 s[0:1], 60, v7
	v_cndmask_b32_e64 v8, 0, 1, s[0:1]
	s_waitcnt lgkmcnt(0)
	v_add_f32_e32 v4, v1, v4
	v_add_lshl_u32 v1, v5, v6, 2
	ds_bpermute_b32 v5, v1, v4
	v_lshlrev_b32_e32 v8, 2, v8
	v_cmp_gt_u32_e64 s[0:1], 62, v7
	v_cndmask_b32_e64 v9, 0, 1, s[0:1]
	v_lshlrev_b32_e32 v9, 1, v9
	s_waitcnt lgkmcnt(0)
	v_add_f32_e32 v5, v4, v5
	v_add_lshl_u32 v4, v8, v6, 2
	ds_bpermute_b32 v8, v4, v5
	v_cmp_ne_u32_e64 s[0:1], 63, v7
	s_waitcnt lgkmcnt(0)
	s_barrier
	v_add_f32_e32 v8, v5, v8
	v_add_lshl_u32 v5, v9, v6, 2
	ds_bpermute_b32 v9, v5, v8
	v_addc_co_u32_e64 v6, s[0:1], 0, v6, s[0:1]
	v_lshlrev_b32_e32 v6, 2, v6
	v_cmp_eq_u32_e64 s[0:1], 0, v3
	s_waitcnt lgkmcnt(0)
	v_add_f32_e32 v7, v8, v9
	ds_bpermute_b32 v8, v6, v7
	s_and_saveexec_b64 s[2:3], s[0:1]
	s_cbranch_execz .LBB179_10
; %bb.9:
	s_waitcnt lgkmcnt(0)
	v_add_f32_e32 v3, v7, v8
	v_lshrrev_b32_e32 v7, 4, v0
	v_and_b32_e32 v7, 60, v7
	ds_write_b32 v7, v3
.LBB179_10:
	s_or_b64 exec, exec, s[2:3]
	v_cmp_gt_u32_e64 s[0:1], 16, v0
	v_mov_b32_e32 v3, 0
	s_waitcnt lgkmcnt(0)
	s_barrier
	s_and_saveexec_b64 s[2:3], s[0:1]
	s_cbranch_execnz .LBB179_14
; %bb.11:
	s_or_b64 exec, exec, s[2:3]
	s_and_saveexec_b64 s[0:1], vcc
	s_cbranch_execnz .LBB179_15
.LBB179_12:
	s_or_b64 exec, exec, s[0:1]
	v_cmp_eq_u32_e32 vcc, 0, v0
	s_and_saveexec_b64 s[0:1], vcc
	s_cbranch_execnz .LBB179_16
.LBB179_13:
	s_endpgm
.LBB179_14:
	ds_read_b32 v3, v2
	s_or_b64 exec, exec, s[2:3]
	s_and_saveexec_b64 s[0:1], vcc
	s_cbranch_execz .LBB179_12
.LBB179_15:
	s_waitcnt lgkmcnt(0)
	ds_bpermute_b32 v1, v1, v3
	s_waitcnt lgkmcnt(0)
	v_add_f32_e32 v1, v3, v1
	ds_bpermute_b32 v2, v4, v1
	s_waitcnt lgkmcnt(0)
	v_add_f32_e32 v1, v1, v2
	;; [unrolled: 3-line block ×4, first 2 shown]
	s_or_b64 exec, exec, s[0:1]
	v_cmp_eq_u32_e32 vcc, 0, v0
	s_and_saveexec_b64 s[0:1], vcc
	s_cbranch_execz .LBB179_13
.LBB179_16:
	s_lshl_b64 s[0:1], s[6:7], 2
	s_add_u32 s0, s12, s0
	s_addc_u32 s1, s13, s1
	v_mov_b32_e32 v0, 0
	s_waitcnt lgkmcnt(0)
	global_store_dword v0, v3, s[0:1]
	s_endpgm
	.section	.rodata,"a",@progbits
	.p2align	6, 0x0
	.amdhsa_kernel _ZL26rocblas_dot_kernel_inc1by2ILb1ELi1024ELi32ELb0EfPKPKffEviT4_llS4_lliPT5_PT3_
		.amdhsa_group_segment_fixed_size 256
		.amdhsa_private_segment_fixed_size 0
		.amdhsa_kernarg_size 80
		.amdhsa_user_sgpr_count 6
		.amdhsa_user_sgpr_private_segment_buffer 1
		.amdhsa_user_sgpr_dispatch_ptr 0
		.amdhsa_user_sgpr_queue_ptr 0
		.amdhsa_user_sgpr_kernarg_segment_ptr 1
		.amdhsa_user_sgpr_dispatch_id 0
		.amdhsa_user_sgpr_flat_scratch_init 0
		.amdhsa_user_sgpr_kernarg_preload_length 0
		.amdhsa_user_sgpr_kernarg_preload_offset 0
		.amdhsa_user_sgpr_private_segment_size 0
		.amdhsa_uses_dynamic_stack 0
		.amdhsa_system_sgpr_private_segment_wavefront_offset 0
		.amdhsa_system_sgpr_workgroup_id_x 1
		.amdhsa_system_sgpr_workgroup_id_y 0
		.amdhsa_system_sgpr_workgroup_id_z 1
		.amdhsa_system_sgpr_workgroup_info 0
		.amdhsa_system_vgpr_workitem_id 0
		.amdhsa_next_free_vgpr 12
		.amdhsa_next_free_sgpr 24
		.amdhsa_accum_offset 12
		.amdhsa_reserve_vcc 1
		.amdhsa_reserve_flat_scratch 0
		.amdhsa_float_round_mode_32 0
		.amdhsa_float_round_mode_16_64 0
		.amdhsa_float_denorm_mode_32 3
		.amdhsa_float_denorm_mode_16_64 3
		.amdhsa_dx10_clamp 1
		.amdhsa_ieee_mode 1
		.amdhsa_fp16_overflow 0
		.amdhsa_tg_split 0
		.amdhsa_exception_fp_ieee_invalid_op 0
		.amdhsa_exception_fp_denorm_src 0
		.amdhsa_exception_fp_ieee_div_zero 0
		.amdhsa_exception_fp_ieee_overflow 0
		.amdhsa_exception_fp_ieee_underflow 0
		.amdhsa_exception_fp_ieee_inexact 0
		.amdhsa_exception_int_div_zero 0
	.end_amdhsa_kernel
	.section	.text._ZL26rocblas_dot_kernel_inc1by2ILb1ELi1024ELi32ELb0EfPKPKffEviT4_llS4_lliPT5_PT3_,"axG",@progbits,_ZL26rocblas_dot_kernel_inc1by2ILb1ELi1024ELi32ELb0EfPKPKffEviT4_llS4_lliPT5_PT3_,comdat
.Lfunc_end179:
	.size	_ZL26rocblas_dot_kernel_inc1by2ILb1ELi1024ELi32ELb0EfPKPKffEviT4_llS4_lliPT5_PT3_, .Lfunc_end179-_ZL26rocblas_dot_kernel_inc1by2ILb1ELi1024ELi32ELb0EfPKPKffEviT4_llS4_lliPT5_PT3_
                                        ; -- End function
	.section	.AMDGPU.csdata,"",@progbits
; Kernel info:
; codeLenInByte = 948
; NumSgprs: 28
; NumVgprs: 12
; NumAgprs: 0
; TotalNumVgprs: 12
; ScratchSize: 0
; MemoryBound: 0
; FloatMode: 240
; IeeeMode: 1
; LDSByteSize: 256 bytes/workgroup (compile time only)
; SGPRBlocks: 3
; VGPRBlocks: 1
; NumSGPRsForWavesPerEU: 28
; NumVGPRsForWavesPerEU: 12
; AccumOffset: 12
; Occupancy: 8
; WaveLimiterHint : 1
; COMPUTE_PGM_RSRC2:SCRATCH_EN: 0
; COMPUTE_PGM_RSRC2:USER_SGPR: 6
; COMPUTE_PGM_RSRC2:TRAP_HANDLER: 0
; COMPUTE_PGM_RSRC2:TGID_X_EN: 1
; COMPUTE_PGM_RSRC2:TGID_Y_EN: 0
; COMPUTE_PGM_RSRC2:TGID_Z_EN: 1
; COMPUTE_PGM_RSRC2:TIDIG_COMP_CNT: 0
; COMPUTE_PGM_RSRC3_GFX90A:ACCUM_OFFSET: 2
; COMPUTE_PGM_RSRC3_GFX90A:TG_SPLIT: 0
	.section	.text._ZL18rocblas_dot_kernelIiLb1ELi1024ELi32ELb0EfPKPKffEviT5_lT_lS4_lS5_liPT6_PT4_,"axG",@progbits,_ZL18rocblas_dot_kernelIiLb1ELi1024ELi32ELb0EfPKPKffEviT5_lT_lS4_lS5_liPT6_PT4_,comdat
	.globl	_ZL18rocblas_dot_kernelIiLb1ELi1024ELi32ELb0EfPKPKffEviT5_lT_lS4_lS5_liPT6_PT4_ ; -- Begin function _ZL18rocblas_dot_kernelIiLb1ELi1024ELi32ELb0EfPKPKffEviT5_lT_lS4_lS5_liPT6_PT4_
	.p2align	8
	.type	_ZL18rocblas_dot_kernelIiLb1ELi1024ELi32ELb0EfPKPKffEviT5_lT_lS4_lS5_liPT6_PT4_,@function
_ZL18rocblas_dot_kernelIiLb1ELi1024ELi32ELb0EfPKPKffEviT5_lT_lS4_lS5_liPT6_PT4_: ; @_ZL18rocblas_dot_kernelIiLb1ELi1024ELi32ELb0EfPKPKffEviT5_lT_lS4_lS5_liPT6_PT4_
; %bb.0:
	s_mov_b32 s2, s7
	s_load_dword s14, s[4:5], 0x0
	s_load_dwordx2 s[6:7], s[4:5], 0x58
	s_mov_b32 s3, 0
	v_mov_b32_e32 v1, 0
	s_waitcnt lgkmcnt(0)
	v_cmp_gt_i32_e32 vcc, s14, v0
	s_and_saveexec_b64 s[8:9], vcc
	s_cbranch_execz .LBB180_4
; %bb.1:
	s_load_dwordx4 s[16:19], s[4:5], 0x8
	s_load_dword s24, s[4:5], 0x18
	s_load_dwordx4 s[20:23], s[4:5], 0x28
	s_lshl_b64 s[0:1], s[2:3], 3
	s_waitcnt lgkmcnt(0)
	s_add_u32 s10, s16, s0
	s_addc_u32 s11, s17, s1
	s_load_dword s16, s[4:5], 0x38
	s_load_dword s15, s[4:5], 0x60
	s_load_dwordx2 s[12:13], s[10:11], 0x0
	s_add_u32 s0, s20, s0
	s_addc_u32 s1, s21, s1
	v_mad_i64_i32 v[2:3], s[4:5], s24, v0, 0
	s_load_dwordx2 s[0:1], s[0:1], 0x0
	s_waitcnt lgkmcnt(0)
	s_lshl_b32 s15, s15, 10
	s_lshl_b64 s[4:5], s[18:19], 2
	s_add_u32 s4, s12, s4
	v_lshlrev_b64 v[2:3], 2, v[2:3]
	s_addc_u32 s5, s13, s5
	v_mov_b32_e32 v1, s5
	v_add_co_u32_e32 v2, vcc, s4, v2
	s_mul_hi_i32 s5, s24, s15
	s_mul_i32 s4, s24, s15
	v_mad_i64_i32 v[4:5], s[10:11], s16, v0, 0
	s_lshl_b64 s[4:5], s[4:5], 2
	s_lshl_b64 s[10:11], s[22:23], 2
	s_add_u32 s0, s0, s10
	v_addc_co_u32_e32 v3, vcc, v1, v3, vcc
	v_lshlrev_b64 v[4:5], 2, v[4:5]
	s_addc_u32 s1, s1, s11
	v_mov_b32_e32 v1, s1
	v_add_co_u32_e32 v4, vcc, s0, v4
	s_mul_hi_i32 s1, s16, s15
	s_mul_i32 s0, s16, s15
	s_lshl_b64 s[12:13], s[0:1], 2
	v_or_b32_e32 v6, s15, v0
	v_addc_co_u32_e32 v5, vcc, v1, v5, vcc
	s_mov_b64 s[10:11], 0
	v_mov_b32_e32 v1, 0
	v_mov_b32_e32 v7, s5
	;; [unrolled: 1-line block ×3, first 2 shown]
	s_mov_b32 s5, s3
.LBB180_2:                              ; =>This Inner Loop Header: Depth=1
	global_load_dword v9, v[4:5], off
	global_load_dword v10, v[2:3], off
	v_add_co_u32_e64 v2, s[0:1], s4, v2
	v_addc_co_u32_e64 v3, s[0:1], v3, v7, s[0:1]
	s_add_i32 s13, s5, 1
	v_add_co_u32_e64 v4, s[0:1], s12, v4
	v_addc_co_u32_e64 v5, s[0:1], v5, v8, s[0:1]
	s_cmp_gt_u32 s5, 30
	v_cmp_le_i32_e32 vcc, s14, v6
	s_cselect_b64 s[0:1], -1, 0
	s_or_b64 s[0:1], s[0:1], vcc
	s_and_b64 s[0:1], exec, s[0:1]
	v_add_u32_e32 v6, s15, v6
	s_mov_b32 s5, s13
	s_or_b64 s[10:11], s[0:1], s[10:11]
	s_waitcnt vmcnt(0)
	v_fmac_f32_e32 v1, v9, v10
	s_andn2_b64 exec, exec, s[10:11]
	s_cbranch_execnz .LBB180_2
; %bb.3:
	s_or_b64 exec, exec, s[10:11]
.LBB180_4:
	s_or_b64 exec, exec, s[8:9]
	v_and_b32_e32 v3, 63, v0
	v_cmp_gt_u32_e32 vcc, 64, v0
	v_lshlrev_b32_e32 v2, 2, v3
	s_and_saveexec_b64 s[0:1], vcc
	s_cbranch_execz .LBB180_6
; %bb.5:
	v_mov_b32_e32 v4, 0
	ds_write_b32 v2, v4
.LBB180_6:
	s_or_b64 exec, exec, s[0:1]
	v_mbcnt_lo_u32_b32 v4, -1, 0
	v_mbcnt_hi_u32_b32 v6, -1, v4
	v_and_b32_e32 v7, 63, v6
	v_cmp_gt_u32_e64 s[0:1], 32, v7
	v_cndmask_b32_e64 v4, 0, 1, s[0:1]
	v_lshlrev_b32_e32 v4, 5, v4
	v_add_lshl_u32 v4, v4, v6, 2
	ds_bpermute_b32 v4, v4, v1
	v_cmp_gt_u32_e64 s[0:1], 48, v7
	v_cndmask_b32_e64 v5, 0, 1, s[0:1]
	v_lshlrev_b32_e32 v5, 4, v5
	v_cmp_gt_u32_e64 s[0:1], 56, v7
	s_waitcnt lgkmcnt(0)
	v_add_f32_e32 v1, v1, v4
	v_add_lshl_u32 v4, v5, v6, 2
	ds_bpermute_b32 v4, v4, v1
	v_cndmask_b32_e64 v5, 0, 1, s[0:1]
	v_lshlrev_b32_e32 v5, 3, v5
	v_cmp_gt_u32_e64 s[0:1], 60, v7
	v_cndmask_b32_e64 v8, 0, 1, s[0:1]
	s_waitcnt lgkmcnt(0)
	v_add_f32_e32 v4, v1, v4
	v_add_lshl_u32 v1, v5, v6, 2
	ds_bpermute_b32 v5, v1, v4
	v_lshlrev_b32_e32 v8, 2, v8
	v_cmp_gt_u32_e64 s[0:1], 62, v7
	v_cndmask_b32_e64 v9, 0, 1, s[0:1]
	v_lshlrev_b32_e32 v9, 1, v9
	s_waitcnt lgkmcnt(0)
	v_add_f32_e32 v5, v4, v5
	v_add_lshl_u32 v4, v8, v6, 2
	ds_bpermute_b32 v8, v4, v5
	v_cmp_ne_u32_e64 s[0:1], 63, v7
	s_waitcnt lgkmcnt(0)
	s_barrier
	v_add_f32_e32 v8, v5, v8
	v_add_lshl_u32 v5, v9, v6, 2
	ds_bpermute_b32 v9, v5, v8
	v_addc_co_u32_e64 v6, s[0:1], 0, v6, s[0:1]
	v_lshlrev_b32_e32 v6, 2, v6
	v_cmp_eq_u32_e64 s[0:1], 0, v3
	s_waitcnt lgkmcnt(0)
	v_add_f32_e32 v7, v8, v9
	ds_bpermute_b32 v8, v6, v7
	s_and_saveexec_b64 s[4:5], s[0:1]
	s_cbranch_execz .LBB180_8
; %bb.7:
	s_waitcnt lgkmcnt(0)
	v_add_f32_e32 v3, v7, v8
	v_lshrrev_b32_e32 v7, 4, v0
	v_and_b32_e32 v7, 60, v7
	ds_write_b32 v7, v3
.LBB180_8:
	s_or_b64 exec, exec, s[4:5]
	v_cmp_gt_u32_e64 s[0:1], 16, v0
	v_mov_b32_e32 v3, 0
	s_waitcnt lgkmcnt(0)
	s_barrier
	s_and_saveexec_b64 s[4:5], s[0:1]
	s_cbranch_execnz .LBB180_12
; %bb.9:
	s_or_b64 exec, exec, s[4:5]
	s_and_saveexec_b64 s[0:1], vcc
	s_cbranch_execnz .LBB180_13
.LBB180_10:
	s_or_b64 exec, exec, s[0:1]
	v_cmp_eq_u32_e32 vcc, 0, v0
	s_and_saveexec_b64 s[0:1], vcc
	s_cbranch_execnz .LBB180_14
.LBB180_11:
	s_endpgm
.LBB180_12:
	ds_read_b32 v3, v2
	s_or_b64 exec, exec, s[4:5]
	s_and_saveexec_b64 s[0:1], vcc
	s_cbranch_execz .LBB180_10
.LBB180_13:
	s_waitcnt lgkmcnt(0)
	ds_bpermute_b32 v1, v1, v3
	s_waitcnt lgkmcnt(0)
	v_add_f32_e32 v1, v3, v1
	ds_bpermute_b32 v2, v4, v1
	s_waitcnt lgkmcnt(0)
	v_add_f32_e32 v1, v1, v2
	;; [unrolled: 3-line block ×4, first 2 shown]
	s_or_b64 exec, exec, s[0:1]
	v_cmp_eq_u32_e32 vcc, 0, v0
	s_and_saveexec_b64 s[0:1], vcc
	s_cbranch_execz .LBB180_11
.LBB180_14:
	s_lshl_b64 s[0:1], s[2:3], 2
	s_add_u32 s0, s6, s0
	s_addc_u32 s1, s7, s1
	v_mov_b32_e32 v0, 0
	s_waitcnt lgkmcnt(0)
	global_store_dword v0, v3, s[0:1]
	s_endpgm
	.section	.rodata,"a",@progbits
	.p2align	6, 0x0
	.amdhsa_kernel _ZL18rocblas_dot_kernelIiLb1ELi1024ELi32ELb0EfPKPKffEviT5_lT_lS4_lS5_liPT6_PT4_
		.amdhsa_group_segment_fixed_size 256
		.amdhsa_private_segment_fixed_size 0
		.amdhsa_kernarg_size 352
		.amdhsa_user_sgpr_count 6
		.amdhsa_user_sgpr_private_segment_buffer 1
		.amdhsa_user_sgpr_dispatch_ptr 0
		.amdhsa_user_sgpr_queue_ptr 0
		.amdhsa_user_sgpr_kernarg_segment_ptr 1
		.amdhsa_user_sgpr_dispatch_id 0
		.amdhsa_user_sgpr_flat_scratch_init 0
		.amdhsa_user_sgpr_kernarg_preload_length 0
		.amdhsa_user_sgpr_kernarg_preload_offset 0
		.amdhsa_user_sgpr_private_segment_size 0
		.amdhsa_uses_dynamic_stack 0
		.amdhsa_system_sgpr_private_segment_wavefront_offset 0
		.amdhsa_system_sgpr_workgroup_id_x 1
		.amdhsa_system_sgpr_workgroup_id_y 0
		.amdhsa_system_sgpr_workgroup_id_z 1
		.amdhsa_system_sgpr_workgroup_info 0
		.amdhsa_system_vgpr_workitem_id 0
		.amdhsa_next_free_vgpr 11
		.amdhsa_next_free_sgpr 25
		.amdhsa_accum_offset 12
		.amdhsa_reserve_vcc 1
		.amdhsa_reserve_flat_scratch 0
		.amdhsa_float_round_mode_32 0
		.amdhsa_float_round_mode_16_64 0
		.amdhsa_float_denorm_mode_32 3
		.amdhsa_float_denorm_mode_16_64 3
		.amdhsa_dx10_clamp 1
		.amdhsa_ieee_mode 1
		.amdhsa_fp16_overflow 0
		.amdhsa_tg_split 0
		.amdhsa_exception_fp_ieee_invalid_op 0
		.amdhsa_exception_fp_denorm_src 0
		.amdhsa_exception_fp_ieee_div_zero 0
		.amdhsa_exception_fp_ieee_overflow 0
		.amdhsa_exception_fp_ieee_underflow 0
		.amdhsa_exception_fp_ieee_inexact 0
		.amdhsa_exception_int_div_zero 0
	.end_amdhsa_kernel
	.section	.text._ZL18rocblas_dot_kernelIiLb1ELi1024ELi32ELb0EfPKPKffEviT5_lT_lS4_lS5_liPT6_PT4_,"axG",@progbits,_ZL18rocblas_dot_kernelIiLb1ELi1024ELi32ELb0EfPKPKffEviT5_lT_lS4_lS5_liPT6_PT4_,comdat
.Lfunc_end180:
	.size	_ZL18rocblas_dot_kernelIiLb1ELi1024ELi32ELb0EfPKPKffEviT5_lT_lS4_lS5_liPT6_PT4_, .Lfunc_end180-_ZL18rocblas_dot_kernelIiLb1ELi1024ELi32ELb0EfPKPKffEviT5_lT_lS4_lS5_liPT6_PT4_
                                        ; -- End function
	.section	.AMDGPU.csdata,"",@progbits
; Kernel info:
; codeLenInByte = 916
; NumSgprs: 29
; NumVgprs: 11
; NumAgprs: 0
; TotalNumVgprs: 11
; ScratchSize: 0
; MemoryBound: 0
; FloatMode: 240
; IeeeMode: 1
; LDSByteSize: 256 bytes/workgroup (compile time only)
; SGPRBlocks: 3
; VGPRBlocks: 1
; NumSGPRsForWavesPerEU: 29
; NumVGPRsForWavesPerEU: 11
; AccumOffset: 12
; Occupancy: 8
; WaveLimiterHint : 0
; COMPUTE_PGM_RSRC2:SCRATCH_EN: 0
; COMPUTE_PGM_RSRC2:USER_SGPR: 6
; COMPUTE_PGM_RSRC2:TRAP_HANDLER: 0
; COMPUTE_PGM_RSRC2:TGID_X_EN: 1
; COMPUTE_PGM_RSRC2:TGID_Y_EN: 0
; COMPUTE_PGM_RSRC2:TGID_Z_EN: 1
; COMPUTE_PGM_RSRC2:TIDIG_COMP_CNT: 0
; COMPUTE_PGM_RSRC3_GFX90A:ACCUM_OFFSET: 2
; COMPUTE_PGM_RSRC3_GFX90A:TG_SPLIT: 0
	.section	.text._ZL24rocblas_dot_kernel_magsqIiLb1ELi1024ELi32ELb0EfPKPKffEviT5_lT_liPT6_PT4_,"axG",@progbits,_ZL24rocblas_dot_kernel_magsqIiLb1ELi1024ELi32ELb0EfPKPKffEviT5_lT_liPT6_PT4_,comdat
	.globl	_ZL24rocblas_dot_kernel_magsqIiLb1ELi1024ELi32ELb0EfPKPKffEviT5_lT_liPT6_PT4_ ; -- Begin function _ZL24rocblas_dot_kernel_magsqIiLb1ELi1024ELi32ELb0EfPKPKffEviT5_lT_liPT6_PT4_
	.p2align	8
	.type	_ZL24rocblas_dot_kernel_magsqIiLb1ELi1024ELi32ELb0EfPKPKffEviT5_lT_liPT6_PT4_,@function
_ZL24rocblas_dot_kernel_magsqIiLb1ELi1024ELi32ELb0EfPKPKffEviT5_lT_liPT6_PT4_: ; @_ZL24rocblas_dot_kernel_magsqIiLb1ELi1024ELi32ELb0EfPKPKffEviT5_lT_liPT6_PT4_
; %bb.0:
	s_mov_b32 s2, s7
	s_load_dword s12, s[4:5], 0x0
	s_load_dwordx2 s[6:7], s[4:5], 0x38
	s_mov_b32 s3, 0
	v_mov_b32_e32 v1, 0
	s_waitcnt lgkmcnt(0)
	v_cmp_gt_i32_e32 vcc, s12, v0
	s_and_saveexec_b64 s[8:9], vcc
	s_cbranch_execz .LBB181_4
; %bb.1:
	s_load_dwordx4 s[16:19], s[4:5], 0x8
	s_load_dword s10, s[4:5], 0x40
	s_load_dword s11, s[4:5], 0x18
	s_lshl_b64 s[0:1], s[2:3], 3
	s_waitcnt lgkmcnt(0)
	s_add_u32 s0, s16, s0
	s_addc_u32 s1, s17, s1
	s_load_dwordx2 s[0:1], s[0:1], 0x0
	v_mad_i64_i32 v[2:3], s[4:5], s11, v0, 0
	s_lshl_b32 s13, s10, 10
	s_lshl_b64 s[4:5], s[18:19], 2
	s_waitcnt lgkmcnt(0)
	s_add_u32 s0, s0, s4
	v_lshlrev_b64 v[2:3], 2, v[2:3]
	s_addc_u32 s1, s1, s5
	v_mov_b32_e32 v1, s1
	v_add_co_u32_e32 v2, vcc, s0, v2
	s_mul_hi_i32 s1, s11, s13
	s_mul_i32 s0, s11, s13
	s_lshl_b64 s[10:11], s[0:1], 2
	v_or_b32_e32 v4, s13, v0
	v_addc_co_u32_e32 v3, vcc, v1, v3, vcc
	s_mov_b64 s[4:5], 0
	v_mov_b32_e32 v1, 0
	v_mov_b32_e32 v5, s11
	s_mov_b32 s11, s3
.LBB181_2:                              ; =>This Inner Loop Header: Depth=1
	global_load_dword v6, v[2:3], off
	s_add_i32 s14, s11, 1
	v_add_co_u32_e64 v2, s[0:1], s10, v2
	v_addc_co_u32_e64 v3, s[0:1], v3, v5, s[0:1]
	s_cmp_gt_u32 s11, 30
	v_cmp_le_i32_e32 vcc, s12, v4
	s_cselect_b64 s[0:1], -1, 0
	s_or_b64 s[0:1], s[0:1], vcc
	s_and_b64 s[0:1], exec, s[0:1]
	v_add_u32_e32 v4, s13, v4
	s_mov_b32 s11, s14
	s_or_b64 s[4:5], s[0:1], s[4:5]
	s_waitcnt vmcnt(0)
	v_fmac_f32_e32 v1, v6, v6
	s_andn2_b64 exec, exec, s[4:5]
	s_cbranch_execnz .LBB181_2
; %bb.3:
	s_or_b64 exec, exec, s[4:5]
.LBB181_4:
	s_or_b64 exec, exec, s[8:9]
	v_and_b32_e32 v3, 63, v0
	v_cmp_gt_u32_e32 vcc, 64, v0
	v_lshlrev_b32_e32 v2, 2, v3
	s_and_saveexec_b64 s[0:1], vcc
	s_cbranch_execz .LBB181_6
; %bb.5:
	v_mov_b32_e32 v4, 0
	ds_write_b32 v2, v4
.LBB181_6:
	s_or_b64 exec, exec, s[0:1]
	v_mbcnt_lo_u32_b32 v4, -1, 0
	v_mbcnt_hi_u32_b32 v6, -1, v4
	v_and_b32_e32 v7, 63, v6
	v_cmp_gt_u32_e64 s[0:1], 32, v7
	v_cndmask_b32_e64 v4, 0, 1, s[0:1]
	v_lshlrev_b32_e32 v4, 5, v4
	v_add_lshl_u32 v4, v4, v6, 2
	ds_bpermute_b32 v4, v4, v1
	v_cmp_gt_u32_e64 s[0:1], 48, v7
	v_cndmask_b32_e64 v5, 0, 1, s[0:1]
	v_lshlrev_b32_e32 v5, 4, v5
	v_cmp_gt_u32_e64 s[0:1], 56, v7
	s_waitcnt lgkmcnt(0)
	v_add_f32_e32 v1, v1, v4
	v_add_lshl_u32 v4, v5, v6, 2
	ds_bpermute_b32 v4, v4, v1
	v_cndmask_b32_e64 v5, 0, 1, s[0:1]
	v_lshlrev_b32_e32 v5, 3, v5
	v_cmp_gt_u32_e64 s[0:1], 60, v7
	v_cndmask_b32_e64 v8, 0, 1, s[0:1]
	s_waitcnt lgkmcnt(0)
	v_add_f32_e32 v4, v1, v4
	v_add_lshl_u32 v1, v5, v6, 2
	ds_bpermute_b32 v5, v1, v4
	v_lshlrev_b32_e32 v8, 2, v8
	v_cmp_gt_u32_e64 s[0:1], 62, v7
	v_cndmask_b32_e64 v9, 0, 1, s[0:1]
	v_lshlrev_b32_e32 v9, 1, v9
	s_waitcnt lgkmcnt(0)
	v_add_f32_e32 v5, v4, v5
	v_add_lshl_u32 v4, v8, v6, 2
	ds_bpermute_b32 v8, v4, v5
	v_cmp_ne_u32_e64 s[0:1], 63, v7
	s_waitcnt lgkmcnt(0)
	s_barrier
	v_add_f32_e32 v8, v5, v8
	v_add_lshl_u32 v5, v9, v6, 2
	ds_bpermute_b32 v9, v5, v8
	v_addc_co_u32_e64 v6, s[0:1], 0, v6, s[0:1]
	v_lshlrev_b32_e32 v6, 2, v6
	v_cmp_eq_u32_e64 s[0:1], 0, v3
	s_waitcnt lgkmcnt(0)
	v_add_f32_e32 v7, v8, v9
	ds_bpermute_b32 v8, v6, v7
	s_and_saveexec_b64 s[4:5], s[0:1]
	s_cbranch_execz .LBB181_8
; %bb.7:
	s_waitcnt lgkmcnt(0)
	v_add_f32_e32 v3, v7, v8
	v_lshrrev_b32_e32 v7, 4, v0
	v_and_b32_e32 v7, 60, v7
	ds_write_b32 v7, v3
.LBB181_8:
	s_or_b64 exec, exec, s[4:5]
	v_cmp_gt_u32_e64 s[0:1], 16, v0
	v_mov_b32_e32 v3, 0
	s_waitcnt lgkmcnt(0)
	s_barrier
	s_and_saveexec_b64 s[4:5], s[0:1]
	s_cbranch_execnz .LBB181_12
; %bb.9:
	s_or_b64 exec, exec, s[4:5]
	s_and_saveexec_b64 s[0:1], vcc
	s_cbranch_execnz .LBB181_13
.LBB181_10:
	s_or_b64 exec, exec, s[0:1]
	v_cmp_eq_u32_e32 vcc, 0, v0
	s_and_saveexec_b64 s[0:1], vcc
	s_cbranch_execnz .LBB181_14
.LBB181_11:
	s_endpgm
.LBB181_12:
	ds_read_b32 v3, v2
	s_or_b64 exec, exec, s[4:5]
	s_and_saveexec_b64 s[0:1], vcc
	s_cbranch_execz .LBB181_10
.LBB181_13:
	s_waitcnt lgkmcnt(0)
	ds_bpermute_b32 v1, v1, v3
	s_waitcnt lgkmcnt(0)
	v_add_f32_e32 v1, v3, v1
	ds_bpermute_b32 v2, v4, v1
	s_waitcnt lgkmcnt(0)
	v_add_f32_e32 v1, v1, v2
	;; [unrolled: 3-line block ×4, first 2 shown]
	s_or_b64 exec, exec, s[0:1]
	v_cmp_eq_u32_e32 vcc, 0, v0
	s_and_saveexec_b64 s[0:1], vcc
	s_cbranch_execz .LBB181_11
.LBB181_14:
	s_lshl_b64 s[0:1], s[2:3], 2
	s_add_u32 s0, s6, s0
	s_addc_u32 s1, s7, s1
	v_mov_b32_e32 v0, 0
	s_waitcnt lgkmcnt(0)
	global_store_dword v0, v3, s[0:1]
	s_endpgm
	.section	.rodata,"a",@progbits
	.p2align	6, 0x0
	.amdhsa_kernel _ZL24rocblas_dot_kernel_magsqIiLb1ELi1024ELi32ELb0EfPKPKffEviT5_lT_liPT6_PT4_
		.amdhsa_group_segment_fixed_size 256
		.amdhsa_private_segment_fixed_size 0
		.amdhsa_kernarg_size 320
		.amdhsa_user_sgpr_count 6
		.amdhsa_user_sgpr_private_segment_buffer 1
		.amdhsa_user_sgpr_dispatch_ptr 0
		.amdhsa_user_sgpr_queue_ptr 0
		.amdhsa_user_sgpr_kernarg_segment_ptr 1
		.amdhsa_user_sgpr_dispatch_id 0
		.amdhsa_user_sgpr_flat_scratch_init 0
		.amdhsa_user_sgpr_kernarg_preload_length 0
		.amdhsa_user_sgpr_kernarg_preload_offset 0
		.amdhsa_user_sgpr_private_segment_size 0
		.amdhsa_uses_dynamic_stack 0
		.amdhsa_system_sgpr_private_segment_wavefront_offset 0
		.amdhsa_system_sgpr_workgroup_id_x 1
		.amdhsa_system_sgpr_workgroup_id_y 0
		.amdhsa_system_sgpr_workgroup_id_z 1
		.amdhsa_system_sgpr_workgroup_info 0
		.amdhsa_system_vgpr_workitem_id 0
		.amdhsa_next_free_vgpr 10
		.amdhsa_next_free_sgpr 20
		.amdhsa_accum_offset 12
		.amdhsa_reserve_vcc 1
		.amdhsa_reserve_flat_scratch 0
		.amdhsa_float_round_mode_32 0
		.amdhsa_float_round_mode_16_64 0
		.amdhsa_float_denorm_mode_32 3
		.amdhsa_float_denorm_mode_16_64 3
		.amdhsa_dx10_clamp 1
		.amdhsa_ieee_mode 1
		.amdhsa_fp16_overflow 0
		.amdhsa_tg_split 0
		.amdhsa_exception_fp_ieee_invalid_op 0
		.amdhsa_exception_fp_denorm_src 0
		.amdhsa_exception_fp_ieee_div_zero 0
		.amdhsa_exception_fp_ieee_overflow 0
		.amdhsa_exception_fp_ieee_underflow 0
		.amdhsa_exception_fp_ieee_inexact 0
		.amdhsa_exception_int_div_zero 0
	.end_amdhsa_kernel
	.section	.text._ZL24rocblas_dot_kernel_magsqIiLb1ELi1024ELi32ELb0EfPKPKffEviT5_lT_liPT6_PT4_,"axG",@progbits,_ZL24rocblas_dot_kernel_magsqIiLb1ELi1024ELi32ELb0EfPKPKffEviT5_lT_liPT6_PT4_,comdat
.Lfunc_end181:
	.size	_ZL24rocblas_dot_kernel_magsqIiLb1ELi1024ELi32ELb0EfPKPKffEviT5_lT_liPT6_PT4_, .Lfunc_end181-_ZL24rocblas_dot_kernel_magsqIiLb1ELi1024ELi32ELb0EfPKPKffEviT5_lT_liPT6_PT4_
                                        ; -- End function
	.section	.AMDGPU.csdata,"",@progbits
; Kernel info:
; codeLenInByte = 804
; NumSgprs: 24
; NumVgprs: 10
; NumAgprs: 0
; TotalNumVgprs: 10
; ScratchSize: 0
; MemoryBound: 0
; FloatMode: 240
; IeeeMode: 1
; LDSByteSize: 256 bytes/workgroup (compile time only)
; SGPRBlocks: 2
; VGPRBlocks: 1
; NumSGPRsForWavesPerEU: 24
; NumVGPRsForWavesPerEU: 10
; AccumOffset: 12
; Occupancy: 8
; WaveLimiterHint : 0
; COMPUTE_PGM_RSRC2:SCRATCH_EN: 0
; COMPUTE_PGM_RSRC2:USER_SGPR: 6
; COMPUTE_PGM_RSRC2:TRAP_HANDLER: 0
; COMPUTE_PGM_RSRC2:TGID_X_EN: 1
; COMPUTE_PGM_RSRC2:TGID_Y_EN: 0
; COMPUTE_PGM_RSRC2:TGID_Z_EN: 1
; COMPUTE_PGM_RSRC2:TIDIG_COMP_CNT: 0
; COMPUTE_PGM_RSRC3_GFX90A:ACCUM_OFFSET: 2
; COMPUTE_PGM_RSRC3_GFX90A:TG_SPLIT: 0
	.section	.text._ZL38rocblas_dot_kernel_gfx942_float_doubleIiLi1024EfPKPKffEviT2_lT_lS4_lS5_lPT3_PT1_,"axG",@progbits,_ZL38rocblas_dot_kernel_gfx942_float_doubleIiLi1024EfPKPKffEviT2_lT_lS4_lS5_lPT3_PT1_,comdat
	.globl	_ZL38rocblas_dot_kernel_gfx942_float_doubleIiLi1024EfPKPKffEviT2_lT_lS4_lS5_lPT3_PT1_ ; -- Begin function _ZL38rocblas_dot_kernel_gfx942_float_doubleIiLi1024EfPKPKffEviT2_lT_lS4_lS5_lPT3_PT1_
	.p2align	8
	.type	_ZL38rocblas_dot_kernel_gfx942_float_doubleIiLi1024EfPKPKffEviT2_lT_lS4_lS5_lPT3_PT1_,@function
_ZL38rocblas_dot_kernel_gfx942_float_doubleIiLi1024EfPKPKffEviT2_lT_lS4_lS5_lPT3_PT1_: ; @_ZL38rocblas_dot_kernel_gfx942_float_doubleIiLi1024EfPKPKffEviT2_lT_lS4_lS5_lPT3_PT1_
; %bb.0:
	s_endpgm
	.section	.rodata,"a",@progbits
	.p2align	6, 0x0
	.amdhsa_kernel _ZL38rocblas_dot_kernel_gfx942_float_doubleIiLi1024EfPKPKffEviT2_lT_lS4_lS5_lPT3_PT1_
		.amdhsa_group_segment_fixed_size 0
		.amdhsa_private_segment_fixed_size 0
		.amdhsa_kernarg_size 88
		.amdhsa_user_sgpr_count 6
		.amdhsa_user_sgpr_private_segment_buffer 1
		.amdhsa_user_sgpr_dispatch_ptr 0
		.amdhsa_user_sgpr_queue_ptr 0
		.amdhsa_user_sgpr_kernarg_segment_ptr 1
		.amdhsa_user_sgpr_dispatch_id 0
		.amdhsa_user_sgpr_flat_scratch_init 0
		.amdhsa_user_sgpr_kernarg_preload_length 0
		.amdhsa_user_sgpr_kernarg_preload_offset 0
		.amdhsa_user_sgpr_private_segment_size 0
		.amdhsa_uses_dynamic_stack 0
		.amdhsa_system_sgpr_private_segment_wavefront_offset 0
		.amdhsa_system_sgpr_workgroup_id_x 1
		.amdhsa_system_sgpr_workgroup_id_y 0
		.amdhsa_system_sgpr_workgroup_id_z 0
		.amdhsa_system_sgpr_workgroup_info 0
		.amdhsa_system_vgpr_workitem_id 0
		.amdhsa_next_free_vgpr 1
		.amdhsa_next_free_sgpr 0
		.amdhsa_accum_offset 4
		.amdhsa_reserve_vcc 0
		.amdhsa_reserve_flat_scratch 0
		.amdhsa_float_round_mode_32 0
		.amdhsa_float_round_mode_16_64 0
		.amdhsa_float_denorm_mode_32 3
		.amdhsa_float_denorm_mode_16_64 3
		.amdhsa_dx10_clamp 1
		.amdhsa_ieee_mode 1
		.amdhsa_fp16_overflow 0
		.amdhsa_tg_split 0
		.amdhsa_exception_fp_ieee_invalid_op 0
		.amdhsa_exception_fp_denorm_src 0
		.amdhsa_exception_fp_ieee_div_zero 0
		.amdhsa_exception_fp_ieee_overflow 0
		.amdhsa_exception_fp_ieee_underflow 0
		.amdhsa_exception_fp_ieee_inexact 0
		.amdhsa_exception_int_div_zero 0
	.end_amdhsa_kernel
	.section	.text._ZL38rocblas_dot_kernel_gfx942_float_doubleIiLi1024EfPKPKffEviT2_lT_lS4_lS5_lPT3_PT1_,"axG",@progbits,_ZL38rocblas_dot_kernel_gfx942_float_doubleIiLi1024EfPKPKffEviT2_lT_lS4_lS5_lPT3_PT1_,comdat
.Lfunc_end182:
	.size	_ZL38rocblas_dot_kernel_gfx942_float_doubleIiLi1024EfPKPKffEviT2_lT_lS4_lS5_lPT3_PT1_, .Lfunc_end182-_ZL38rocblas_dot_kernel_gfx942_float_doubleIiLi1024EfPKPKffEviT2_lT_lS4_lS5_lPT3_PT1_
                                        ; -- End function
	.section	.AMDGPU.csdata,"",@progbits
; Kernel info:
; codeLenInByte = 4
; NumSgprs: 4
; NumVgprs: 0
; NumAgprs: 0
; TotalNumVgprs: 0
; ScratchSize: 0
; MemoryBound: 0
; FloatMode: 240
; IeeeMode: 1
; LDSByteSize: 0 bytes/workgroup (compile time only)
; SGPRBlocks: 0
; VGPRBlocks: 0
; NumSGPRsForWavesPerEU: 4
; NumVGPRsForWavesPerEU: 1
; AccumOffset: 4
; Occupancy: 8
; WaveLimiterHint : 0
; COMPUTE_PGM_RSRC2:SCRATCH_EN: 0
; COMPUTE_PGM_RSRC2:USER_SGPR: 6
; COMPUTE_PGM_RSRC2:TRAP_HANDLER: 0
; COMPUTE_PGM_RSRC2:TGID_X_EN: 1
; COMPUTE_PGM_RSRC2:TGID_Y_EN: 0
; COMPUTE_PGM_RSRC2:TGID_Z_EN: 0
; COMPUTE_PGM_RSRC2:TIDIG_COMP_CNT: 0
; COMPUTE_PGM_RSRC3_GFX90A:ACCUM_OFFSET: 0
; COMPUTE_PGM_RSRC3_GFX90A:TG_SPLIT: 0
	.section	.text._ZL23rocblas_dot_kernel_inc1ILb0ELi512ELi4ELb0EfPKPKffEviT4_llS4_lliPT5_PT3_,"axG",@progbits,_ZL23rocblas_dot_kernel_inc1ILb0ELi512ELi4ELb0EfPKPKffEviT4_llS4_lliPT5_PT3_,comdat
	.globl	_ZL23rocblas_dot_kernel_inc1ILb0ELi512ELi4ELb0EfPKPKffEviT4_llS4_lliPT5_PT3_ ; -- Begin function _ZL23rocblas_dot_kernel_inc1ILb0ELi512ELi4ELb0EfPKPKffEviT4_llS4_lliPT5_PT3_
	.p2align	8
	.type	_ZL23rocblas_dot_kernel_inc1ILb0ELi512ELi4ELb0EfPKPKffEviT4_llS4_lliPT5_PT3_,@function
_ZL23rocblas_dot_kernel_inc1ILb0ELi512ELi4ELb0EfPKPKffEviT4_llS4_lliPT5_PT3_: ; @_ZL23rocblas_dot_kernel_inc1ILb0ELi512ELi4ELb0EfPKPKffEviT4_llS4_lliPT5_PT3_
; %bb.0:
	s_mov_b32 s2, s7
	s_load_dword s18, s[4:5], 0x50
	s_load_dword s7, s[4:5], 0x0
	s_load_dwordx4 s[8:11], s[4:5], 0x40
	v_lshl_or_b32 v4, s6, 9, v0
	s_mov_b32 s3, 0
	v_mov_b32_e32 v1, 0
	s_waitcnt lgkmcnt(0)
	v_cmp_gt_i32_e32 vcc, s7, v4
	s_and_saveexec_b64 s[12:13], vcc
	s_cbranch_execz .LBB183_4
; %bb.1:
	s_load_dwordx4 s[20:23], s[4:5], 0x8
	s_load_dwordx4 s[24:27], s[4:5], 0x20
	s_lshl_b64 s[0:1], s[2:3], 3
	v_ashrrev_i32_e32 v5, 31, v4
	v_lshlrev_b64 v[2:3], 2, v[4:5]
	s_waitcnt lgkmcnt(0)
	s_add_u32 s4, s20, s0
	s_addc_u32 s5, s21, s1
	s_load_dwordx2 s[14:15], s[4:5], 0x0
	s_lshl_b64 s[16:17], s[22:23], 2
	s_mov_b64 s[4:5], 0
	v_mov_b32_e32 v1, 0
	s_waitcnt lgkmcnt(0)
	s_add_u32 s19, s14, s16
	s_addc_u32 s14, s15, s17
	s_add_u32 s0, s24, s0
	s_addc_u32 s1, s25, s1
	s_load_dwordx2 s[0:1], s[0:1], 0x0
	v_mov_b32_e32 v5, s14
	s_lshl_b64 s[14:15], s[26:27], 2
	s_waitcnt lgkmcnt(0)
	s_add_u32 s20, s0, s14
	s_addc_u32 s0, s1, s15
	s_lshl_b32 s14, s18, 9
	s_ashr_i32 s15, s14, 31
	s_lshl_b64 s[16:17], s[14:15], 2
	v_add_u32_e32 v4, s14, v4
	v_mov_b32_e32 v6, s0
	v_mov_b32_e32 v7, s17
	s_mov_b32 s15, s3
.LBB183_2:                              ; =>This Inner Loop Header: Depth=1
	v_add_co_u32_e32 v8, vcc, s20, v2
	v_addc_co_u32_e32 v9, vcc, v6, v3, vcc
	v_add_co_u32_e32 v10, vcc, s19, v2
	v_addc_co_u32_e32 v11, vcc, v5, v3, vcc
	global_load_dword v12, v[8:9], off
	global_load_dword v13, v[10:11], off
	s_add_i32 s17, s15, 1
	v_add_co_u32_e64 v2, s[0:1], s16, v2
	v_addc_co_u32_e64 v3, s[0:1], v3, v7, s[0:1]
	s_cmp_gt_u32 s15, 2
	v_cmp_le_i32_e32 vcc, s7, v4
	s_cselect_b64 s[0:1], -1, 0
	s_or_b64 s[0:1], s[0:1], vcc
	s_and_b64 s[0:1], exec, s[0:1]
	v_add_u32_e32 v4, s14, v4
	s_mov_b32 s15, s17
	s_or_b64 s[4:5], s[0:1], s[4:5]
	s_waitcnt vmcnt(0)
	v_fmac_f32_e32 v1, v12, v13
	s_andn2_b64 exec, exec, s[4:5]
	s_cbranch_execnz .LBB183_2
; %bb.3:
	s_or_b64 exec, exec, s[4:5]
.LBB183_4:
	s_or_b64 exec, exec, s[12:13]
	v_and_b32_e32 v3, 63, v0
	v_cmp_gt_u32_e32 vcc, 64, v0
	v_lshlrev_b32_e32 v2, 2, v3
	s_and_saveexec_b64 s[0:1], vcc
	s_cbranch_execz .LBB183_6
; %bb.5:
	v_mov_b32_e32 v4, 0
	ds_write_b32 v2, v4
.LBB183_6:
	s_or_b64 exec, exec, s[0:1]
	v_mbcnt_lo_u32_b32 v4, -1, 0
	v_mbcnt_hi_u32_b32 v6, -1, v4
	v_and_b32_e32 v7, 63, v6
	v_cmp_gt_u32_e64 s[0:1], 32, v7
	v_cndmask_b32_e64 v4, 0, 1, s[0:1]
	v_lshlrev_b32_e32 v4, 5, v4
	v_add_lshl_u32 v4, v4, v6, 2
	ds_bpermute_b32 v4, v4, v1
	v_cmp_gt_u32_e64 s[0:1], 48, v7
	v_cndmask_b32_e64 v5, 0, 1, s[0:1]
	v_lshlrev_b32_e32 v5, 4, v5
	v_cmp_gt_u32_e64 s[0:1], 56, v7
	s_waitcnt lgkmcnt(0)
	v_add_f32_e32 v1, v1, v4
	v_add_lshl_u32 v4, v5, v6, 2
	ds_bpermute_b32 v4, v4, v1
	v_cndmask_b32_e64 v5, 0, 1, s[0:1]
	v_lshlrev_b32_e32 v5, 3, v5
	v_cmp_gt_u32_e64 s[0:1], 60, v7
	s_waitcnt lgkmcnt(0)
	v_add_f32_e32 v1, v1, v4
	v_add_lshl_u32 v4, v5, v6, 2
	ds_bpermute_b32 v4, v4, v1
	v_cndmask_b32_e64 v5, 0, 1, s[0:1]
	v_lshlrev_b32_e32 v5, 2, v5
	v_cmp_gt_u32_e64 s[0:1], 62, v7
	v_cndmask_b32_e64 v8, 0, 1, s[0:1]
	s_waitcnt lgkmcnt(0)
	v_add_f32_e32 v1, v1, v4
	v_add_lshl_u32 v4, v5, v6, 2
	ds_bpermute_b32 v5, v4, v1
	v_lshlrev_b32_e32 v8, 1, v8
	v_cmp_ne_u32_e64 s[0:1], 63, v7
	s_barrier
	s_waitcnt lgkmcnt(0)
	v_add_f32_e32 v1, v1, v5
	v_add_lshl_u32 v5, v8, v6, 2
	ds_bpermute_b32 v8, v5, v1
	v_addc_co_u32_e64 v6, s[0:1], 0, v6, s[0:1]
	v_lshlrev_b32_e32 v6, 2, v6
	v_cmp_eq_u32_e64 s[0:1], 0, v3
	s_waitcnt lgkmcnt(0)
	v_add_f32_e32 v1, v1, v8
	ds_bpermute_b32 v7, v6, v1
	s_and_saveexec_b64 s[4:5], s[0:1]
	s_cbranch_execz .LBB183_8
; %bb.7:
	v_lshrrev_b32_e32 v3, 4, v0
	s_waitcnt lgkmcnt(0)
	v_add_f32_e32 v1, v1, v7
	v_and_b32_e32 v3, 28, v3
	ds_write_b32 v3, v1
.LBB183_8:
	s_or_b64 exec, exec, s[4:5]
	v_cmp_gt_u32_e64 s[0:1], 8, v0
	v_mov_b32_e32 v1, 0
	s_waitcnt lgkmcnt(0)
	s_barrier
	s_and_saveexec_b64 s[4:5], s[0:1]
	s_cbranch_execnz .LBB183_12
; %bb.9:
	s_or_b64 exec, exec, s[4:5]
	s_and_saveexec_b64 s[0:1], vcc
	s_cbranch_execnz .LBB183_13
.LBB183_10:
	s_or_b64 exec, exec, s[0:1]
	v_cmp_eq_u32_e32 vcc, 0, v0
	s_and_saveexec_b64 s[0:1], vcc
	s_cbranch_execnz .LBB183_14
.LBB183_11:
	s_endpgm
.LBB183_12:
	ds_read_b32 v1, v2
	s_or_b64 exec, exec, s[4:5]
	s_and_saveexec_b64 s[0:1], vcc
	s_cbranch_execz .LBB183_10
.LBB183_13:
	s_waitcnt lgkmcnt(0)
	ds_bpermute_b32 v2, v4, v1
	s_waitcnt lgkmcnt(0)
	v_add_f32_e32 v1, v1, v2
	ds_bpermute_b32 v2, v5, v1
	s_waitcnt lgkmcnt(0)
	v_add_f32_e32 v1, v1, v2
	;; [unrolled: 3-line block ×3, first 2 shown]
	s_or_b64 exec, exec, s[0:1]
	v_cmp_eq_u32_e32 vcc, 0, v0
	s_and_saveexec_b64 s[0:1], vcc
	s_cbranch_execz .LBB183_11
.LBB183_14:
	s_cmp_lg_u32 s18, 1
	s_cbranch_scc0 .LBB183_16
; %bb.15:
	s_mul_hi_u32 s1, s18, s2
	s_mul_i32 s0, s18, s2
	s_lshl_b64 s[0:1], s[0:1], 2
	s_mov_b32 s7, 0
	s_add_u32 s4, s8, s0
	s_addc_u32 s5, s9, s1
	s_lshl_b64 s[0:1], s[6:7], 2
	s_add_u32 s0, s4, s0
	s_addc_u32 s1, s5, s1
	s_cbranch_execz .LBB183_17
	s_branch .LBB183_18
.LBB183_16:
                                        ; implicit-def: $sgpr0_sgpr1
.LBB183_17:
	s_lshl_b64 s[0:1], s[2:3], 2
	s_add_u32 s0, s10, s0
	s_addc_u32 s1, s11, s1
.LBB183_18:
	v_mov_b32_e32 v0, 0
	s_waitcnt lgkmcnt(0)
	global_store_dword v0, v1, s[0:1]
	s_endpgm
	.section	.rodata,"a",@progbits
	.p2align	6, 0x0
	.amdhsa_kernel _ZL23rocblas_dot_kernel_inc1ILb0ELi512ELi4ELb0EfPKPKffEviT4_llS4_lliPT5_PT3_
		.amdhsa_group_segment_fixed_size 256
		.amdhsa_private_segment_fixed_size 0
		.amdhsa_kernarg_size 336
		.amdhsa_user_sgpr_count 6
		.amdhsa_user_sgpr_private_segment_buffer 1
		.amdhsa_user_sgpr_dispatch_ptr 0
		.amdhsa_user_sgpr_queue_ptr 0
		.amdhsa_user_sgpr_kernarg_segment_ptr 1
		.amdhsa_user_sgpr_dispatch_id 0
		.amdhsa_user_sgpr_flat_scratch_init 0
		.amdhsa_user_sgpr_kernarg_preload_length 0
		.amdhsa_user_sgpr_kernarg_preload_offset 0
		.amdhsa_user_sgpr_private_segment_size 0
		.amdhsa_uses_dynamic_stack 0
		.amdhsa_system_sgpr_private_segment_wavefront_offset 0
		.amdhsa_system_sgpr_workgroup_id_x 1
		.amdhsa_system_sgpr_workgroup_id_y 0
		.amdhsa_system_sgpr_workgroup_id_z 1
		.amdhsa_system_sgpr_workgroup_info 0
		.amdhsa_system_vgpr_workitem_id 0
		.amdhsa_next_free_vgpr 14
		.amdhsa_next_free_sgpr 28
		.amdhsa_accum_offset 16
		.amdhsa_reserve_vcc 1
		.amdhsa_reserve_flat_scratch 0
		.amdhsa_float_round_mode_32 0
		.amdhsa_float_round_mode_16_64 0
		.amdhsa_float_denorm_mode_32 3
		.amdhsa_float_denorm_mode_16_64 3
		.amdhsa_dx10_clamp 1
		.amdhsa_ieee_mode 1
		.amdhsa_fp16_overflow 0
		.amdhsa_tg_split 0
		.amdhsa_exception_fp_ieee_invalid_op 0
		.amdhsa_exception_fp_denorm_src 0
		.amdhsa_exception_fp_ieee_div_zero 0
		.amdhsa_exception_fp_ieee_overflow 0
		.amdhsa_exception_fp_ieee_underflow 0
		.amdhsa_exception_fp_ieee_inexact 0
		.amdhsa_exception_int_div_zero 0
	.end_amdhsa_kernel
	.section	.text._ZL23rocblas_dot_kernel_inc1ILb0ELi512ELi4ELb0EfPKPKffEviT4_llS4_lliPT5_PT3_,"axG",@progbits,_ZL23rocblas_dot_kernel_inc1ILb0ELi512ELi4ELb0EfPKPKffEviT4_llS4_lliPT5_PT3_,comdat
.Lfunc_end183:
	.size	_ZL23rocblas_dot_kernel_inc1ILb0ELi512ELi4ELb0EfPKPKffEviT4_llS4_lliPT5_PT3_, .Lfunc_end183-_ZL23rocblas_dot_kernel_inc1ILb0ELi512ELi4ELb0EfPKPKffEviT4_llS4_lliPT5_PT3_
                                        ; -- End function
	.section	.AMDGPU.csdata,"",@progbits
; Kernel info:
; codeLenInByte = 892
; NumSgprs: 32
; NumVgprs: 14
; NumAgprs: 0
; TotalNumVgprs: 14
; ScratchSize: 0
; MemoryBound: 0
; FloatMode: 240
; IeeeMode: 1
; LDSByteSize: 256 bytes/workgroup (compile time only)
; SGPRBlocks: 3
; VGPRBlocks: 1
; NumSGPRsForWavesPerEU: 32
; NumVGPRsForWavesPerEU: 14
; AccumOffset: 16
; Occupancy: 8
; WaveLimiterHint : 1
; COMPUTE_PGM_RSRC2:SCRATCH_EN: 0
; COMPUTE_PGM_RSRC2:USER_SGPR: 6
; COMPUTE_PGM_RSRC2:TRAP_HANDLER: 0
; COMPUTE_PGM_RSRC2:TGID_X_EN: 1
; COMPUTE_PGM_RSRC2:TGID_Y_EN: 0
; COMPUTE_PGM_RSRC2:TGID_Z_EN: 1
; COMPUTE_PGM_RSRC2:TIDIG_COMP_CNT: 0
; COMPUTE_PGM_RSRC3_GFX90A:ACCUM_OFFSET: 3
; COMPUTE_PGM_RSRC3_GFX90A:TG_SPLIT: 0
	.section	.text._ZL18rocblas_dot_kernelIiLb0ELi512ELi4ELb0EfPKPKffEviT5_lT_lS4_lS5_liPT6_PT4_,"axG",@progbits,_ZL18rocblas_dot_kernelIiLb0ELi512ELi4ELb0EfPKPKffEviT5_lT_lS4_lS5_liPT6_PT4_,comdat
	.globl	_ZL18rocblas_dot_kernelIiLb0ELi512ELi4ELb0EfPKPKffEviT5_lT_lS4_lS5_liPT6_PT4_ ; -- Begin function _ZL18rocblas_dot_kernelIiLb0ELi512ELi4ELb0EfPKPKffEviT5_lT_lS4_lS5_liPT6_PT4_
	.p2align	8
	.type	_ZL18rocblas_dot_kernelIiLb0ELi512ELi4ELb0EfPKPKffEviT5_lT_lS4_lS5_liPT6_PT4_,@function
_ZL18rocblas_dot_kernelIiLb0ELi512ELi4ELb0EfPKPKffEviT5_lT_lS4_lS5_liPT6_PT4_: ; @_ZL18rocblas_dot_kernelIiLb0ELi512ELi4ELb0EfPKPKffEviT5_lT_lS4_lS5_liPT6_PT4_
; %bb.0:
	s_mov_b32 s2, s7
	s_load_dword s18, s[4:5], 0x60
	s_load_dword s7, s[4:5], 0x0
	s_load_dwordx4 s[8:11], s[4:5], 0x50
	v_lshl_or_b32 v4, s6, 9, v0
	s_mov_b32 s3, 0
	v_mov_b32_e32 v1, 0
	s_waitcnt lgkmcnt(0)
	v_cmp_gt_i32_e32 vcc, s7, v4
	s_and_saveexec_b64 s[12:13], vcc
	s_cbranch_execz .LBB184_4
; %bb.1:
	s_load_dwordx4 s[20:23], s[4:5], 0x8
	s_load_dword s16, s[4:5], 0x18
	s_load_dwordx4 s[24:27], s[4:5], 0x28
	s_load_dword s17, s[4:5], 0x38
	s_lshl_b64 s[0:1], s[2:3], 3
	s_waitcnt lgkmcnt(0)
	s_add_u32 s4, s20, s0
	s_addc_u32 s5, s21, s1
	s_load_dwordx2 s[4:5], s[4:5], 0x0
	s_add_u32 s0, s24, s0
	s_addc_u32 s1, s25, s1
	v_mad_i64_i32 v[2:3], s[14:15], s16, v4, 0
	s_load_dwordx2 s[0:1], s[0:1], 0x0
	s_lshl_b32 s19, s18, 9
	s_lshl_b64 s[14:15], s[22:23], 2
	s_waitcnt lgkmcnt(0)
	s_add_u32 s4, s4, s14
	v_lshlrev_b64 v[2:3], 2, v[2:3]
	s_addc_u32 s5, s5, s15
	v_add_u32_e32 v6, s19, v4
	v_mov_b32_e32 v1, s5
	v_add_co_u32_e32 v2, vcc, s4, v2
	s_mul_hi_i32 s5, s16, s19
	s_mul_i32 s4, s16, s19
	v_mad_i64_i32 v[4:5], s[14:15], s17, v4, 0
	s_lshl_b64 s[4:5], s[4:5], 2
	s_lshl_b64 s[14:15], s[26:27], 2
	s_add_u32 s0, s0, s14
	v_addc_co_u32_e32 v3, vcc, v1, v3, vcc
	v_lshlrev_b64 v[4:5], 2, v[4:5]
	s_addc_u32 s1, s1, s15
	v_mov_b32_e32 v1, s1
	v_add_co_u32_e32 v4, vcc, s0, v4
	s_mul_hi_i32 s1, s17, s19
	s_mul_i32 s0, s17, s19
	s_lshl_b64 s[16:17], s[0:1], 2
	v_addc_co_u32_e32 v5, vcc, v1, v5, vcc
	s_mov_b64 s[14:15], 0
	v_mov_b32_e32 v1, 0
	v_mov_b32_e32 v7, s5
	;; [unrolled: 1-line block ×3, first 2 shown]
	s_mov_b32 s5, s3
.LBB184_2:                              ; =>This Inner Loop Header: Depth=1
	global_load_dword v9, v[4:5], off
	global_load_dword v10, v[2:3], off
	v_add_co_u32_e64 v2, s[0:1], s4, v2
	v_addc_co_u32_e64 v3, s[0:1], v3, v7, s[0:1]
	s_add_i32 s17, s5, 1
	v_add_co_u32_e64 v4, s[0:1], s16, v4
	v_addc_co_u32_e64 v5, s[0:1], v5, v8, s[0:1]
	s_cmp_gt_u32 s5, 2
	v_cmp_le_i32_e32 vcc, s7, v6
	s_cselect_b64 s[0:1], -1, 0
	s_or_b64 s[0:1], s[0:1], vcc
	s_and_b64 s[0:1], exec, s[0:1]
	v_add_u32_e32 v6, s19, v6
	s_mov_b32 s5, s17
	s_or_b64 s[14:15], s[0:1], s[14:15]
	s_waitcnt vmcnt(0)
	v_fmac_f32_e32 v1, v9, v10
	s_andn2_b64 exec, exec, s[14:15]
	s_cbranch_execnz .LBB184_2
; %bb.3:
	s_or_b64 exec, exec, s[14:15]
.LBB184_4:
	s_or_b64 exec, exec, s[12:13]
	v_and_b32_e32 v3, 63, v0
	v_cmp_gt_u32_e32 vcc, 64, v0
	v_lshlrev_b32_e32 v2, 2, v3
	s_and_saveexec_b64 s[0:1], vcc
	s_cbranch_execz .LBB184_6
; %bb.5:
	v_mov_b32_e32 v4, 0
	ds_write_b32 v2, v4
.LBB184_6:
	s_or_b64 exec, exec, s[0:1]
	v_mbcnt_lo_u32_b32 v4, -1, 0
	v_mbcnt_hi_u32_b32 v6, -1, v4
	v_and_b32_e32 v7, 63, v6
	v_cmp_gt_u32_e64 s[0:1], 32, v7
	v_cndmask_b32_e64 v4, 0, 1, s[0:1]
	v_lshlrev_b32_e32 v4, 5, v4
	v_add_lshl_u32 v4, v4, v6, 2
	ds_bpermute_b32 v4, v4, v1
	v_cmp_gt_u32_e64 s[0:1], 48, v7
	v_cndmask_b32_e64 v5, 0, 1, s[0:1]
	v_lshlrev_b32_e32 v5, 4, v5
	v_cmp_gt_u32_e64 s[0:1], 56, v7
	s_waitcnt lgkmcnt(0)
	v_add_f32_e32 v1, v1, v4
	v_add_lshl_u32 v4, v5, v6, 2
	ds_bpermute_b32 v4, v4, v1
	v_cndmask_b32_e64 v5, 0, 1, s[0:1]
	v_lshlrev_b32_e32 v5, 3, v5
	v_cmp_gt_u32_e64 s[0:1], 60, v7
	s_waitcnt lgkmcnt(0)
	v_add_f32_e32 v1, v1, v4
	v_add_lshl_u32 v4, v5, v6, 2
	ds_bpermute_b32 v4, v4, v1
	v_cndmask_b32_e64 v5, 0, 1, s[0:1]
	v_lshlrev_b32_e32 v5, 2, v5
	v_cmp_gt_u32_e64 s[0:1], 62, v7
	v_cndmask_b32_e64 v8, 0, 1, s[0:1]
	s_waitcnt lgkmcnt(0)
	v_add_f32_e32 v1, v1, v4
	v_add_lshl_u32 v4, v5, v6, 2
	ds_bpermute_b32 v5, v4, v1
	v_lshlrev_b32_e32 v8, 1, v8
	v_cmp_ne_u32_e64 s[0:1], 63, v7
	s_barrier
	s_waitcnt lgkmcnt(0)
	v_add_f32_e32 v1, v1, v5
	v_add_lshl_u32 v5, v8, v6, 2
	ds_bpermute_b32 v8, v5, v1
	v_addc_co_u32_e64 v6, s[0:1], 0, v6, s[0:1]
	v_lshlrev_b32_e32 v6, 2, v6
	v_cmp_eq_u32_e64 s[0:1], 0, v3
	s_waitcnt lgkmcnt(0)
	v_add_f32_e32 v1, v1, v8
	ds_bpermute_b32 v7, v6, v1
	s_and_saveexec_b64 s[4:5], s[0:1]
	s_cbranch_execz .LBB184_8
; %bb.7:
	v_lshrrev_b32_e32 v3, 4, v0
	s_waitcnt lgkmcnt(0)
	v_add_f32_e32 v1, v1, v7
	v_and_b32_e32 v3, 28, v3
	ds_write_b32 v3, v1
.LBB184_8:
	s_or_b64 exec, exec, s[4:5]
	v_cmp_gt_u32_e64 s[0:1], 8, v0
	v_mov_b32_e32 v1, 0
	s_waitcnt lgkmcnt(0)
	s_barrier
	s_and_saveexec_b64 s[4:5], s[0:1]
	s_cbranch_execnz .LBB184_12
; %bb.9:
	s_or_b64 exec, exec, s[4:5]
	s_and_saveexec_b64 s[0:1], vcc
	s_cbranch_execnz .LBB184_13
.LBB184_10:
	s_or_b64 exec, exec, s[0:1]
	v_cmp_eq_u32_e32 vcc, 0, v0
	s_and_saveexec_b64 s[0:1], vcc
	s_cbranch_execnz .LBB184_14
.LBB184_11:
	s_endpgm
.LBB184_12:
	ds_read_b32 v1, v2
	s_or_b64 exec, exec, s[4:5]
	s_and_saveexec_b64 s[0:1], vcc
	s_cbranch_execz .LBB184_10
.LBB184_13:
	s_waitcnt lgkmcnt(0)
	ds_bpermute_b32 v2, v4, v1
	s_waitcnt lgkmcnt(0)
	v_add_f32_e32 v1, v1, v2
	ds_bpermute_b32 v2, v5, v1
	s_waitcnt lgkmcnt(0)
	v_add_f32_e32 v1, v1, v2
	ds_bpermute_b32 v2, v6, v1
	s_waitcnt lgkmcnt(0)
	v_add_f32_e32 v1, v1, v2
	s_or_b64 exec, exec, s[0:1]
	v_cmp_eq_u32_e32 vcc, 0, v0
	s_and_saveexec_b64 s[0:1], vcc
	s_cbranch_execz .LBB184_11
.LBB184_14:
	s_cmp_lg_u32 s18, 1
	s_cbranch_scc0 .LBB184_16
; %bb.15:
	s_mul_hi_u32 s1, s18, s2
	s_mul_i32 s0, s18, s2
	s_lshl_b64 s[0:1], s[0:1], 2
	s_mov_b32 s7, 0
	s_add_u32 s4, s8, s0
	s_addc_u32 s5, s9, s1
	s_lshl_b64 s[0:1], s[6:7], 2
	s_add_u32 s0, s4, s0
	s_addc_u32 s1, s5, s1
	s_cbranch_execz .LBB184_17
	s_branch .LBB184_18
.LBB184_16:
                                        ; implicit-def: $sgpr0_sgpr1
.LBB184_17:
	s_lshl_b64 s[0:1], s[2:3], 2
	s_add_u32 s0, s10, s0
	s_addc_u32 s1, s11, s1
.LBB184_18:
	v_mov_b32_e32 v0, 0
	s_waitcnt lgkmcnt(0)
	global_store_dword v0, v1, s[0:1]
	s_endpgm
	.section	.rodata,"a",@progbits
	.p2align	6, 0x0
	.amdhsa_kernel _ZL18rocblas_dot_kernelIiLb0ELi512ELi4ELb0EfPKPKffEviT5_lT_lS4_lS5_liPT6_PT4_
		.amdhsa_group_segment_fixed_size 256
		.amdhsa_private_segment_fixed_size 0
		.amdhsa_kernarg_size 352
		.amdhsa_user_sgpr_count 6
		.amdhsa_user_sgpr_private_segment_buffer 1
		.amdhsa_user_sgpr_dispatch_ptr 0
		.amdhsa_user_sgpr_queue_ptr 0
		.amdhsa_user_sgpr_kernarg_segment_ptr 1
		.amdhsa_user_sgpr_dispatch_id 0
		.amdhsa_user_sgpr_flat_scratch_init 0
		.amdhsa_user_sgpr_kernarg_preload_length 0
		.amdhsa_user_sgpr_kernarg_preload_offset 0
		.amdhsa_user_sgpr_private_segment_size 0
		.amdhsa_uses_dynamic_stack 0
		.amdhsa_system_sgpr_private_segment_wavefront_offset 0
		.amdhsa_system_sgpr_workgroup_id_x 1
		.amdhsa_system_sgpr_workgroup_id_y 0
		.amdhsa_system_sgpr_workgroup_id_z 1
		.amdhsa_system_sgpr_workgroup_info 0
		.amdhsa_system_vgpr_workitem_id 0
		.amdhsa_next_free_vgpr 11
		.amdhsa_next_free_sgpr 28
		.amdhsa_accum_offset 12
		.amdhsa_reserve_vcc 1
		.amdhsa_reserve_flat_scratch 0
		.amdhsa_float_round_mode_32 0
		.amdhsa_float_round_mode_16_64 0
		.amdhsa_float_denorm_mode_32 3
		.amdhsa_float_denorm_mode_16_64 3
		.amdhsa_dx10_clamp 1
		.amdhsa_ieee_mode 1
		.amdhsa_fp16_overflow 0
		.amdhsa_tg_split 0
		.amdhsa_exception_fp_ieee_invalid_op 0
		.amdhsa_exception_fp_denorm_src 0
		.amdhsa_exception_fp_ieee_div_zero 0
		.amdhsa_exception_fp_ieee_overflow 0
		.amdhsa_exception_fp_ieee_underflow 0
		.amdhsa_exception_fp_ieee_inexact 0
		.amdhsa_exception_int_div_zero 0
	.end_amdhsa_kernel
	.section	.text._ZL18rocblas_dot_kernelIiLb0ELi512ELi4ELb0EfPKPKffEviT5_lT_lS4_lS5_liPT6_PT4_,"axG",@progbits,_ZL18rocblas_dot_kernelIiLb0ELi512ELi4ELb0EfPKPKffEviT5_lT_lS4_lS5_liPT6_PT4_,comdat
.Lfunc_end184:
	.size	_ZL18rocblas_dot_kernelIiLb0ELi512ELi4ELb0EfPKPKffEviT5_lT_lS4_lS5_liPT6_PT4_, .Lfunc_end184-_ZL18rocblas_dot_kernelIiLb0ELi512ELi4ELb0EfPKPKffEviT5_lT_lS4_lS5_liPT6_PT4_
                                        ; -- End function
	.section	.AMDGPU.csdata,"",@progbits
; Kernel info:
; codeLenInByte = 960
; NumSgprs: 32
; NumVgprs: 11
; NumAgprs: 0
; TotalNumVgprs: 11
; ScratchSize: 0
; MemoryBound: 0
; FloatMode: 240
; IeeeMode: 1
; LDSByteSize: 256 bytes/workgroup (compile time only)
; SGPRBlocks: 3
; VGPRBlocks: 1
; NumSGPRsForWavesPerEU: 32
; NumVGPRsForWavesPerEU: 11
; AccumOffset: 12
; Occupancy: 8
; WaveLimiterHint : 0
; COMPUTE_PGM_RSRC2:SCRATCH_EN: 0
; COMPUTE_PGM_RSRC2:USER_SGPR: 6
; COMPUTE_PGM_RSRC2:TRAP_HANDLER: 0
; COMPUTE_PGM_RSRC2:TGID_X_EN: 1
; COMPUTE_PGM_RSRC2:TGID_Y_EN: 0
; COMPUTE_PGM_RSRC2:TGID_Z_EN: 1
; COMPUTE_PGM_RSRC2:TIDIG_COMP_CNT: 0
; COMPUTE_PGM_RSRC3_GFX90A:ACCUM_OFFSET: 2
; COMPUTE_PGM_RSRC3_GFX90A:TG_SPLIT: 0
	.section	.text._ZL24rocblas_dot_kernel_magsqIiLb0ELi512ELi4ELb0EfPKPKffEviT5_lT_liPT6_PT4_,"axG",@progbits,_ZL24rocblas_dot_kernel_magsqIiLb0ELi512ELi4ELb0EfPKPKffEviT5_lT_liPT6_PT4_,comdat
	.globl	_ZL24rocblas_dot_kernel_magsqIiLb0ELi512ELi4ELb0EfPKPKffEviT5_lT_liPT6_PT4_ ; -- Begin function _ZL24rocblas_dot_kernel_magsqIiLb0ELi512ELi4ELb0EfPKPKffEviT5_lT_liPT6_PT4_
	.p2align	8
	.type	_ZL24rocblas_dot_kernel_magsqIiLb0ELi512ELi4ELb0EfPKPKffEviT5_lT_liPT6_PT4_,@function
_ZL24rocblas_dot_kernel_magsqIiLb0ELi512ELi4ELb0EfPKPKffEviT5_lT_liPT6_PT4_: ; @_ZL24rocblas_dot_kernel_magsqIiLb0ELi512ELi4ELb0EfPKPKffEviT5_lT_liPT6_PT4_
; %bb.0:
	s_mov_b32 s2, s7
	s_load_dword s7, s[4:5], 0x0
	s_load_dwordx4 s[8:11], s[4:5], 0x30
	s_load_dword s16, s[4:5], 0x40
	v_lshl_or_b32 v2, s6, 9, v0
	s_mov_b32 s3, 0
	s_waitcnt lgkmcnt(0)
	v_cmp_gt_i32_e32 vcc, s7, v2
	v_mov_b32_e32 v1, 0
	s_and_saveexec_b64 s[12:13], vcc
	s_cbranch_execz .LBB185_4
; %bb.1:
	s_load_dwordx4 s[20:23], s[4:5], 0x8
	s_load_dword s14, s[4:5], 0x18
	s_lshl_b64 s[0:1], s[2:3], 3
	s_waitcnt lgkmcnt(0)
	s_add_u32 s0, s20, s0
	s_addc_u32 s1, s21, s1
	s_load_dwordx2 s[0:1], s[0:1], 0x0
	v_mad_i64_i32 v[4:5], s[4:5], s14, v2, 0
	s_lshl_b32 s17, s16, 9
	s_lshl_b64 s[4:5], s[22:23], 2
	s_waitcnt lgkmcnt(0)
	s_add_u32 s0, s0, s4
	v_lshlrev_b64 v[6:7], 2, v[4:5]
	s_addc_u32 s1, s1, s5
	v_add_u32_e32 v4, s17, v2
	v_mov_b32_e32 v1, s1
	v_add_co_u32_e32 v2, vcc, s0, v6
	s_mul_hi_i32 s1, s14, s17
	s_mul_i32 s0, s14, s17
	s_lshl_b64 s[14:15], s[0:1], 2
	v_addc_co_u32_e32 v3, vcc, v1, v7, vcc
	s_mov_b64 s[4:5], 0
	v_mov_b32_e32 v1, 0
	v_mov_b32_e32 v5, s15
	s_mov_b32 s15, s3
.LBB185_2:                              ; =>This Inner Loop Header: Depth=1
	global_load_dword v6, v[2:3], off
	s_add_i32 s18, s15, 1
	v_add_co_u32_e64 v2, s[0:1], s14, v2
	v_addc_co_u32_e64 v3, s[0:1], v3, v5, s[0:1]
	s_cmp_gt_u32 s15, 2
	v_cmp_le_i32_e32 vcc, s7, v4
	s_cselect_b64 s[0:1], -1, 0
	s_or_b64 s[0:1], s[0:1], vcc
	s_and_b64 s[0:1], exec, s[0:1]
	v_add_u32_e32 v4, s17, v4
	s_mov_b32 s15, s18
	s_or_b64 s[4:5], s[0:1], s[4:5]
	s_waitcnt vmcnt(0)
	v_fmac_f32_e32 v1, v6, v6
	s_andn2_b64 exec, exec, s[4:5]
	s_cbranch_execnz .LBB185_2
; %bb.3:
	s_or_b64 exec, exec, s[4:5]
.LBB185_4:
	s_or_b64 exec, exec, s[12:13]
	v_and_b32_e32 v3, 63, v0
	v_cmp_gt_u32_e32 vcc, 64, v0
	v_lshlrev_b32_e32 v2, 2, v3
	s_and_saveexec_b64 s[0:1], vcc
	s_cbranch_execz .LBB185_6
; %bb.5:
	v_mov_b32_e32 v4, 0
	ds_write_b32 v2, v4
.LBB185_6:
	s_or_b64 exec, exec, s[0:1]
	v_mbcnt_lo_u32_b32 v4, -1, 0
	v_mbcnt_hi_u32_b32 v6, -1, v4
	v_and_b32_e32 v7, 63, v6
	v_cmp_gt_u32_e64 s[0:1], 32, v7
	v_cndmask_b32_e64 v4, 0, 1, s[0:1]
	v_lshlrev_b32_e32 v4, 5, v4
	v_add_lshl_u32 v4, v4, v6, 2
	ds_bpermute_b32 v4, v4, v1
	v_cmp_gt_u32_e64 s[0:1], 48, v7
	v_cndmask_b32_e64 v5, 0, 1, s[0:1]
	v_lshlrev_b32_e32 v5, 4, v5
	v_cmp_gt_u32_e64 s[0:1], 56, v7
	s_waitcnt lgkmcnt(0)
	v_add_f32_e32 v1, v1, v4
	v_add_lshl_u32 v4, v5, v6, 2
	ds_bpermute_b32 v4, v4, v1
	v_cndmask_b32_e64 v5, 0, 1, s[0:1]
	v_lshlrev_b32_e32 v5, 3, v5
	v_cmp_gt_u32_e64 s[0:1], 60, v7
	s_waitcnt lgkmcnt(0)
	v_add_f32_e32 v1, v1, v4
	v_add_lshl_u32 v4, v5, v6, 2
	ds_bpermute_b32 v4, v4, v1
	v_cndmask_b32_e64 v5, 0, 1, s[0:1]
	v_lshlrev_b32_e32 v5, 2, v5
	v_cmp_gt_u32_e64 s[0:1], 62, v7
	v_cndmask_b32_e64 v8, 0, 1, s[0:1]
	s_waitcnt lgkmcnt(0)
	v_add_f32_e32 v1, v1, v4
	v_add_lshl_u32 v4, v5, v6, 2
	ds_bpermute_b32 v5, v4, v1
	v_lshlrev_b32_e32 v8, 1, v8
	v_cmp_ne_u32_e64 s[0:1], 63, v7
	s_barrier
	s_waitcnt lgkmcnt(0)
	v_add_f32_e32 v1, v1, v5
	v_add_lshl_u32 v5, v8, v6, 2
	ds_bpermute_b32 v8, v5, v1
	v_addc_co_u32_e64 v6, s[0:1], 0, v6, s[0:1]
	v_lshlrev_b32_e32 v6, 2, v6
	v_cmp_eq_u32_e64 s[0:1], 0, v3
	s_waitcnt lgkmcnt(0)
	v_add_f32_e32 v1, v1, v8
	ds_bpermute_b32 v7, v6, v1
	s_and_saveexec_b64 s[4:5], s[0:1]
	s_cbranch_execz .LBB185_8
; %bb.7:
	v_lshrrev_b32_e32 v3, 4, v0
	s_waitcnt lgkmcnt(0)
	v_add_f32_e32 v1, v1, v7
	v_and_b32_e32 v3, 28, v3
	ds_write_b32 v3, v1
.LBB185_8:
	s_or_b64 exec, exec, s[4:5]
	v_cmp_gt_u32_e64 s[0:1], 8, v0
	v_mov_b32_e32 v1, 0
	s_waitcnt lgkmcnt(0)
	s_barrier
	s_and_saveexec_b64 s[4:5], s[0:1]
	s_cbranch_execnz .LBB185_12
; %bb.9:
	s_or_b64 exec, exec, s[4:5]
	s_and_saveexec_b64 s[0:1], vcc
	s_cbranch_execnz .LBB185_13
.LBB185_10:
	s_or_b64 exec, exec, s[0:1]
	v_cmp_eq_u32_e32 vcc, 0, v0
	s_and_saveexec_b64 s[0:1], vcc
	s_cbranch_execnz .LBB185_14
.LBB185_11:
	s_endpgm
.LBB185_12:
	ds_read_b32 v1, v2
	s_or_b64 exec, exec, s[4:5]
	s_and_saveexec_b64 s[0:1], vcc
	s_cbranch_execz .LBB185_10
.LBB185_13:
	s_waitcnt lgkmcnt(0)
	ds_bpermute_b32 v2, v4, v1
	s_waitcnt lgkmcnt(0)
	v_add_f32_e32 v1, v1, v2
	ds_bpermute_b32 v2, v5, v1
	s_waitcnt lgkmcnt(0)
	v_add_f32_e32 v1, v1, v2
	;; [unrolled: 3-line block ×3, first 2 shown]
	s_or_b64 exec, exec, s[0:1]
	v_cmp_eq_u32_e32 vcc, 0, v0
	s_and_saveexec_b64 s[0:1], vcc
	s_cbranch_execz .LBB185_11
.LBB185_14:
	s_cmp_lg_u32 s16, 1
	s_cbranch_scc0 .LBB185_16
; %bb.15:
	s_mul_hi_u32 s1, s16, s2
	s_mul_i32 s0, s16, s2
	s_lshl_b64 s[0:1], s[0:1], 2
	s_mov_b32 s7, 0
	s_add_u32 s4, s8, s0
	s_addc_u32 s5, s9, s1
	s_lshl_b64 s[0:1], s[6:7], 2
	s_add_u32 s0, s4, s0
	s_addc_u32 s1, s5, s1
	s_cbranch_execz .LBB185_17
	s_branch .LBB185_18
.LBB185_16:
                                        ; implicit-def: $sgpr0_sgpr1
.LBB185_17:
	s_lshl_b64 s[0:1], s[2:3], 2
	s_add_u32 s0, s10, s0
	s_addc_u32 s1, s11, s1
.LBB185_18:
	v_mov_b32_e32 v0, 0
	s_waitcnt lgkmcnt(0)
	global_store_dword v0, v1, s[0:1]
	s_endpgm
	.section	.rodata,"a",@progbits
	.p2align	6, 0x0
	.amdhsa_kernel _ZL24rocblas_dot_kernel_magsqIiLb0ELi512ELi4ELb0EfPKPKffEviT5_lT_liPT6_PT4_
		.amdhsa_group_segment_fixed_size 256
		.amdhsa_private_segment_fixed_size 0
		.amdhsa_kernarg_size 320
		.amdhsa_user_sgpr_count 6
		.amdhsa_user_sgpr_private_segment_buffer 1
		.amdhsa_user_sgpr_dispatch_ptr 0
		.amdhsa_user_sgpr_queue_ptr 0
		.amdhsa_user_sgpr_kernarg_segment_ptr 1
		.amdhsa_user_sgpr_dispatch_id 0
		.amdhsa_user_sgpr_flat_scratch_init 0
		.amdhsa_user_sgpr_kernarg_preload_length 0
		.amdhsa_user_sgpr_kernarg_preload_offset 0
		.amdhsa_user_sgpr_private_segment_size 0
		.amdhsa_uses_dynamic_stack 0
		.amdhsa_system_sgpr_private_segment_wavefront_offset 0
		.amdhsa_system_sgpr_workgroup_id_x 1
		.amdhsa_system_sgpr_workgroup_id_y 0
		.amdhsa_system_sgpr_workgroup_id_z 1
		.amdhsa_system_sgpr_workgroup_info 0
		.amdhsa_system_vgpr_workitem_id 0
		.amdhsa_next_free_vgpr 9
		.amdhsa_next_free_sgpr 24
		.amdhsa_accum_offset 12
		.amdhsa_reserve_vcc 1
		.amdhsa_reserve_flat_scratch 0
		.amdhsa_float_round_mode_32 0
		.amdhsa_float_round_mode_16_64 0
		.amdhsa_float_denorm_mode_32 3
		.amdhsa_float_denorm_mode_16_64 3
		.amdhsa_dx10_clamp 1
		.amdhsa_ieee_mode 1
		.amdhsa_fp16_overflow 0
		.amdhsa_tg_split 0
		.amdhsa_exception_fp_ieee_invalid_op 0
		.amdhsa_exception_fp_denorm_src 0
		.amdhsa_exception_fp_ieee_div_zero 0
		.amdhsa_exception_fp_ieee_overflow 0
		.amdhsa_exception_fp_ieee_underflow 0
		.amdhsa_exception_fp_ieee_inexact 0
		.amdhsa_exception_int_div_zero 0
	.end_amdhsa_kernel
	.section	.text._ZL24rocblas_dot_kernel_magsqIiLb0ELi512ELi4ELb0EfPKPKffEviT5_lT_liPT6_PT4_,"axG",@progbits,_ZL24rocblas_dot_kernel_magsqIiLb0ELi512ELi4ELb0EfPKPKffEviT5_lT_liPT6_PT4_,comdat
.Lfunc_end185:
	.size	_ZL24rocblas_dot_kernel_magsqIiLb0ELi512ELi4ELb0EfPKPKffEviT5_lT_liPT6_PT4_, .Lfunc_end185-_ZL24rocblas_dot_kernel_magsqIiLb0ELi512ELi4ELb0EfPKPKffEviT5_lT_liPT6_PT4_
                                        ; -- End function
	.section	.AMDGPU.csdata,"",@progbits
; Kernel info:
; codeLenInByte = 848
; NumSgprs: 28
; NumVgprs: 9
; NumAgprs: 0
; TotalNumVgprs: 9
; ScratchSize: 0
; MemoryBound: 0
; FloatMode: 240
; IeeeMode: 1
; LDSByteSize: 256 bytes/workgroup (compile time only)
; SGPRBlocks: 3
; VGPRBlocks: 1
; NumSGPRsForWavesPerEU: 28
; NumVGPRsForWavesPerEU: 9
; AccumOffset: 12
; Occupancy: 8
; WaveLimiterHint : 0
; COMPUTE_PGM_RSRC2:SCRATCH_EN: 0
; COMPUTE_PGM_RSRC2:USER_SGPR: 6
; COMPUTE_PGM_RSRC2:TRAP_HANDLER: 0
; COMPUTE_PGM_RSRC2:TGID_X_EN: 1
; COMPUTE_PGM_RSRC2:TGID_Y_EN: 0
; COMPUTE_PGM_RSRC2:TGID_Z_EN: 1
; COMPUTE_PGM_RSRC2:TIDIG_COMP_CNT: 0
; COMPUTE_PGM_RSRC3_GFX90A:ACCUM_OFFSET: 2
; COMPUTE_PGM_RSRC3_GFX90A:TG_SPLIT: 0
	.section	.text._ZL28rocblas_dot_batched_4_kernelIlLi32ELi4ELb0EffPKPKfEviT5_lT_lS4_lS5_liPT4_,"axG",@progbits,_ZL28rocblas_dot_batched_4_kernelIlLi32ELi4ELb0EffPKPKfEviT5_lT_lS4_lS5_liPT4_,comdat
	.globl	_ZL28rocblas_dot_batched_4_kernelIlLi32ELi4ELb0EffPKPKfEviT5_lT_lS4_lS5_liPT4_ ; -- Begin function _ZL28rocblas_dot_batched_4_kernelIlLi32ELi4ELb0EffPKPKfEviT5_lT_lS4_lS5_liPT4_
	.p2align	8
	.type	_ZL28rocblas_dot_batched_4_kernelIlLi32ELi4ELb0EffPKPKfEviT5_lT_lS4_lS5_liPT4_,@function
_ZL28rocblas_dot_batched_4_kernelIlLi32ELi4ELb0EffPKPKfEviT5_lT_lS4_lS5_liPT4_: ; @_ZL28rocblas_dot_batched_4_kernelIlLi32ELi4ELb0EffPKPKfEviT5_lT_lS4_lS5_liPT4_
; %bb.0:
	s_load_dword s0, s[4:5], 0x48
	v_bfe_u32 v1, v0, 10, 10
	v_lshl_add_u32 v2, s6, 2, v1
	s_waitcnt lgkmcnt(0)
	v_cmp_gt_u32_e32 vcc, s0, v2
	s_and_saveexec_b64 s[0:1], vcc
	s_cbranch_execz .LBB186_7
; %bb.1:
	s_load_dword s14, s[4:5], 0x0
	s_load_dwordx2 s[8:9], s[4:5], 0x50
	v_mov_b32_e32 v3, 0
	v_and_b32_e32 v6, 0x3ff, v0
	v_mov_b32_e32 v7, v3
	s_waitcnt lgkmcnt(0)
	v_cmp_gt_i32_e32 vcc, s14, v6
	s_and_saveexec_b64 s[10:11], vcc
	s_cbranch_execz .LBB186_5
; %bb.2:
	s_load_dwordx2 s[6:7], s[4:5], 0x8
	s_load_dwordx2 s[12:13], s[4:5], 0x28
	v_lshlrev_b64 v[0:1], 3, v[2:3]
	s_load_dwordx4 s[0:3], s[4:5], 0x10
	s_waitcnt lgkmcnt(0)
	v_mov_b32_e32 v5, s7
	v_add_co_u32_e32 v4, vcc, s6, v0
	v_addc_co_u32_e32 v5, vcc, v5, v1, vcc
	global_load_dwordx2 v[4:5], v[4:5], off
	v_mov_b32_e32 v7, s13
	v_add_co_u32_e32 v0, vcc, s12, v0
	v_addc_co_u32_e32 v1, vcc, v7, v1, vcc
	global_load_dwordx2 v[10:11], v[0:1], off
	s_load_dwordx4 s[4:7], s[4:5], 0x30
	v_mad_u64_u32 v[0:1], s[16:17], s2, v6, 0
	v_mov_b32_e32 v14, v1
	s_lshl_b64 s[16:17], s[0:1], 2
	s_lshl_b64 s[0:1], s[2:3], 7
	s_waitcnt lgkmcnt(0)
	v_mad_u64_u32 v[12:13], s[18:19], s6, v6, 0
	v_mad_u64_u32 v[14:15], s[2:3], s3, v6, v[14:15]
	v_mov_b32_e32 v16, v13
	v_mov_b32_e32 v1, v14
	v_mad_u64_u32 v[16:17], s[2:3], s7, v6, v[16:17]
	v_lshlrev_b64 v[0:1], 2, v[0:1]
	v_mov_b32_e32 v18, s17
	v_mov_b32_e32 v13, v16
	v_add_co_u32_e32 v0, vcc, s16, v0
	s_lshl_b64 s[18:19], s[4:5], 2
	v_lshlrev_b64 v[12:13], 2, v[12:13]
	v_addc_co_u32_e32 v1, vcc, v1, v18, vcc
	v_mov_b32_e32 v19, s19
	v_add_co_u32_e32 v12, vcc, s18, v12
	v_addc_co_u32_e32 v13, vcc, v13, v19, vcc
	s_lshl_b64 s[4:5], s[6:7], 7
	s_mov_b64 s[12:13], 0
	v_mov_b32_e32 v7, 0
	v_mov_b32_e32 v8, s1
	;; [unrolled: 1-line block ×3, first 2 shown]
	s_waitcnt vmcnt(1)
	v_add_co_u32_e32 v0, vcc, v4, v0
	v_addc_co_u32_e32 v1, vcc, v5, v1, vcc
	s_waitcnt vmcnt(0)
	v_add_co_u32_e32 v4, vcc, v10, v12
	v_addc_co_u32_e32 v5, vcc, v11, v13, vcc
	v_mov_b32_e32 v10, v6
.LBB186_3:                              ; =>This Inner Loop Header: Depth=1
	global_load_dword v11, v[0:1], off
	global_load_dword v12, v[4:5], off
	v_add_co_u32_e32 v0, vcc, s0, v0
	v_addc_co_u32_e32 v1, vcc, v1, v8, vcc
	v_add_co_u32_e32 v4, vcc, s4, v4
	v_add_u32_e32 v10, 32, v10
	v_addc_co_u32_e32 v5, vcc, v5, v9, vcc
	v_cmp_le_i32_e32 vcc, s14, v10
	s_or_b64 s[12:13], vcc, s[12:13]
	s_waitcnt vmcnt(0)
	v_fmac_f32_e32 v7, v11, v12
	s_andn2_b64 exec, exec, s[12:13]
	s_cbranch_execnz .LBB186_3
; %bb.4:
	s_or_b64 exec, exec, s[12:13]
.LBB186_5:
	s_or_b64 exec, exec, s[10:11]
	v_mbcnt_lo_u32_b32 v0, -1, 0
	v_mbcnt_hi_u32_b32 v0, -1, v0
	v_and_b32_e32 v1, 63, v0
	v_cmp_gt_u32_e32 vcc, 48, v1
	v_cndmask_b32_e64 v4, 0, 1, vcc
	v_lshlrev_b32_e32 v4, 4, v4
	v_add_lshl_u32 v4, v4, v0, 2
	ds_bpermute_b32 v4, v4, v7
	v_cmp_gt_u32_e32 vcc, 56, v1
	v_cndmask_b32_e64 v5, 0, 1, vcc
	v_lshlrev_b32_e32 v5, 3, v5
	v_add_lshl_u32 v5, v5, v0, 2
	s_waitcnt lgkmcnt(0)
	v_add_f32_e32 v4, v7, v4
	ds_bpermute_b32 v5, v5, v4
	v_cmp_gt_u32_e32 vcc, 60, v1
	v_cndmask_b32_e64 v7, 0, 1, vcc
	v_lshlrev_b32_e32 v7, 2, v7
	v_cmp_gt_u32_e32 vcc, 62, v1
	s_waitcnt lgkmcnt(0)
	v_add_f32_e32 v4, v4, v5
	v_add_lshl_u32 v5, v7, v0, 2
	ds_bpermute_b32 v5, v5, v4
	v_cndmask_b32_e64 v7, 0, 1, vcc
	v_lshlrev_b32_e32 v7, 1, v7
	v_cmp_ne_u32_e32 vcc, 63, v1
	v_addc_co_u32_e32 v1, vcc, 0, v0, vcc
	s_waitcnt lgkmcnt(0)
	v_add_f32_e32 v4, v4, v5
	v_add_lshl_u32 v5, v7, v0, 2
	ds_bpermute_b32 v5, v5, v4
	v_lshlrev_b32_e32 v1, 2, v1
	v_cmp_eq_u32_e32 vcc, 0, v6
	s_waitcnt lgkmcnt(0)
	s_barrier
	v_add_f32_e32 v0, v4, v5
	ds_bpermute_b32 v1, v1, v0
	s_waitcnt lgkmcnt(0)
	s_and_b64 exec, exec, vcc
	s_cbranch_execz .LBB186_7
; %bb.6:
	v_lshlrev_b64 v[2:3], 2, v[2:3]
	v_mov_b32_e32 v4, s9
	v_add_co_u32_e32 v2, vcc, s8, v2
	v_addc_co_u32_e32 v3, vcc, v4, v3, vcc
	v_add_f32_e32 v0, v0, v1
	global_store_dword v[2:3], v0, off
.LBB186_7:
	s_endpgm
	.section	.rodata,"a",@progbits
	.p2align	6, 0x0
	.amdhsa_kernel _ZL28rocblas_dot_batched_4_kernelIlLi32ELi4ELb0EffPKPKfEviT5_lT_lS4_lS5_liPT4_
		.amdhsa_group_segment_fixed_size 0
		.amdhsa_private_segment_fixed_size 0
		.amdhsa_kernarg_size 88
		.amdhsa_user_sgpr_count 6
		.amdhsa_user_sgpr_private_segment_buffer 1
		.amdhsa_user_sgpr_dispatch_ptr 0
		.amdhsa_user_sgpr_queue_ptr 0
		.amdhsa_user_sgpr_kernarg_segment_ptr 1
		.amdhsa_user_sgpr_dispatch_id 0
		.amdhsa_user_sgpr_flat_scratch_init 0
		.amdhsa_user_sgpr_kernarg_preload_length 0
		.amdhsa_user_sgpr_kernarg_preload_offset 0
		.amdhsa_user_sgpr_private_segment_size 0
		.amdhsa_uses_dynamic_stack 0
		.amdhsa_system_sgpr_private_segment_wavefront_offset 0
		.amdhsa_system_sgpr_workgroup_id_x 1
		.amdhsa_system_sgpr_workgroup_id_y 0
		.amdhsa_system_sgpr_workgroup_id_z 0
		.amdhsa_system_sgpr_workgroup_info 0
		.amdhsa_system_vgpr_workitem_id 1
		.amdhsa_next_free_vgpr 20
		.amdhsa_next_free_sgpr 20
		.amdhsa_accum_offset 20
		.amdhsa_reserve_vcc 1
		.amdhsa_reserve_flat_scratch 0
		.amdhsa_float_round_mode_32 0
		.amdhsa_float_round_mode_16_64 0
		.amdhsa_float_denorm_mode_32 3
		.amdhsa_float_denorm_mode_16_64 3
		.amdhsa_dx10_clamp 1
		.amdhsa_ieee_mode 1
		.amdhsa_fp16_overflow 0
		.amdhsa_tg_split 0
		.amdhsa_exception_fp_ieee_invalid_op 0
		.amdhsa_exception_fp_denorm_src 0
		.amdhsa_exception_fp_ieee_div_zero 0
		.amdhsa_exception_fp_ieee_overflow 0
		.amdhsa_exception_fp_ieee_underflow 0
		.amdhsa_exception_fp_ieee_inexact 0
		.amdhsa_exception_int_div_zero 0
	.end_amdhsa_kernel
	.section	.text._ZL28rocblas_dot_batched_4_kernelIlLi32ELi4ELb0EffPKPKfEviT5_lT_lS4_lS5_liPT4_,"axG",@progbits,_ZL28rocblas_dot_batched_4_kernelIlLi32ELi4ELb0EffPKPKfEviT5_lT_lS4_lS5_liPT4_,comdat
.Lfunc_end186:
	.size	_ZL28rocblas_dot_batched_4_kernelIlLi32ELi4ELb0EffPKPKfEviT5_lT_lS4_lS5_liPT4_, .Lfunc_end186-_ZL28rocblas_dot_batched_4_kernelIlLi32ELi4ELb0EffPKPKfEviT5_lT_lS4_lS5_liPT4_
                                        ; -- End function
	.section	.AMDGPU.csdata,"",@progbits
; Kernel info:
; codeLenInByte = 648
; NumSgprs: 24
; NumVgprs: 20
; NumAgprs: 0
; TotalNumVgprs: 20
; ScratchSize: 0
; MemoryBound: 0
; FloatMode: 240
; IeeeMode: 1
; LDSByteSize: 0 bytes/workgroup (compile time only)
; SGPRBlocks: 2
; VGPRBlocks: 2
; NumSGPRsForWavesPerEU: 24
; NumVGPRsForWavesPerEU: 20
; AccumOffset: 20
; Occupancy: 8
; WaveLimiterHint : 0
; COMPUTE_PGM_RSRC2:SCRATCH_EN: 0
; COMPUTE_PGM_RSRC2:USER_SGPR: 6
; COMPUTE_PGM_RSRC2:TRAP_HANDLER: 0
; COMPUTE_PGM_RSRC2:TGID_X_EN: 1
; COMPUTE_PGM_RSRC2:TGID_Y_EN: 0
; COMPUTE_PGM_RSRC2:TGID_Z_EN: 0
; COMPUTE_PGM_RSRC2:TIDIG_COMP_CNT: 1
; COMPUTE_PGM_RSRC3_GFX90A:ACCUM_OFFSET: 4
; COMPUTE_PGM_RSRC3_GFX90A:TG_SPLIT: 0
	.section	.text._ZL28rocblas_dot_batched_4_kernelIlLi64ELi4ELb0EffPKPKfEviT5_lT_lS4_lS5_liPT4_,"axG",@progbits,_ZL28rocblas_dot_batched_4_kernelIlLi64ELi4ELb0EffPKPKfEviT5_lT_lS4_lS5_liPT4_,comdat
	.globl	_ZL28rocblas_dot_batched_4_kernelIlLi64ELi4ELb0EffPKPKfEviT5_lT_lS4_lS5_liPT4_ ; -- Begin function _ZL28rocblas_dot_batched_4_kernelIlLi64ELi4ELb0EffPKPKfEviT5_lT_lS4_lS5_liPT4_
	.p2align	8
	.type	_ZL28rocblas_dot_batched_4_kernelIlLi64ELi4ELb0EffPKPKfEviT5_lT_lS4_lS5_liPT4_,@function
_ZL28rocblas_dot_batched_4_kernelIlLi64ELi4ELb0EffPKPKfEviT5_lT_lS4_lS5_liPT4_: ; @_ZL28rocblas_dot_batched_4_kernelIlLi64ELi4ELb0EffPKPKfEviT5_lT_lS4_lS5_liPT4_
; %bb.0:
	s_load_dword s0, s[4:5], 0x48
	v_bfe_u32 v1, v0, 10, 10
	v_lshl_add_u32 v2, s6, 2, v1
	s_waitcnt lgkmcnt(0)
	v_cmp_gt_u32_e32 vcc, s0, v2
	s_and_saveexec_b64 s[0:1], vcc
	s_cbranch_execz .LBB187_7
; %bb.1:
	s_load_dword s14, s[4:5], 0x0
	s_load_dwordx2 s[8:9], s[4:5], 0x50
	v_mov_b32_e32 v3, 0
	v_and_b32_e32 v6, 0x3ff, v0
	v_mov_b32_e32 v7, v3
	s_waitcnt lgkmcnt(0)
	v_cmp_gt_i32_e32 vcc, s14, v6
	s_and_saveexec_b64 s[10:11], vcc
	s_cbranch_execz .LBB187_5
; %bb.2:
	s_load_dwordx2 s[6:7], s[4:5], 0x8
	s_load_dwordx2 s[12:13], s[4:5], 0x28
	v_lshlrev_b64 v[0:1], 3, v[2:3]
	s_load_dwordx4 s[0:3], s[4:5], 0x10
	s_waitcnt lgkmcnt(0)
	v_mov_b32_e32 v5, s7
	v_add_co_u32_e32 v4, vcc, s6, v0
	v_addc_co_u32_e32 v5, vcc, v5, v1, vcc
	global_load_dwordx2 v[4:5], v[4:5], off
	v_mov_b32_e32 v7, s13
	v_add_co_u32_e32 v0, vcc, s12, v0
	v_addc_co_u32_e32 v1, vcc, v7, v1, vcc
	global_load_dwordx2 v[10:11], v[0:1], off
	s_load_dwordx4 s[4:7], s[4:5], 0x30
	v_mad_u64_u32 v[0:1], s[16:17], s2, v6, 0
	v_mov_b32_e32 v14, v1
	s_lshl_b64 s[16:17], s[0:1], 2
	s_lshl_b64 s[0:1], s[2:3], 8
	s_waitcnt lgkmcnt(0)
	v_mad_u64_u32 v[12:13], s[18:19], s6, v6, 0
	v_mad_u64_u32 v[14:15], s[2:3], s3, v6, v[14:15]
	v_mov_b32_e32 v16, v13
	v_mov_b32_e32 v1, v14
	v_mad_u64_u32 v[16:17], s[2:3], s7, v6, v[16:17]
	v_lshlrev_b64 v[0:1], 2, v[0:1]
	v_mov_b32_e32 v18, s17
	v_mov_b32_e32 v13, v16
	v_add_co_u32_e32 v0, vcc, s16, v0
	s_lshl_b64 s[18:19], s[4:5], 2
	v_lshlrev_b64 v[12:13], 2, v[12:13]
	v_addc_co_u32_e32 v1, vcc, v1, v18, vcc
	v_mov_b32_e32 v19, s19
	v_add_co_u32_e32 v12, vcc, s18, v12
	v_addc_co_u32_e32 v13, vcc, v13, v19, vcc
	s_lshl_b64 s[4:5], s[6:7], 8
	s_mov_b64 s[12:13], 0
	v_mov_b32_e32 v7, 0
	v_mov_b32_e32 v8, s1
	;; [unrolled: 1-line block ×3, first 2 shown]
	s_waitcnt vmcnt(1)
	v_add_co_u32_e32 v0, vcc, v4, v0
	v_addc_co_u32_e32 v1, vcc, v5, v1, vcc
	s_waitcnt vmcnt(0)
	v_add_co_u32_e32 v4, vcc, v10, v12
	v_addc_co_u32_e32 v5, vcc, v11, v13, vcc
	v_mov_b32_e32 v10, v6
.LBB187_3:                              ; =>This Inner Loop Header: Depth=1
	global_load_dword v11, v[0:1], off
	global_load_dword v12, v[4:5], off
	v_add_co_u32_e32 v0, vcc, s0, v0
	v_addc_co_u32_e32 v1, vcc, v1, v8, vcc
	v_add_co_u32_e32 v4, vcc, s4, v4
	v_add_u32_e32 v10, 64, v10
	v_addc_co_u32_e32 v5, vcc, v5, v9, vcc
	v_cmp_le_i32_e32 vcc, s14, v10
	s_or_b64 s[12:13], vcc, s[12:13]
	s_waitcnt vmcnt(0)
	v_fmac_f32_e32 v7, v11, v12
	s_andn2_b64 exec, exec, s[12:13]
	s_cbranch_execnz .LBB187_3
; %bb.4:
	s_or_b64 exec, exec, s[12:13]
.LBB187_5:
	s_or_b64 exec, exec, s[10:11]
	v_mbcnt_lo_u32_b32 v0, -1, 0
	v_mbcnt_hi_u32_b32 v0, -1, v0
	v_and_b32_e32 v1, 63, v0
	v_cmp_gt_u32_e32 vcc, 32, v1
	v_cndmask_b32_e64 v4, 0, 1, vcc
	v_lshlrev_b32_e32 v4, 5, v4
	v_add_lshl_u32 v4, v4, v0, 2
	ds_bpermute_b32 v4, v4, v7
	v_cmp_gt_u32_e32 vcc, 48, v1
	v_cndmask_b32_e64 v5, 0, 1, vcc
	v_lshlrev_b32_e32 v5, 4, v5
	v_add_lshl_u32 v5, v5, v0, 2
	s_waitcnt lgkmcnt(0)
	v_add_f32_e32 v4, v7, v4
	ds_bpermute_b32 v5, v5, v4
	v_cmp_gt_u32_e32 vcc, 56, v1
	v_cndmask_b32_e64 v7, 0, 1, vcc
	v_lshlrev_b32_e32 v7, 3, v7
	v_cmp_gt_u32_e32 vcc, 60, v1
	s_waitcnt lgkmcnt(0)
	v_add_f32_e32 v4, v4, v5
	v_add_lshl_u32 v5, v7, v0, 2
	ds_bpermute_b32 v5, v5, v4
	v_cndmask_b32_e64 v7, 0, 1, vcc
	v_lshlrev_b32_e32 v7, 2, v7
	v_cmp_gt_u32_e32 vcc, 62, v1
	s_waitcnt lgkmcnt(0)
	v_add_f32_e32 v4, v4, v5
	v_add_lshl_u32 v5, v7, v0, 2
	ds_bpermute_b32 v5, v5, v4
	v_cndmask_b32_e64 v7, 0, 1, vcc
	v_lshlrev_b32_e32 v7, 1, v7
	v_cmp_ne_u32_e32 vcc, 63, v1
	v_addc_co_u32_e32 v1, vcc, 0, v0, vcc
	s_waitcnt lgkmcnt(0)
	v_add_f32_e32 v4, v4, v5
	v_add_lshl_u32 v5, v7, v0, 2
	ds_bpermute_b32 v5, v5, v4
	v_lshlrev_b32_e32 v1, 2, v1
	v_cmp_eq_u32_e32 vcc, 0, v6
	s_barrier
	s_waitcnt lgkmcnt(0)
	v_add_f32_e32 v0, v4, v5
	ds_bpermute_b32 v1, v1, v0
	s_and_b64 exec, exec, vcc
	s_cbranch_execz .LBB187_7
; %bb.6:
	v_lshlrev_b64 v[2:3], 2, v[2:3]
	v_mov_b32_e32 v4, s9
	v_add_co_u32_e32 v2, vcc, s8, v2
	v_addc_co_u32_e32 v3, vcc, v4, v3, vcc
	s_waitcnt lgkmcnt(0)
	v_add_f32_e32 v0, v0, v1
	global_store_dword v[2:3], v0, off
.LBB187_7:
	s_endpgm
	.section	.rodata,"a",@progbits
	.p2align	6, 0x0
	.amdhsa_kernel _ZL28rocblas_dot_batched_4_kernelIlLi64ELi4ELb0EffPKPKfEviT5_lT_lS4_lS5_liPT4_
		.amdhsa_group_segment_fixed_size 0
		.amdhsa_private_segment_fixed_size 0
		.amdhsa_kernarg_size 88
		.amdhsa_user_sgpr_count 6
		.amdhsa_user_sgpr_private_segment_buffer 1
		.amdhsa_user_sgpr_dispatch_ptr 0
		.amdhsa_user_sgpr_queue_ptr 0
		.amdhsa_user_sgpr_kernarg_segment_ptr 1
		.amdhsa_user_sgpr_dispatch_id 0
		.amdhsa_user_sgpr_flat_scratch_init 0
		.amdhsa_user_sgpr_kernarg_preload_length 0
		.amdhsa_user_sgpr_kernarg_preload_offset 0
		.amdhsa_user_sgpr_private_segment_size 0
		.amdhsa_uses_dynamic_stack 0
		.amdhsa_system_sgpr_private_segment_wavefront_offset 0
		.amdhsa_system_sgpr_workgroup_id_x 1
		.amdhsa_system_sgpr_workgroup_id_y 0
		.amdhsa_system_sgpr_workgroup_id_z 0
		.amdhsa_system_sgpr_workgroup_info 0
		.amdhsa_system_vgpr_workitem_id 1
		.amdhsa_next_free_vgpr 20
		.amdhsa_next_free_sgpr 20
		.amdhsa_accum_offset 20
		.amdhsa_reserve_vcc 1
		.amdhsa_reserve_flat_scratch 0
		.amdhsa_float_round_mode_32 0
		.amdhsa_float_round_mode_16_64 0
		.amdhsa_float_denorm_mode_32 3
		.amdhsa_float_denorm_mode_16_64 3
		.amdhsa_dx10_clamp 1
		.amdhsa_ieee_mode 1
		.amdhsa_fp16_overflow 0
		.amdhsa_tg_split 0
		.amdhsa_exception_fp_ieee_invalid_op 0
		.amdhsa_exception_fp_denorm_src 0
		.amdhsa_exception_fp_ieee_div_zero 0
		.amdhsa_exception_fp_ieee_overflow 0
		.amdhsa_exception_fp_ieee_underflow 0
		.amdhsa_exception_fp_ieee_inexact 0
		.amdhsa_exception_int_div_zero 0
	.end_amdhsa_kernel
	.section	.text._ZL28rocblas_dot_batched_4_kernelIlLi64ELi4ELb0EffPKPKfEviT5_lT_lS4_lS5_liPT4_,"axG",@progbits,_ZL28rocblas_dot_batched_4_kernelIlLi64ELi4ELb0EffPKPKfEviT5_lT_lS4_lS5_liPT4_,comdat
.Lfunc_end187:
	.size	_ZL28rocblas_dot_batched_4_kernelIlLi64ELi4ELb0EffPKPKfEviT5_lT_lS4_lS5_liPT4_, .Lfunc_end187-_ZL28rocblas_dot_batched_4_kernelIlLi64ELi4ELb0EffPKPKfEviT5_lT_lS4_lS5_liPT4_
                                        ; -- End function
	.section	.AMDGPU.csdata,"",@progbits
; Kernel info:
; codeLenInByte = 688
; NumSgprs: 24
; NumVgprs: 20
; NumAgprs: 0
; TotalNumVgprs: 20
; ScratchSize: 0
; MemoryBound: 0
; FloatMode: 240
; IeeeMode: 1
; LDSByteSize: 0 bytes/workgroup (compile time only)
; SGPRBlocks: 2
; VGPRBlocks: 2
; NumSGPRsForWavesPerEU: 24
; NumVGPRsForWavesPerEU: 20
; AccumOffset: 20
; Occupancy: 8
; WaveLimiterHint : 0
; COMPUTE_PGM_RSRC2:SCRATCH_EN: 0
; COMPUTE_PGM_RSRC2:USER_SGPR: 6
; COMPUTE_PGM_RSRC2:TRAP_HANDLER: 0
; COMPUTE_PGM_RSRC2:TGID_X_EN: 1
; COMPUTE_PGM_RSRC2:TGID_Y_EN: 0
; COMPUTE_PGM_RSRC2:TGID_Z_EN: 0
; COMPUTE_PGM_RSRC2:TIDIG_COMP_CNT: 1
; COMPUTE_PGM_RSRC3_GFX90A:ACCUM_OFFSET: 4
; COMPUTE_PGM_RSRC3_GFX90A:TG_SPLIT: 0
	.section	.text._ZL18rocblas_dot_kernelIlLb1ELi1024ELi32ELb0EfPKPKffEviT5_lT_lS4_lS5_liPT6_PT4_,"axG",@progbits,_ZL18rocblas_dot_kernelIlLb1ELi1024ELi32ELb0EfPKPKffEviT5_lT_lS4_lS5_liPT6_PT4_,comdat
	.globl	_ZL18rocblas_dot_kernelIlLb1ELi1024ELi32ELb0EfPKPKffEviT5_lT_lS4_lS5_liPT6_PT4_ ; -- Begin function _ZL18rocblas_dot_kernelIlLb1ELi1024ELi32ELb0EfPKPKffEviT5_lT_lS4_lS5_liPT6_PT4_
	.p2align	8
	.type	_ZL18rocblas_dot_kernelIlLb1ELi1024ELi32ELb0EfPKPKffEviT5_lT_lS4_lS5_liPT6_PT4_,@function
_ZL18rocblas_dot_kernelIlLb1ELi1024ELi32ELb0EfPKPKffEviT5_lT_lS4_lS5_liPT6_PT4_: ; @_ZL18rocblas_dot_kernelIlLb1ELi1024ELi32ELb0EfPKPKffEviT5_lT_lS4_lS5_liPT6_PT4_
; %bb.0:
	s_load_dword s16, s[4:5], 0x0
	s_load_dwordx2 s[12:13], s[4:5], 0x58
	s_mov_b32 s6, s7
	s_mov_b32 s7, 0
	v_mov_b32_e32 v6, 0
	s_waitcnt lgkmcnt(0)
	v_cmp_gt_i32_e32 vcc, s16, v0
	s_and_saveexec_b64 s[14:15], vcc
	s_cbranch_execz .LBB188_4
; %bb.1:
	s_load_dwordx2 s[18:19], s[4:5], 0x8
	s_load_dwordx4 s[8:11], s[4:5], 0x10
	s_load_dwordx2 s[20:21], s[4:5], 0x28
	s_load_dwordx4 s[0:3], s[4:5], 0x30
	s_lshl_b64 s[22:23], s[6:7], 3
	s_waitcnt lgkmcnt(0)
	s_add_u32 s18, s18, s22
	s_addc_u32 s19, s19, s23
	s_load_dword s17, s[4:5], 0x60
	s_load_dwordx2 s[24:25], s[18:19], 0x0
	s_add_u32 s4, s20, s22
	s_addc_u32 s5, s21, s23
	s_load_dwordx2 s[18:19], s[4:5], 0x0
	v_mad_u64_u32 v[2:3], s[4:5], s10, v0, 0
	v_mov_b32_e32 v4, v3
	v_mad_u64_u32 v[4:5], s[4:5], s11, v0, v[4:5]
	s_waitcnt lgkmcnt(0)
	s_lshl_b32 s17, s17, 10
	s_lshl_b64 s[4:5], s[8:9], 2
	v_mov_b32_e32 v3, v4
	s_add_u32 s4, s24, s4
	v_lshlrev_b64 v[2:3], 2, v[2:3]
	s_addc_u32 s5, s25, s5
	s_ashr_i32 s20, s17, 31
	v_mov_b32_e32 v4, s5
	v_add_co_u32_e32 v2, vcc, s4, v2
	s_mul_i32 s4, s10, s20
	s_mul_hi_u32 s5, s10, s17
	v_addc_co_u32_e32 v3, vcc, v4, v3, vcc
	s_add_i32 s4, s5, s4
	s_mul_i32 s5, s11, s17
	v_mad_u64_u32 v[4:5], s[8:9], s2, v0, 0
	s_add_i32 s5, s4, s5
	s_mul_i32 s4, s10, s17
	v_mov_b32_e32 v6, v5
	s_lshl_b64 s[4:5], s[4:5], 2
	v_mad_u64_u32 v[6:7], s[8:9], s3, v0, v[6:7]
	s_lshl_b64 s[0:1], s[0:1], 2
	v_mov_b32_e32 v5, v6
	s_add_u32 s0, s18, s0
	v_lshlrev_b64 v[4:5], 2, v[4:5]
	s_addc_u32 s1, s19, s1
	v_mov_b32_e32 v6, s1
	v_add_co_u32_e32 v4, vcc, s0, v4
	s_mul_i32 s0, s2, s20
	s_mul_hi_u32 s1, s2, s17
	s_add_i32 s0, s1, s0
	s_mul_i32 s1, s3, s17
	s_add_i32 s1, s0, s1
	s_mul_i32 s0, s2, s17
	s_lshl_b64 s[8:9], s[0:1], 2
	v_or_b32_e32 v1, s17, v0
	v_addc_co_u32_e32 v5, vcc, v6, v5, vcc
	s_mov_b64 s[2:3], 0
	v_mov_b32_e32 v6, 0
	v_mov_b32_e32 v7, s5
	;; [unrolled: 1-line block ×3, first 2 shown]
	s_mov_b32 s5, s7
.LBB188_2:                              ; =>This Inner Loop Header: Depth=1
	global_load_dword v9, v[4:5], off
	global_load_dword v10, v[2:3], off
	v_add_co_u32_e64 v2, s[0:1], s4, v2
	v_addc_co_u32_e64 v3, s[0:1], v3, v7, s[0:1]
	s_add_i32 s9, s5, 1
	v_add_co_u32_e64 v4, s[0:1], s8, v4
	v_addc_co_u32_e64 v5, s[0:1], v5, v8, s[0:1]
	s_cmp_gt_u32 s5, 30
	v_cmp_le_i32_e32 vcc, s16, v1
	s_cselect_b64 s[0:1], -1, 0
	s_or_b64 s[0:1], s[0:1], vcc
	s_and_b64 s[0:1], exec, s[0:1]
	v_add_u32_e32 v1, s17, v1
	s_mov_b32 s5, s9
	s_or_b64 s[2:3], s[0:1], s[2:3]
	s_waitcnt vmcnt(0)
	v_fmac_f32_e32 v6, v9, v10
	s_andn2_b64 exec, exec, s[2:3]
	s_cbranch_execnz .LBB188_2
; %bb.3:
	s_or_b64 exec, exec, s[2:3]
.LBB188_4:
	s_or_b64 exec, exec, s[14:15]
	v_and_b32_e32 v2, 63, v0
	v_cmp_gt_u32_e32 vcc, 64, v0
	v_lshlrev_b32_e32 v1, 2, v2
	s_and_saveexec_b64 s[0:1], vcc
	s_cbranch_execz .LBB188_6
; %bb.5:
	v_mov_b32_e32 v3, 0
	ds_write_b32 v1, v3
.LBB188_6:
	s_or_b64 exec, exec, s[0:1]
	v_mbcnt_lo_u32_b32 v3, -1, 0
	v_mbcnt_hi_u32_b32 v7, -1, v3
	v_and_b32_e32 v8, 63, v7
	v_cmp_gt_u32_e64 s[0:1], 32, v8
	v_cndmask_b32_e64 v3, 0, 1, s[0:1]
	v_lshlrev_b32_e32 v3, 5, v3
	v_add_lshl_u32 v3, v3, v7, 2
	ds_bpermute_b32 v3, v3, v6
	v_cmp_gt_u32_e64 s[0:1], 48, v8
	v_cndmask_b32_e64 v4, 0, 1, s[0:1]
	v_lshlrev_b32_e32 v4, 4, v4
	v_add_lshl_u32 v4, v4, v7, 2
	s_waitcnt lgkmcnt(0)
	v_add_f32_e32 v3, v6, v3
	ds_bpermute_b32 v4, v4, v3
	v_cmp_gt_u32_e64 s[0:1], 56, v8
	v_cndmask_b32_e64 v5, 0, 1, s[0:1]
	v_lshlrev_b32_e32 v5, 3, v5
	v_cmp_gt_u32_e64 s[0:1], 60, v8
	s_waitcnt lgkmcnt(0)
	v_add_f32_e32 v4, v3, v4
	v_add_lshl_u32 v3, v5, v7, 2
	ds_bpermute_b32 v5, v3, v4
	v_cndmask_b32_e64 v6, 0, 1, s[0:1]
	v_lshlrev_b32_e32 v6, 2, v6
	v_cmp_gt_u32_e64 s[0:1], 62, v8
	v_cndmask_b32_e64 v9, 0, 1, s[0:1]
	s_waitcnt lgkmcnt(0)
	v_add_f32_e32 v5, v4, v5
	v_add_lshl_u32 v4, v6, v7, 2
	ds_bpermute_b32 v6, v4, v5
	v_lshlrev_b32_e32 v9, 1, v9
	v_cmp_ne_u32_e64 s[0:1], 63, v8
	v_addc_co_u32_e64 v8, s[0:1], 0, v7, s[0:1]
	s_waitcnt lgkmcnt(0)
	v_add_f32_e32 v6, v5, v6
	v_add_lshl_u32 v5, v9, v7, 2
	ds_bpermute_b32 v9, v5, v6
	v_cmp_eq_u32_e64 s[0:1], 0, v2
	s_waitcnt lgkmcnt(0)
	s_barrier
	v_add_f32_e32 v7, v6, v9
	v_lshlrev_b32_e32 v6, 2, v8
	ds_bpermute_b32 v8, v6, v7
	s_and_saveexec_b64 s[2:3], s[0:1]
	s_cbranch_execz .LBB188_8
; %bb.7:
	s_waitcnt lgkmcnt(0)
	v_add_f32_e32 v2, v7, v8
	v_lshrrev_b32_e32 v7, 4, v0
	v_and_b32_e32 v7, 60, v7
	ds_write_b32 v7, v2
.LBB188_8:
	s_or_b64 exec, exec, s[2:3]
	v_cmp_gt_u32_e64 s[0:1], 16, v0
	v_mov_b32_e32 v2, 0
	s_waitcnt lgkmcnt(0)
	s_barrier
	s_and_saveexec_b64 s[2:3], s[0:1]
	s_cbranch_execnz .LBB188_12
; %bb.9:
	s_or_b64 exec, exec, s[2:3]
	s_and_saveexec_b64 s[0:1], vcc
	s_cbranch_execnz .LBB188_13
.LBB188_10:
	s_or_b64 exec, exec, s[0:1]
	v_cmp_eq_u32_e32 vcc, 0, v0
	s_and_saveexec_b64 s[0:1], vcc
	s_cbranch_execnz .LBB188_14
.LBB188_11:
	s_endpgm
.LBB188_12:
	ds_read_b32 v2, v1
	s_or_b64 exec, exec, s[2:3]
	s_and_saveexec_b64 s[0:1], vcc
	s_cbranch_execz .LBB188_10
.LBB188_13:
	s_waitcnt lgkmcnt(0)
	ds_bpermute_b32 v1, v3, v2
	s_waitcnt lgkmcnt(0)
	v_add_f32_e32 v1, v2, v1
	ds_bpermute_b32 v2, v4, v1
	s_waitcnt lgkmcnt(0)
	v_add_f32_e32 v1, v1, v2
	;; [unrolled: 3-line block ×4, first 2 shown]
	s_or_b64 exec, exec, s[0:1]
	v_cmp_eq_u32_e32 vcc, 0, v0
	s_and_saveexec_b64 s[0:1], vcc
	s_cbranch_execz .LBB188_11
.LBB188_14:
	s_lshl_b64 s[0:1], s[6:7], 2
	s_add_u32 s0, s12, s0
	s_addc_u32 s1, s13, s1
	v_mov_b32_e32 v0, 0
	s_waitcnt lgkmcnt(0)
	global_store_dword v0, v2, s[0:1]
	s_endpgm
	.section	.rodata,"a",@progbits
	.p2align	6, 0x0
	.amdhsa_kernel _ZL18rocblas_dot_kernelIlLb1ELi1024ELi32ELb0EfPKPKffEviT5_lT_lS4_lS5_liPT6_PT4_
		.amdhsa_group_segment_fixed_size 256
		.amdhsa_private_segment_fixed_size 0
		.amdhsa_kernarg_size 352
		.amdhsa_user_sgpr_count 6
		.amdhsa_user_sgpr_private_segment_buffer 1
		.amdhsa_user_sgpr_dispatch_ptr 0
		.amdhsa_user_sgpr_queue_ptr 0
		.amdhsa_user_sgpr_kernarg_segment_ptr 1
		.amdhsa_user_sgpr_dispatch_id 0
		.amdhsa_user_sgpr_flat_scratch_init 0
		.amdhsa_user_sgpr_kernarg_preload_length 0
		.amdhsa_user_sgpr_kernarg_preload_offset 0
		.amdhsa_user_sgpr_private_segment_size 0
		.amdhsa_uses_dynamic_stack 0
		.amdhsa_system_sgpr_private_segment_wavefront_offset 0
		.amdhsa_system_sgpr_workgroup_id_x 1
		.amdhsa_system_sgpr_workgroup_id_y 0
		.amdhsa_system_sgpr_workgroup_id_z 1
		.amdhsa_system_sgpr_workgroup_info 0
		.amdhsa_system_vgpr_workitem_id 0
		.amdhsa_next_free_vgpr 11
		.amdhsa_next_free_sgpr 26
		.amdhsa_accum_offset 12
		.amdhsa_reserve_vcc 1
		.amdhsa_reserve_flat_scratch 0
		.amdhsa_float_round_mode_32 0
		.amdhsa_float_round_mode_16_64 0
		.amdhsa_float_denorm_mode_32 3
		.amdhsa_float_denorm_mode_16_64 3
		.amdhsa_dx10_clamp 1
		.amdhsa_ieee_mode 1
		.amdhsa_fp16_overflow 0
		.amdhsa_tg_split 0
		.amdhsa_exception_fp_ieee_invalid_op 0
		.amdhsa_exception_fp_denorm_src 0
		.amdhsa_exception_fp_ieee_div_zero 0
		.amdhsa_exception_fp_ieee_overflow 0
		.amdhsa_exception_fp_ieee_underflow 0
		.amdhsa_exception_fp_ieee_inexact 0
		.amdhsa_exception_int_div_zero 0
	.end_amdhsa_kernel
	.section	.text._ZL18rocblas_dot_kernelIlLb1ELi1024ELi32ELb0EfPKPKffEviT5_lT_lS4_lS5_liPT6_PT4_,"axG",@progbits,_ZL18rocblas_dot_kernelIlLb1ELi1024ELi32ELb0EfPKPKffEviT5_lT_lS4_lS5_liPT6_PT4_,comdat
.Lfunc_end188:
	.size	_ZL18rocblas_dot_kernelIlLb1ELi1024ELi32ELb0EfPKPKffEviT5_lT_lS4_lS5_liPT6_PT4_, .Lfunc_end188-_ZL18rocblas_dot_kernelIlLb1ELi1024ELi32ELb0EfPKPKffEviT5_lT_lS4_lS5_liPT6_PT4_
                                        ; -- End function
	.section	.AMDGPU.csdata,"",@progbits
; Kernel info:
; codeLenInByte = 984
; NumSgprs: 30
; NumVgprs: 11
; NumAgprs: 0
; TotalNumVgprs: 11
; ScratchSize: 0
; MemoryBound: 0
; FloatMode: 240
; IeeeMode: 1
; LDSByteSize: 256 bytes/workgroup (compile time only)
; SGPRBlocks: 3
; VGPRBlocks: 1
; NumSGPRsForWavesPerEU: 30
; NumVGPRsForWavesPerEU: 11
; AccumOffset: 12
; Occupancy: 8
; WaveLimiterHint : 0
; COMPUTE_PGM_RSRC2:SCRATCH_EN: 0
; COMPUTE_PGM_RSRC2:USER_SGPR: 6
; COMPUTE_PGM_RSRC2:TRAP_HANDLER: 0
; COMPUTE_PGM_RSRC2:TGID_X_EN: 1
; COMPUTE_PGM_RSRC2:TGID_Y_EN: 0
; COMPUTE_PGM_RSRC2:TGID_Z_EN: 1
; COMPUTE_PGM_RSRC2:TIDIG_COMP_CNT: 0
; COMPUTE_PGM_RSRC3_GFX90A:ACCUM_OFFSET: 2
; COMPUTE_PGM_RSRC3_GFX90A:TG_SPLIT: 0
	.section	.text._ZL24rocblas_dot_kernel_magsqIlLb1ELi1024ELi32ELb0EfPKPKffEviT5_lT_liPT6_PT4_,"axG",@progbits,_ZL24rocblas_dot_kernel_magsqIlLb1ELi1024ELi32ELb0EfPKPKffEviT5_lT_liPT6_PT4_,comdat
	.globl	_ZL24rocblas_dot_kernel_magsqIlLb1ELi1024ELi32ELb0EfPKPKffEviT5_lT_liPT6_PT4_ ; -- Begin function _ZL24rocblas_dot_kernel_magsqIlLb1ELi1024ELi32ELb0EfPKPKffEviT5_lT_liPT6_PT4_
	.p2align	8
	.type	_ZL24rocblas_dot_kernel_magsqIlLb1ELi1024ELi32ELb0EfPKPKffEviT5_lT_liPT6_PT4_,@function
_ZL24rocblas_dot_kernel_magsqIlLb1ELi1024ELi32ELb0EfPKPKffEviT5_lT_liPT6_PT4_: ; @_ZL24rocblas_dot_kernel_magsqIlLb1ELi1024ELi32ELb0EfPKPKffEviT5_lT_liPT6_PT4_
; %bb.0:
	s_mov_b32 s2, s7
	s_load_dword s12, s[4:5], 0x0
	s_load_dwordx2 s[6:7], s[4:5], 0x38
	s_mov_b32 s3, 0
	v_mov_b32_e32 v1, 0
	s_waitcnt lgkmcnt(0)
	v_cmp_gt_i32_e32 vcc, s12, v0
	s_and_saveexec_b64 s[8:9], vcc
	s_cbranch_execz .LBB189_4
; %bb.1:
	s_load_dwordx2 s[0:1], s[4:5], 0x8
	s_load_dword s10, s[4:5], 0x40
	s_load_dwordx4 s[16:19], s[4:5], 0x10
	s_lshl_b64 s[4:5], s[2:3], 3
	s_waitcnt lgkmcnt(0)
	s_add_u32 s0, s0, s4
	s_addc_u32 s1, s1, s5
	s_load_dwordx2 s[0:1], s[0:1], 0x0
	v_mad_u64_u32 v[2:3], s[4:5], s18, v0, 0
	v_mov_b32_e32 v6, v3
	v_mad_u64_u32 v[6:7], s[4:5], s19, v0, v[6:7]
	s_lshl_b32 s13, s10, 10
	v_mov_b32_e32 v3, v6
	s_lshl_b64 s[4:5], s[16:17], 2
	v_lshlrev_b64 v[2:3], 2, v[2:3]
	s_waitcnt lgkmcnt(0)
	s_add_u32 s0, s0, s4
	s_addc_u32 s1, s1, s5
	v_add_co_u32_e32 v2, vcc, s0, v2
	s_ashr_i32 s0, s13, 31
	v_mov_b32_e32 v1, s1
	s_mul_i32 s0, s18, s0
	s_mul_hi_u32 s1, s18, s13
	s_add_i32 s0, s1, s0
	s_mul_i32 s1, s19, s13
	s_add_i32 s1, s0, s1
	s_mul_i32 s0, s18, s13
	s_lshl_b64 s[10:11], s[0:1], 2
	v_or_b32_e32 v4, s13, v0
	v_addc_co_u32_e32 v3, vcc, v1, v3, vcc
	s_mov_b64 s[4:5], 0
	v_mov_b32_e32 v1, 0
	v_mov_b32_e32 v5, s11
	s_mov_b32 s11, s3
.LBB189_2:                              ; =>This Inner Loop Header: Depth=1
	global_load_dword v6, v[2:3], off
	s_add_i32 s14, s11, 1
	v_add_co_u32_e64 v2, s[0:1], s10, v2
	v_addc_co_u32_e64 v3, s[0:1], v3, v5, s[0:1]
	s_cmp_gt_u32 s11, 30
	v_cmp_le_i32_e32 vcc, s12, v4
	s_cselect_b64 s[0:1], -1, 0
	s_or_b64 s[0:1], s[0:1], vcc
	s_and_b64 s[0:1], exec, s[0:1]
	v_add_u32_e32 v4, s13, v4
	s_mov_b32 s11, s14
	s_or_b64 s[4:5], s[0:1], s[4:5]
	s_waitcnt vmcnt(0)
	v_fmac_f32_e32 v1, v6, v6
	s_andn2_b64 exec, exec, s[4:5]
	s_cbranch_execnz .LBB189_2
; %bb.3:
	s_or_b64 exec, exec, s[4:5]
.LBB189_4:
	s_or_b64 exec, exec, s[8:9]
	v_and_b32_e32 v3, 63, v0
	v_cmp_gt_u32_e32 vcc, 64, v0
	v_lshlrev_b32_e32 v2, 2, v3
	s_and_saveexec_b64 s[0:1], vcc
	s_cbranch_execz .LBB189_6
; %bb.5:
	v_mov_b32_e32 v4, 0
	ds_write_b32 v2, v4
.LBB189_6:
	s_or_b64 exec, exec, s[0:1]
	v_mbcnt_lo_u32_b32 v4, -1, 0
	v_mbcnt_hi_u32_b32 v6, -1, v4
	v_and_b32_e32 v7, 63, v6
	v_cmp_gt_u32_e64 s[0:1], 32, v7
	v_cndmask_b32_e64 v4, 0, 1, s[0:1]
	v_lshlrev_b32_e32 v4, 5, v4
	v_add_lshl_u32 v4, v4, v6, 2
	ds_bpermute_b32 v4, v4, v1
	v_cmp_gt_u32_e64 s[0:1], 48, v7
	v_cndmask_b32_e64 v5, 0, 1, s[0:1]
	v_lshlrev_b32_e32 v5, 4, v5
	v_cmp_gt_u32_e64 s[0:1], 56, v7
	s_waitcnt lgkmcnt(0)
	v_add_f32_e32 v1, v1, v4
	v_add_lshl_u32 v4, v5, v6, 2
	ds_bpermute_b32 v4, v4, v1
	v_cndmask_b32_e64 v5, 0, 1, s[0:1]
	v_lshlrev_b32_e32 v5, 3, v5
	v_cmp_gt_u32_e64 s[0:1], 60, v7
	v_cndmask_b32_e64 v8, 0, 1, s[0:1]
	s_waitcnt lgkmcnt(0)
	v_add_f32_e32 v4, v1, v4
	v_add_lshl_u32 v1, v5, v6, 2
	ds_bpermute_b32 v5, v1, v4
	v_lshlrev_b32_e32 v8, 2, v8
	v_cmp_gt_u32_e64 s[0:1], 62, v7
	v_cndmask_b32_e64 v9, 0, 1, s[0:1]
	v_lshlrev_b32_e32 v9, 1, v9
	s_waitcnt lgkmcnt(0)
	v_add_f32_e32 v5, v4, v5
	v_add_lshl_u32 v4, v8, v6, 2
	ds_bpermute_b32 v8, v4, v5
	v_cmp_ne_u32_e64 s[0:1], 63, v7
	s_waitcnt lgkmcnt(0)
	s_barrier
	v_add_f32_e32 v8, v5, v8
	v_add_lshl_u32 v5, v9, v6, 2
	ds_bpermute_b32 v9, v5, v8
	v_addc_co_u32_e64 v6, s[0:1], 0, v6, s[0:1]
	v_lshlrev_b32_e32 v6, 2, v6
	v_cmp_eq_u32_e64 s[0:1], 0, v3
	s_waitcnt lgkmcnt(0)
	v_add_f32_e32 v7, v8, v9
	ds_bpermute_b32 v8, v6, v7
	s_and_saveexec_b64 s[4:5], s[0:1]
	s_cbranch_execz .LBB189_8
; %bb.7:
	s_waitcnt lgkmcnt(0)
	v_add_f32_e32 v3, v7, v8
	v_lshrrev_b32_e32 v7, 4, v0
	v_and_b32_e32 v7, 60, v7
	ds_write_b32 v7, v3
.LBB189_8:
	s_or_b64 exec, exec, s[4:5]
	v_cmp_gt_u32_e64 s[0:1], 16, v0
	v_mov_b32_e32 v3, 0
	s_waitcnt lgkmcnt(0)
	s_barrier
	s_and_saveexec_b64 s[4:5], s[0:1]
	s_cbranch_execnz .LBB189_12
; %bb.9:
	s_or_b64 exec, exec, s[4:5]
	s_and_saveexec_b64 s[0:1], vcc
	s_cbranch_execnz .LBB189_13
.LBB189_10:
	s_or_b64 exec, exec, s[0:1]
	v_cmp_eq_u32_e32 vcc, 0, v0
	s_and_saveexec_b64 s[0:1], vcc
	s_cbranch_execnz .LBB189_14
.LBB189_11:
	s_endpgm
.LBB189_12:
	ds_read_b32 v3, v2
	s_or_b64 exec, exec, s[4:5]
	s_and_saveexec_b64 s[0:1], vcc
	s_cbranch_execz .LBB189_10
.LBB189_13:
	s_waitcnt lgkmcnt(0)
	ds_bpermute_b32 v1, v1, v3
	s_waitcnt lgkmcnt(0)
	v_add_f32_e32 v1, v3, v1
	ds_bpermute_b32 v2, v4, v1
	s_waitcnt lgkmcnt(0)
	v_add_f32_e32 v1, v1, v2
	ds_bpermute_b32 v2, v5, v1
	s_waitcnt lgkmcnt(0)
	v_add_f32_e32 v1, v1, v2
	ds_bpermute_b32 v2, v6, v1
	s_waitcnt lgkmcnt(0)
	v_add_f32_e32 v3, v1, v2
	s_or_b64 exec, exec, s[0:1]
	v_cmp_eq_u32_e32 vcc, 0, v0
	s_and_saveexec_b64 s[0:1], vcc
	s_cbranch_execz .LBB189_11
.LBB189_14:
	s_lshl_b64 s[0:1], s[2:3], 2
	s_add_u32 s0, s6, s0
	s_addc_u32 s1, s7, s1
	v_mov_b32_e32 v0, 0
	s_waitcnt lgkmcnt(0)
	global_store_dword v0, v3, s[0:1]
	s_endpgm
	.section	.rodata,"a",@progbits
	.p2align	6, 0x0
	.amdhsa_kernel _ZL24rocblas_dot_kernel_magsqIlLb1ELi1024ELi32ELb0EfPKPKffEviT5_lT_liPT6_PT4_
		.amdhsa_group_segment_fixed_size 256
		.amdhsa_private_segment_fixed_size 0
		.amdhsa_kernarg_size 320
		.amdhsa_user_sgpr_count 6
		.amdhsa_user_sgpr_private_segment_buffer 1
		.amdhsa_user_sgpr_dispatch_ptr 0
		.amdhsa_user_sgpr_queue_ptr 0
		.amdhsa_user_sgpr_kernarg_segment_ptr 1
		.amdhsa_user_sgpr_dispatch_id 0
		.amdhsa_user_sgpr_flat_scratch_init 0
		.amdhsa_user_sgpr_kernarg_preload_length 0
		.amdhsa_user_sgpr_kernarg_preload_offset 0
		.amdhsa_user_sgpr_private_segment_size 0
		.amdhsa_uses_dynamic_stack 0
		.amdhsa_system_sgpr_private_segment_wavefront_offset 0
		.amdhsa_system_sgpr_workgroup_id_x 1
		.amdhsa_system_sgpr_workgroup_id_y 0
		.amdhsa_system_sgpr_workgroup_id_z 1
		.amdhsa_system_sgpr_workgroup_info 0
		.amdhsa_system_vgpr_workitem_id 0
		.amdhsa_next_free_vgpr 10
		.amdhsa_next_free_sgpr 20
		.amdhsa_accum_offset 12
		.amdhsa_reserve_vcc 1
		.amdhsa_reserve_flat_scratch 0
		.amdhsa_float_round_mode_32 0
		.amdhsa_float_round_mode_16_64 0
		.amdhsa_float_denorm_mode_32 3
		.amdhsa_float_denorm_mode_16_64 3
		.amdhsa_dx10_clamp 1
		.amdhsa_ieee_mode 1
		.amdhsa_fp16_overflow 0
		.amdhsa_tg_split 0
		.amdhsa_exception_fp_ieee_invalid_op 0
		.amdhsa_exception_fp_denorm_src 0
		.amdhsa_exception_fp_ieee_div_zero 0
		.amdhsa_exception_fp_ieee_overflow 0
		.amdhsa_exception_fp_ieee_underflow 0
		.amdhsa_exception_fp_ieee_inexact 0
		.amdhsa_exception_int_div_zero 0
	.end_amdhsa_kernel
	.section	.text._ZL24rocblas_dot_kernel_magsqIlLb1ELi1024ELi32ELb0EfPKPKffEviT5_lT_liPT6_PT4_,"axG",@progbits,_ZL24rocblas_dot_kernel_magsqIlLb1ELi1024ELi32ELb0EfPKPKffEviT5_lT_liPT6_PT4_,comdat
.Lfunc_end189:
	.size	_ZL24rocblas_dot_kernel_magsqIlLb1ELi1024ELi32ELb0EfPKPKffEviT5_lT_liPT6_PT4_, .Lfunc_end189-_ZL24rocblas_dot_kernel_magsqIlLb1ELi1024ELi32ELb0EfPKPKffEviT5_lT_liPT6_PT4_
                                        ; -- End function
	.section	.AMDGPU.csdata,"",@progbits
; Kernel info:
; codeLenInByte = 840
; NumSgprs: 24
; NumVgprs: 10
; NumAgprs: 0
; TotalNumVgprs: 10
; ScratchSize: 0
; MemoryBound: 0
; FloatMode: 240
; IeeeMode: 1
; LDSByteSize: 256 bytes/workgroup (compile time only)
; SGPRBlocks: 2
; VGPRBlocks: 1
; NumSGPRsForWavesPerEU: 24
; NumVGPRsForWavesPerEU: 10
; AccumOffset: 12
; Occupancy: 8
; WaveLimiterHint : 0
; COMPUTE_PGM_RSRC2:SCRATCH_EN: 0
; COMPUTE_PGM_RSRC2:USER_SGPR: 6
; COMPUTE_PGM_RSRC2:TRAP_HANDLER: 0
; COMPUTE_PGM_RSRC2:TGID_X_EN: 1
; COMPUTE_PGM_RSRC2:TGID_Y_EN: 0
; COMPUTE_PGM_RSRC2:TGID_Z_EN: 1
; COMPUTE_PGM_RSRC2:TIDIG_COMP_CNT: 0
; COMPUTE_PGM_RSRC3_GFX90A:ACCUM_OFFSET: 2
; COMPUTE_PGM_RSRC3_GFX90A:TG_SPLIT: 0
	.section	.text._ZL38rocblas_dot_kernel_gfx942_float_doubleIlLi1024EfPKPKffEviT2_lT_lS4_lS5_lPT3_PT1_,"axG",@progbits,_ZL38rocblas_dot_kernel_gfx942_float_doubleIlLi1024EfPKPKffEviT2_lT_lS4_lS5_lPT3_PT1_,comdat
	.globl	_ZL38rocblas_dot_kernel_gfx942_float_doubleIlLi1024EfPKPKffEviT2_lT_lS4_lS5_lPT3_PT1_ ; -- Begin function _ZL38rocblas_dot_kernel_gfx942_float_doubleIlLi1024EfPKPKffEviT2_lT_lS4_lS5_lPT3_PT1_
	.p2align	8
	.type	_ZL38rocblas_dot_kernel_gfx942_float_doubleIlLi1024EfPKPKffEviT2_lT_lS4_lS5_lPT3_PT1_,@function
_ZL38rocblas_dot_kernel_gfx942_float_doubleIlLi1024EfPKPKffEviT2_lT_lS4_lS5_lPT3_PT1_: ; @_ZL38rocblas_dot_kernel_gfx942_float_doubleIlLi1024EfPKPKffEviT2_lT_lS4_lS5_lPT3_PT1_
; %bb.0:
	s_endpgm
	.section	.rodata,"a",@progbits
	.p2align	6, 0x0
	.amdhsa_kernel _ZL38rocblas_dot_kernel_gfx942_float_doubleIlLi1024EfPKPKffEviT2_lT_lS4_lS5_lPT3_PT1_
		.amdhsa_group_segment_fixed_size 0
		.amdhsa_private_segment_fixed_size 0
		.amdhsa_kernarg_size 88
		.amdhsa_user_sgpr_count 6
		.amdhsa_user_sgpr_private_segment_buffer 1
		.amdhsa_user_sgpr_dispatch_ptr 0
		.amdhsa_user_sgpr_queue_ptr 0
		.amdhsa_user_sgpr_kernarg_segment_ptr 1
		.amdhsa_user_sgpr_dispatch_id 0
		.amdhsa_user_sgpr_flat_scratch_init 0
		.amdhsa_user_sgpr_kernarg_preload_length 0
		.amdhsa_user_sgpr_kernarg_preload_offset 0
		.amdhsa_user_sgpr_private_segment_size 0
		.amdhsa_uses_dynamic_stack 0
		.amdhsa_system_sgpr_private_segment_wavefront_offset 0
		.amdhsa_system_sgpr_workgroup_id_x 1
		.amdhsa_system_sgpr_workgroup_id_y 0
		.amdhsa_system_sgpr_workgroup_id_z 0
		.amdhsa_system_sgpr_workgroup_info 0
		.amdhsa_system_vgpr_workitem_id 0
		.amdhsa_next_free_vgpr 1
		.amdhsa_next_free_sgpr 0
		.amdhsa_accum_offset 4
		.amdhsa_reserve_vcc 0
		.amdhsa_reserve_flat_scratch 0
		.amdhsa_float_round_mode_32 0
		.amdhsa_float_round_mode_16_64 0
		.amdhsa_float_denorm_mode_32 3
		.amdhsa_float_denorm_mode_16_64 3
		.amdhsa_dx10_clamp 1
		.amdhsa_ieee_mode 1
		.amdhsa_fp16_overflow 0
		.amdhsa_tg_split 0
		.amdhsa_exception_fp_ieee_invalid_op 0
		.amdhsa_exception_fp_denorm_src 0
		.amdhsa_exception_fp_ieee_div_zero 0
		.amdhsa_exception_fp_ieee_overflow 0
		.amdhsa_exception_fp_ieee_underflow 0
		.amdhsa_exception_fp_ieee_inexact 0
		.amdhsa_exception_int_div_zero 0
	.end_amdhsa_kernel
	.section	.text._ZL38rocblas_dot_kernel_gfx942_float_doubleIlLi1024EfPKPKffEviT2_lT_lS4_lS5_lPT3_PT1_,"axG",@progbits,_ZL38rocblas_dot_kernel_gfx942_float_doubleIlLi1024EfPKPKffEviT2_lT_lS4_lS5_lPT3_PT1_,comdat
.Lfunc_end190:
	.size	_ZL38rocblas_dot_kernel_gfx942_float_doubleIlLi1024EfPKPKffEviT2_lT_lS4_lS5_lPT3_PT1_, .Lfunc_end190-_ZL38rocblas_dot_kernel_gfx942_float_doubleIlLi1024EfPKPKffEviT2_lT_lS4_lS5_lPT3_PT1_
                                        ; -- End function
	.section	.AMDGPU.csdata,"",@progbits
; Kernel info:
; codeLenInByte = 4
; NumSgprs: 4
; NumVgprs: 0
; NumAgprs: 0
; TotalNumVgprs: 0
; ScratchSize: 0
; MemoryBound: 0
; FloatMode: 240
; IeeeMode: 1
; LDSByteSize: 0 bytes/workgroup (compile time only)
; SGPRBlocks: 0
; VGPRBlocks: 0
; NumSGPRsForWavesPerEU: 4
; NumVGPRsForWavesPerEU: 1
; AccumOffset: 4
; Occupancy: 8
; WaveLimiterHint : 0
; COMPUTE_PGM_RSRC2:SCRATCH_EN: 0
; COMPUTE_PGM_RSRC2:USER_SGPR: 6
; COMPUTE_PGM_RSRC2:TRAP_HANDLER: 0
; COMPUTE_PGM_RSRC2:TGID_X_EN: 1
; COMPUTE_PGM_RSRC2:TGID_Y_EN: 0
; COMPUTE_PGM_RSRC2:TGID_Z_EN: 0
; COMPUTE_PGM_RSRC2:TIDIG_COMP_CNT: 0
; COMPUTE_PGM_RSRC3_GFX90A:ACCUM_OFFSET: 0
; COMPUTE_PGM_RSRC3_GFX90A:TG_SPLIT: 0
	.section	.text._ZL18rocblas_dot_kernelIlLb0ELi512ELi4ELb0EfPKPKffEviT5_lT_lS4_lS5_liPT6_PT4_,"axG",@progbits,_ZL18rocblas_dot_kernelIlLb0ELi512ELi4ELb0EfPKPKffEviT5_lT_lS4_lS5_liPT6_PT4_,comdat
	.globl	_ZL18rocblas_dot_kernelIlLb0ELi512ELi4ELb0EfPKPKffEviT5_lT_lS4_lS5_liPT6_PT4_ ; -- Begin function _ZL18rocblas_dot_kernelIlLb0ELi512ELi4ELb0EfPKPKffEviT5_lT_lS4_lS5_liPT6_PT4_
	.p2align	8
	.type	_ZL18rocblas_dot_kernelIlLb0ELi512ELi4ELb0EfPKPKffEviT5_lT_lS4_lS5_liPT6_PT4_,@function
_ZL18rocblas_dot_kernelIlLb0ELi512ELi4ELb0EfPKPKffEviT5_lT_lS4_lS5_liPT6_PT4_: ; @_ZL18rocblas_dot_kernelIlLb0ELi512ELi4ELb0EfPKPKffEviT5_lT_lS4_lS5_liPT6_PT4_
; %bb.0:
	s_mov_b32 s16, s7
	s_load_dword s20, s[4:5], 0x60
	s_load_dword s7, s[4:5], 0x0
	s_load_dwordx4 s[8:11], s[4:5], 0x50
	v_lshl_or_b32 v4, s6, 9, v0
	s_mov_b32 s17, 0
	v_mov_b32_e32 v6, 0
	s_waitcnt lgkmcnt(0)
	v_cmp_gt_i32_e32 vcc, s7, v4
	s_and_saveexec_b64 s[18:19], vcc
	s_cbranch_execz .LBB191_4
; %bb.1:
	s_load_dwordx2 s[22:23], s[4:5], 0x8
	s_load_dwordx4 s[12:15], s[4:5], 0x10
	s_load_dwordx2 s[24:25], s[4:5], 0x28
	s_load_dwordx4 s[0:3], s[4:5], 0x30
	s_lshl_b64 s[4:5], s[16:17], 3
	s_waitcnt lgkmcnt(0)
	s_add_u32 s22, s22, s4
	s_addc_u32 s23, s23, s5
	s_load_dwordx2 s[22:23], s[22:23], 0x0
	s_add_u32 s4, s24, s4
	s_addc_u32 s5, s25, s5
	s_load_dwordx2 s[24:25], s[4:5], 0x0
	v_ashrrev_i32_e32 v5, 31, v4
	v_mad_u64_u32 v[2:3], s[4:5], s14, v4, 0
	s_lshl_b32 s21, s20, 9
	v_mul_lo_u32 v6, s15, v4
	v_mul_lo_u32 v7, s14, v5
	s_lshl_b64 s[4:5], s[12:13], 2
	v_add3_u32 v3, v3, v7, v6
	s_waitcnt lgkmcnt(0)
	s_add_u32 s4, s22, s4
	v_lshlrev_b64 v[2:3], 2, v[2:3]
	s_addc_u32 s5, s23, s5
	s_ashr_i32 s22, s21, 31
	v_mov_b32_e32 v6, s5
	v_add_co_u32_e32 v2, vcc, s4, v2
	s_mul_i32 s4, s14, s22
	s_mul_hi_u32 s5, s14, s21
	s_add_i32 s4, s5, s4
	s_mul_i32 s5, s15, s21
	s_add_i32 s5, s4, s5
	s_mul_i32 s4, s14, s21
	v_add_u32_e32 v1, s21, v4
	v_addc_co_u32_e32 v3, vcc, v6, v3, vcc
	s_lshl_b64 s[4:5], s[4:5], 2
	v_mul_lo_u32 v6, s3, v4
	v_mul_lo_u32 v7, s2, v5
	v_mad_u64_u32 v[4:5], s[12:13], s2, v4, 0
	s_lshl_b64 s[0:1], s[0:1], 2
	v_add3_u32 v5, v5, v7, v6
	s_add_u32 s0, s24, s0
	v_lshlrev_b64 v[4:5], 2, v[4:5]
	s_addc_u32 s1, s25, s1
	v_mov_b32_e32 v6, s1
	v_add_co_u32_e32 v4, vcc, s0, v4
	s_mul_i32 s0, s2, s22
	s_mul_hi_u32 s1, s2, s21
	s_add_i32 s0, s1, s0
	s_mul_i32 s1, s3, s21
	s_add_i32 s1, s0, s1
	s_mul_i32 s0, s2, s21
	s_lshl_b64 s[12:13], s[0:1], 2
	v_addc_co_u32_e32 v5, vcc, v6, v5, vcc
	s_mov_b64 s[2:3], 0
	v_mov_b32_e32 v6, 0
	v_mov_b32_e32 v7, s5
	;; [unrolled: 1-line block ×3, first 2 shown]
	s_mov_b32 s5, s17
.LBB191_2:                              ; =>This Inner Loop Header: Depth=1
	global_load_dword v9, v[4:5], off
	global_load_dword v10, v[2:3], off
	v_add_co_u32_e64 v2, s[0:1], s4, v2
	v_addc_co_u32_e64 v3, s[0:1], v3, v7, s[0:1]
	s_add_i32 s13, s5, 1
	v_add_co_u32_e64 v4, s[0:1], s12, v4
	v_addc_co_u32_e64 v5, s[0:1], v5, v8, s[0:1]
	s_cmp_gt_u32 s5, 2
	v_cmp_le_i32_e32 vcc, s7, v1
	s_cselect_b64 s[0:1], -1, 0
	s_or_b64 s[0:1], s[0:1], vcc
	s_and_b64 s[0:1], exec, s[0:1]
	v_add_u32_e32 v1, s21, v1
	s_mov_b32 s5, s13
	s_or_b64 s[2:3], s[0:1], s[2:3]
	s_waitcnt vmcnt(0)
	v_fmac_f32_e32 v6, v9, v10
	s_andn2_b64 exec, exec, s[2:3]
	s_cbranch_execnz .LBB191_2
; %bb.3:
	s_or_b64 exec, exec, s[2:3]
.LBB191_4:
	s_or_b64 exec, exec, s[18:19]
	v_and_b32_e32 v2, 63, v0
	v_cmp_gt_u32_e32 vcc, 64, v0
	v_lshlrev_b32_e32 v1, 2, v2
	s_and_saveexec_b64 s[0:1], vcc
	s_cbranch_execz .LBB191_6
; %bb.5:
	v_mov_b32_e32 v3, 0
	ds_write_b32 v1, v3
.LBB191_6:
	s_or_b64 exec, exec, s[0:1]
	v_mbcnt_lo_u32_b32 v3, -1, 0
	v_mbcnt_hi_u32_b32 v5, -1, v3
	v_and_b32_e32 v7, 63, v5
	v_cmp_gt_u32_e64 s[0:1], 32, v7
	v_cndmask_b32_e64 v3, 0, 1, s[0:1]
	v_lshlrev_b32_e32 v3, 5, v3
	v_add_lshl_u32 v3, v3, v5, 2
	ds_bpermute_b32 v3, v3, v6
	v_cmp_gt_u32_e64 s[0:1], 48, v7
	v_cndmask_b32_e64 v4, 0, 1, s[0:1]
	v_lshlrev_b32_e32 v4, 4, v4
	v_add_lshl_u32 v4, v4, v5, 2
	s_waitcnt lgkmcnt(0)
	v_add_f32_e32 v3, v6, v3
	ds_bpermute_b32 v4, v4, v3
	v_cmp_gt_u32_e64 s[0:1], 56, v7
	v_cndmask_b32_e64 v6, 0, 1, s[0:1]
	v_lshlrev_b32_e32 v6, 3, v6
	v_cmp_gt_u32_e64 s[0:1], 60, v7
	s_waitcnt lgkmcnt(0)
	v_add_f32_e32 v3, v3, v4
	v_add_lshl_u32 v4, v6, v5, 2
	ds_bpermute_b32 v4, v4, v3
	v_cndmask_b32_e64 v6, 0, 1, s[0:1]
	v_lshlrev_b32_e32 v6, 2, v6
	v_cmp_gt_u32_e64 s[0:1], 62, v7
	v_cndmask_b32_e64 v8, 0, 1, s[0:1]
	s_waitcnt lgkmcnt(0)
	v_add_f32_e32 v4, v3, v4
	v_add_lshl_u32 v3, v6, v5, 2
	ds_bpermute_b32 v6, v3, v4
	v_lshlrev_b32_e32 v8, 1, v8
	v_cmp_ne_u32_e64 s[0:1], 63, v7
	s_waitcnt lgkmcnt(0)
	s_barrier
	v_add_f32_e32 v6, v4, v6
	v_add_lshl_u32 v4, v8, v5, 2
	ds_bpermute_b32 v8, v4, v6
	v_addc_co_u32_e64 v5, s[0:1], 0, v5, s[0:1]
	v_lshlrev_b32_e32 v5, 2, v5
	v_cmp_eq_u32_e64 s[0:1], 0, v2
	s_waitcnt lgkmcnt(0)
	v_add_f32_e32 v6, v6, v8
	ds_bpermute_b32 v7, v5, v6
	s_waitcnt lgkmcnt(0)
	s_and_saveexec_b64 s[2:3], s[0:1]
	s_cbranch_execz .LBB191_8
; %bb.7:
	v_add_f32_e32 v2, v6, v7
	v_lshrrev_b32_e32 v6, 4, v0
	v_and_b32_e32 v6, 28, v6
	ds_write_b32 v6, v2
.LBB191_8:
	s_or_b64 exec, exec, s[2:3]
	v_cmp_gt_u32_e64 s[0:1], 8, v0
	v_mov_b32_e32 v2, 0
	s_waitcnt lgkmcnt(0)
	s_barrier
	s_and_saveexec_b64 s[2:3], s[0:1]
	s_cbranch_execnz .LBB191_12
; %bb.9:
	s_or_b64 exec, exec, s[2:3]
	s_and_saveexec_b64 s[0:1], vcc
	s_cbranch_execnz .LBB191_13
.LBB191_10:
	s_or_b64 exec, exec, s[0:1]
	v_cmp_eq_u32_e32 vcc, 0, v0
	s_and_saveexec_b64 s[0:1], vcc
	s_cbranch_execnz .LBB191_14
.LBB191_11:
	s_endpgm
.LBB191_12:
	ds_read_b32 v2, v1
	s_or_b64 exec, exec, s[2:3]
	s_and_saveexec_b64 s[0:1], vcc
	s_cbranch_execz .LBB191_10
.LBB191_13:
	s_waitcnt lgkmcnt(0)
	ds_bpermute_b32 v1, v3, v2
	s_waitcnt lgkmcnt(0)
	v_add_f32_e32 v1, v2, v1
	ds_bpermute_b32 v2, v4, v1
	s_waitcnt lgkmcnt(0)
	v_add_f32_e32 v1, v1, v2
	;; [unrolled: 3-line block ×3, first 2 shown]
	s_or_b64 exec, exec, s[0:1]
	v_cmp_eq_u32_e32 vcc, 0, v0
	s_and_saveexec_b64 s[0:1], vcc
	s_cbranch_execz .LBB191_11
.LBB191_14:
	s_cmp_lg_u32 s20, 1
	s_cbranch_scc0 .LBB191_16
; %bb.15:
	s_mul_hi_u32 s1, s20, s16
	s_mul_i32 s0, s20, s16
	s_lshl_b64 s[0:1], s[0:1], 2
	s_mov_b32 s7, 0
	s_add_u32 s2, s8, s0
	s_addc_u32 s3, s9, s1
	s_lshl_b64 s[0:1], s[6:7], 2
	s_add_u32 s0, s2, s0
	s_addc_u32 s1, s3, s1
	s_cbranch_execz .LBB191_17
	s_branch .LBB191_18
.LBB191_16:
                                        ; implicit-def: $sgpr0_sgpr1
.LBB191_17:
	s_lshl_b64 s[0:1], s[16:17], 2
	s_add_u32 s0, s10, s0
	s_addc_u32 s1, s11, s1
.LBB191_18:
	v_mov_b32_e32 v0, 0
	s_waitcnt lgkmcnt(0)
	global_store_dword v0, v2, s[0:1]
	s_endpgm
	.section	.rodata,"a",@progbits
	.p2align	6, 0x0
	.amdhsa_kernel _ZL18rocblas_dot_kernelIlLb0ELi512ELi4ELb0EfPKPKffEviT5_lT_lS4_lS5_liPT6_PT4_
		.amdhsa_group_segment_fixed_size 256
		.amdhsa_private_segment_fixed_size 0
		.amdhsa_kernarg_size 352
		.amdhsa_user_sgpr_count 6
		.amdhsa_user_sgpr_private_segment_buffer 1
		.amdhsa_user_sgpr_dispatch_ptr 0
		.amdhsa_user_sgpr_queue_ptr 0
		.amdhsa_user_sgpr_kernarg_segment_ptr 1
		.amdhsa_user_sgpr_dispatch_id 0
		.amdhsa_user_sgpr_flat_scratch_init 0
		.amdhsa_user_sgpr_kernarg_preload_length 0
		.amdhsa_user_sgpr_kernarg_preload_offset 0
		.amdhsa_user_sgpr_private_segment_size 0
		.amdhsa_uses_dynamic_stack 0
		.amdhsa_system_sgpr_private_segment_wavefront_offset 0
		.amdhsa_system_sgpr_workgroup_id_x 1
		.amdhsa_system_sgpr_workgroup_id_y 0
		.amdhsa_system_sgpr_workgroup_id_z 1
		.amdhsa_system_sgpr_workgroup_info 0
		.amdhsa_system_vgpr_workitem_id 0
		.amdhsa_next_free_vgpr 11
		.amdhsa_next_free_sgpr 26
		.amdhsa_accum_offset 12
		.amdhsa_reserve_vcc 1
		.amdhsa_reserve_flat_scratch 0
		.amdhsa_float_round_mode_32 0
		.amdhsa_float_round_mode_16_64 0
		.amdhsa_float_denorm_mode_32 3
		.amdhsa_float_denorm_mode_16_64 3
		.amdhsa_dx10_clamp 1
		.amdhsa_ieee_mode 1
		.amdhsa_fp16_overflow 0
		.amdhsa_tg_split 0
		.amdhsa_exception_fp_ieee_invalid_op 0
		.amdhsa_exception_fp_denorm_src 0
		.amdhsa_exception_fp_ieee_div_zero 0
		.amdhsa_exception_fp_ieee_overflow 0
		.amdhsa_exception_fp_ieee_underflow 0
		.amdhsa_exception_fp_ieee_inexact 0
		.amdhsa_exception_int_div_zero 0
	.end_amdhsa_kernel
	.section	.text._ZL18rocblas_dot_kernelIlLb0ELi512ELi4ELb0EfPKPKffEviT5_lT_lS4_lS5_liPT6_PT4_,"axG",@progbits,_ZL18rocblas_dot_kernelIlLb0ELi512ELi4ELb0EfPKPKffEviT5_lT_lS4_lS5_liPT6_PT4_,comdat
.Lfunc_end191:
	.size	_ZL18rocblas_dot_kernelIlLb0ELi512ELi4ELb0EfPKPKffEviT5_lT_lS4_lS5_liPT6_PT4_, .Lfunc_end191-_ZL18rocblas_dot_kernelIlLb0ELi512ELi4ELb0EfPKPKffEviT5_lT_lS4_lS5_liPT6_PT4_
                                        ; -- End function
	.section	.AMDGPU.csdata,"",@progbits
; Kernel info:
; codeLenInByte = 1048
; NumSgprs: 30
; NumVgprs: 11
; NumAgprs: 0
; TotalNumVgprs: 11
; ScratchSize: 0
; MemoryBound: 0
; FloatMode: 240
; IeeeMode: 1
; LDSByteSize: 256 bytes/workgroup (compile time only)
; SGPRBlocks: 3
; VGPRBlocks: 1
; NumSGPRsForWavesPerEU: 30
; NumVGPRsForWavesPerEU: 11
; AccumOffset: 12
; Occupancy: 8
; WaveLimiterHint : 0
; COMPUTE_PGM_RSRC2:SCRATCH_EN: 0
; COMPUTE_PGM_RSRC2:USER_SGPR: 6
; COMPUTE_PGM_RSRC2:TRAP_HANDLER: 0
; COMPUTE_PGM_RSRC2:TGID_X_EN: 1
; COMPUTE_PGM_RSRC2:TGID_Y_EN: 0
; COMPUTE_PGM_RSRC2:TGID_Z_EN: 1
; COMPUTE_PGM_RSRC2:TIDIG_COMP_CNT: 0
; COMPUTE_PGM_RSRC3_GFX90A:ACCUM_OFFSET: 2
; COMPUTE_PGM_RSRC3_GFX90A:TG_SPLIT: 0
	.section	.text._ZL24rocblas_dot_kernel_magsqIlLb0ELi512ELi4ELb0EfPKPKffEviT5_lT_liPT6_PT4_,"axG",@progbits,_ZL24rocblas_dot_kernel_magsqIlLb0ELi512ELi4ELb0EfPKPKffEviT5_lT_liPT6_PT4_,comdat
	.globl	_ZL24rocblas_dot_kernel_magsqIlLb0ELi512ELi4ELb0EfPKPKffEviT5_lT_liPT6_PT4_ ; -- Begin function _ZL24rocblas_dot_kernel_magsqIlLb0ELi512ELi4ELb0EfPKPKffEviT5_lT_liPT6_PT4_
	.p2align	8
	.type	_ZL24rocblas_dot_kernel_magsqIlLb0ELi512ELi4ELb0EfPKPKffEviT5_lT_liPT6_PT4_,@function
_ZL24rocblas_dot_kernel_magsqIlLb0ELi512ELi4ELb0EfPKPKffEviT5_lT_liPT6_PT4_: ; @_ZL24rocblas_dot_kernel_magsqIlLb0ELi512ELi4ELb0EfPKPKffEviT5_lT_liPT6_PT4_
; %bb.0:
	s_mov_b32 s2, s7
	s_load_dword s7, s[4:5], 0x0
	s_load_dwordx4 s[8:11], s[4:5], 0x30
	s_load_dword s16, s[4:5], 0x40
	v_lshl_or_b32 v2, s6, 9, v0
	s_mov_b32 s3, 0
	s_waitcnt lgkmcnt(0)
	v_cmp_gt_i32_e32 vcc, s7, v2
	v_mov_b32_e32 v1, 0
	s_and_saveexec_b64 s[12:13], vcc
	s_cbranch_execz .LBB192_4
; %bb.1:
	s_load_dwordx2 s[0:1], s[4:5], 0x8
	s_load_dwordx4 s[20:23], s[4:5], 0x10
	s_lshl_b64 s[4:5], s[2:3], 3
	v_ashrrev_i32_e32 v1, 31, v2
	s_waitcnt lgkmcnt(0)
	s_add_u32 s0, s0, s4
	s_addc_u32 s1, s1, s5
	s_load_dwordx2 s[0:1], s[0:1], 0x0
	s_lshl_b32 s17, s16, 9
	v_add_u32_e32 v4, s17, v2
	v_mul_lo_u32 v5, s23, v2
	v_mul_lo_u32 v1, s22, v1
	v_mad_u64_u32 v[2:3], s[4:5], s22, v2, 0
	v_add3_u32 v3, v3, v1, v5
	s_lshl_b64 s[4:5], s[20:21], 2
	v_lshlrev_b64 v[2:3], 2, v[2:3]
	s_waitcnt lgkmcnt(0)
	s_add_u32 s0, s0, s4
	s_addc_u32 s1, s1, s5
	v_add_co_u32_e32 v2, vcc, s0, v2
	s_ashr_i32 s0, s17, 31
	v_mov_b32_e32 v1, s1
	s_mul_i32 s0, s22, s0
	s_mul_hi_u32 s1, s22, s17
	s_add_i32 s0, s1, s0
	s_mul_i32 s1, s23, s17
	s_add_i32 s1, s0, s1
	s_mul_i32 s0, s22, s17
	s_lshl_b64 s[14:15], s[0:1], 2
	v_addc_co_u32_e32 v3, vcc, v1, v3, vcc
	s_mov_b64 s[4:5], 0
	v_mov_b32_e32 v1, 0
	v_mov_b32_e32 v5, s15
	s_mov_b32 s15, s3
.LBB192_2:                              ; =>This Inner Loop Header: Depth=1
	global_load_dword v6, v[2:3], off
	s_add_i32 s18, s15, 1
	v_add_co_u32_e64 v2, s[0:1], s14, v2
	v_addc_co_u32_e64 v3, s[0:1], v3, v5, s[0:1]
	s_cmp_gt_u32 s15, 2
	v_cmp_le_i32_e32 vcc, s7, v4
	s_cselect_b64 s[0:1], -1, 0
	s_or_b64 s[0:1], s[0:1], vcc
	s_and_b64 s[0:1], exec, s[0:1]
	v_add_u32_e32 v4, s17, v4
	s_mov_b32 s15, s18
	s_or_b64 s[4:5], s[0:1], s[4:5]
	s_waitcnt vmcnt(0)
	v_fmac_f32_e32 v1, v6, v6
	s_andn2_b64 exec, exec, s[4:5]
	s_cbranch_execnz .LBB192_2
; %bb.3:
	s_or_b64 exec, exec, s[4:5]
.LBB192_4:
	s_or_b64 exec, exec, s[12:13]
	v_and_b32_e32 v3, 63, v0
	v_cmp_gt_u32_e32 vcc, 64, v0
	v_lshlrev_b32_e32 v2, 2, v3
	s_and_saveexec_b64 s[0:1], vcc
	s_cbranch_execz .LBB192_6
; %bb.5:
	v_mov_b32_e32 v4, 0
	ds_write_b32 v2, v4
.LBB192_6:
	s_or_b64 exec, exec, s[0:1]
	v_mbcnt_lo_u32_b32 v4, -1, 0
	v_mbcnt_hi_u32_b32 v6, -1, v4
	v_and_b32_e32 v7, 63, v6
	v_cmp_gt_u32_e64 s[0:1], 32, v7
	v_cndmask_b32_e64 v4, 0, 1, s[0:1]
	v_lshlrev_b32_e32 v4, 5, v4
	v_add_lshl_u32 v4, v4, v6, 2
	ds_bpermute_b32 v4, v4, v1
	v_cmp_gt_u32_e64 s[0:1], 48, v7
	v_cndmask_b32_e64 v5, 0, 1, s[0:1]
	v_lshlrev_b32_e32 v5, 4, v5
	v_cmp_gt_u32_e64 s[0:1], 56, v7
	s_waitcnt lgkmcnt(0)
	v_add_f32_e32 v1, v1, v4
	v_add_lshl_u32 v4, v5, v6, 2
	ds_bpermute_b32 v4, v4, v1
	v_cndmask_b32_e64 v5, 0, 1, s[0:1]
	v_lshlrev_b32_e32 v5, 3, v5
	v_cmp_gt_u32_e64 s[0:1], 60, v7
	s_waitcnt lgkmcnt(0)
	v_add_f32_e32 v1, v1, v4
	v_add_lshl_u32 v4, v5, v6, 2
	ds_bpermute_b32 v4, v4, v1
	v_cndmask_b32_e64 v5, 0, 1, s[0:1]
	v_lshlrev_b32_e32 v5, 2, v5
	v_cmp_gt_u32_e64 s[0:1], 62, v7
	v_cndmask_b32_e64 v8, 0, 1, s[0:1]
	s_waitcnt lgkmcnt(0)
	v_add_f32_e32 v1, v1, v4
	v_add_lshl_u32 v4, v5, v6, 2
	ds_bpermute_b32 v5, v4, v1
	v_lshlrev_b32_e32 v8, 1, v8
	v_cmp_ne_u32_e64 s[0:1], 63, v7
	s_barrier
	s_waitcnt lgkmcnt(0)
	v_add_f32_e32 v1, v1, v5
	v_add_lshl_u32 v5, v8, v6, 2
	ds_bpermute_b32 v8, v5, v1
	v_addc_co_u32_e64 v6, s[0:1], 0, v6, s[0:1]
	v_lshlrev_b32_e32 v6, 2, v6
	v_cmp_eq_u32_e64 s[0:1], 0, v3
	s_waitcnt lgkmcnt(0)
	v_add_f32_e32 v1, v1, v8
	ds_bpermute_b32 v7, v6, v1
	s_and_saveexec_b64 s[4:5], s[0:1]
	s_cbranch_execz .LBB192_8
; %bb.7:
	v_lshrrev_b32_e32 v3, 4, v0
	s_waitcnt lgkmcnt(0)
	v_add_f32_e32 v1, v1, v7
	v_and_b32_e32 v3, 28, v3
	ds_write_b32 v3, v1
.LBB192_8:
	s_or_b64 exec, exec, s[4:5]
	v_cmp_gt_u32_e64 s[0:1], 8, v0
	v_mov_b32_e32 v1, 0
	s_waitcnt lgkmcnt(0)
	s_barrier
	s_and_saveexec_b64 s[4:5], s[0:1]
	s_cbranch_execnz .LBB192_12
; %bb.9:
	s_or_b64 exec, exec, s[4:5]
	s_and_saveexec_b64 s[0:1], vcc
	s_cbranch_execnz .LBB192_13
.LBB192_10:
	s_or_b64 exec, exec, s[0:1]
	v_cmp_eq_u32_e32 vcc, 0, v0
	s_and_saveexec_b64 s[0:1], vcc
	s_cbranch_execnz .LBB192_14
.LBB192_11:
	s_endpgm
.LBB192_12:
	ds_read_b32 v1, v2
	s_or_b64 exec, exec, s[4:5]
	s_and_saveexec_b64 s[0:1], vcc
	s_cbranch_execz .LBB192_10
.LBB192_13:
	s_waitcnt lgkmcnt(0)
	ds_bpermute_b32 v2, v4, v1
	s_waitcnt lgkmcnt(0)
	v_add_f32_e32 v1, v1, v2
	ds_bpermute_b32 v2, v5, v1
	s_waitcnt lgkmcnt(0)
	v_add_f32_e32 v1, v1, v2
	;; [unrolled: 3-line block ×3, first 2 shown]
	s_or_b64 exec, exec, s[0:1]
	v_cmp_eq_u32_e32 vcc, 0, v0
	s_and_saveexec_b64 s[0:1], vcc
	s_cbranch_execz .LBB192_11
.LBB192_14:
	s_cmp_lg_u32 s16, 1
	s_cbranch_scc0 .LBB192_16
; %bb.15:
	s_mul_hi_u32 s1, s16, s2
	s_mul_i32 s0, s16, s2
	s_lshl_b64 s[0:1], s[0:1], 2
	s_mov_b32 s7, 0
	s_add_u32 s4, s8, s0
	s_addc_u32 s5, s9, s1
	s_lshl_b64 s[0:1], s[6:7], 2
	s_add_u32 s0, s4, s0
	s_addc_u32 s1, s5, s1
	s_cbranch_execz .LBB192_17
	s_branch .LBB192_18
.LBB192_16:
                                        ; implicit-def: $sgpr0_sgpr1
.LBB192_17:
	s_lshl_b64 s[0:1], s[2:3], 2
	s_add_u32 s0, s10, s0
	s_addc_u32 s1, s11, s1
.LBB192_18:
	v_mov_b32_e32 v0, 0
	s_waitcnt lgkmcnt(0)
	global_store_dword v0, v1, s[0:1]
	s_endpgm
	.section	.rodata,"a",@progbits
	.p2align	6, 0x0
	.amdhsa_kernel _ZL24rocblas_dot_kernel_magsqIlLb0ELi512ELi4ELb0EfPKPKffEviT5_lT_liPT6_PT4_
		.amdhsa_group_segment_fixed_size 256
		.amdhsa_private_segment_fixed_size 0
		.amdhsa_kernarg_size 320
		.amdhsa_user_sgpr_count 6
		.amdhsa_user_sgpr_private_segment_buffer 1
		.amdhsa_user_sgpr_dispatch_ptr 0
		.amdhsa_user_sgpr_queue_ptr 0
		.amdhsa_user_sgpr_kernarg_segment_ptr 1
		.amdhsa_user_sgpr_dispatch_id 0
		.amdhsa_user_sgpr_flat_scratch_init 0
		.amdhsa_user_sgpr_kernarg_preload_length 0
		.amdhsa_user_sgpr_kernarg_preload_offset 0
		.amdhsa_user_sgpr_private_segment_size 0
		.amdhsa_uses_dynamic_stack 0
		.amdhsa_system_sgpr_private_segment_wavefront_offset 0
		.amdhsa_system_sgpr_workgroup_id_x 1
		.amdhsa_system_sgpr_workgroup_id_y 0
		.amdhsa_system_sgpr_workgroup_id_z 1
		.amdhsa_system_sgpr_workgroup_info 0
		.amdhsa_system_vgpr_workitem_id 0
		.amdhsa_next_free_vgpr 9
		.amdhsa_next_free_sgpr 24
		.amdhsa_accum_offset 12
		.amdhsa_reserve_vcc 1
		.amdhsa_reserve_flat_scratch 0
		.amdhsa_float_round_mode_32 0
		.amdhsa_float_round_mode_16_64 0
		.amdhsa_float_denorm_mode_32 3
		.amdhsa_float_denorm_mode_16_64 3
		.amdhsa_dx10_clamp 1
		.amdhsa_ieee_mode 1
		.amdhsa_fp16_overflow 0
		.amdhsa_tg_split 0
		.amdhsa_exception_fp_ieee_invalid_op 0
		.amdhsa_exception_fp_denorm_src 0
		.amdhsa_exception_fp_ieee_div_zero 0
		.amdhsa_exception_fp_ieee_overflow 0
		.amdhsa_exception_fp_ieee_underflow 0
		.amdhsa_exception_fp_ieee_inexact 0
		.amdhsa_exception_int_div_zero 0
	.end_amdhsa_kernel
	.section	.text._ZL24rocblas_dot_kernel_magsqIlLb0ELi512ELi4ELb0EfPKPKffEviT5_lT_liPT6_PT4_,"axG",@progbits,_ZL24rocblas_dot_kernel_magsqIlLb0ELi512ELi4ELb0EfPKPKffEviT5_lT_liPT6_PT4_,comdat
.Lfunc_end192:
	.size	_ZL24rocblas_dot_kernel_magsqIlLb0ELi512ELi4ELb0EfPKPKffEviT5_lT_liPT6_PT4_, .Lfunc_end192-_ZL24rocblas_dot_kernel_magsqIlLb0ELi512ELi4ELb0EfPKPKffEviT5_lT_liPT6_PT4_
                                        ; -- End function
	.section	.AMDGPU.csdata,"",@progbits
; Kernel info:
; codeLenInByte = 896
; NumSgprs: 28
; NumVgprs: 9
; NumAgprs: 0
; TotalNumVgprs: 9
; ScratchSize: 0
; MemoryBound: 0
; FloatMode: 240
; IeeeMode: 1
; LDSByteSize: 256 bytes/workgroup (compile time only)
; SGPRBlocks: 3
; VGPRBlocks: 1
; NumSGPRsForWavesPerEU: 28
; NumVGPRsForWavesPerEU: 9
; AccumOffset: 12
; Occupancy: 8
; WaveLimiterHint : 0
; COMPUTE_PGM_RSRC2:SCRATCH_EN: 0
; COMPUTE_PGM_RSRC2:USER_SGPR: 6
; COMPUTE_PGM_RSRC2:TRAP_HANDLER: 0
; COMPUTE_PGM_RSRC2:TGID_X_EN: 1
; COMPUTE_PGM_RSRC2:TGID_Y_EN: 0
; COMPUTE_PGM_RSRC2:TGID_Z_EN: 1
; COMPUTE_PGM_RSRC2:TIDIG_COMP_CNT: 0
; COMPUTE_PGM_RSRC3_GFX90A:ACCUM_OFFSET: 2
; COMPUTE_PGM_RSRC3_GFX90A:TG_SPLIT: 0
	.section	.text._ZL28rocblas_dot_batched_4_kernelIiLi32ELi4ELb0EddPKPKdEviT5_lT_lS4_lS5_liPT4_,"axG",@progbits,_ZL28rocblas_dot_batched_4_kernelIiLi32ELi4ELb0EddPKPKdEviT5_lT_lS4_lS5_liPT4_,comdat
	.globl	_ZL28rocblas_dot_batched_4_kernelIiLi32ELi4ELb0EddPKPKdEviT5_lT_lS4_lS5_liPT4_ ; -- Begin function _ZL28rocblas_dot_batched_4_kernelIiLi32ELi4ELb0EddPKPKdEviT5_lT_lS4_lS5_liPT4_
	.p2align	8
	.type	_ZL28rocblas_dot_batched_4_kernelIiLi32ELi4ELb0EddPKPKdEviT5_lT_lS4_lS5_liPT4_,@function
_ZL28rocblas_dot_batched_4_kernelIiLi32ELi4ELb0EddPKPKdEviT5_lT_lS4_lS5_liPT4_: ; @_ZL28rocblas_dot_batched_4_kernelIiLi32ELi4ELb0EddPKPKdEviT5_lT_lS4_lS5_liPT4_
; %bb.0:
	s_load_dword s0, s[4:5], 0x48
	v_bfe_u32 v1, v0, 10, 10
	v_lshl_add_u32 v4, s6, 2, v1
	s_waitcnt lgkmcnt(0)
	v_cmp_gt_u32_e32 vcc, s0, v4
	s_and_saveexec_b64 s[0:1], vcc
	s_cbranch_execz .LBB193_7
; %bb.1:
	s_load_dword s14, s[4:5], 0x0
	s_load_dwordx2 s[6:7], s[4:5], 0x50
	v_mov_b32_e32 v5, 0
	v_and_b32_e32 v8, 0x3ff, v0
	v_pk_mov_b32 v[2:3], 0, 0
	s_waitcnt lgkmcnt(0)
	v_cmp_gt_i32_e32 vcc, s14, v8
	v_lshlrev_b64 v[0:1], 3, v[4:5]
	s_and_saveexec_b64 s[12:13], vcc
	s_cbranch_execz .LBB193_5
; %bb.2:
	s_load_dwordx4 s[0:3], s[4:5], 0x8
	s_load_dwordx4 s[8:11], s[4:5], 0x28
	s_load_dword s16, s[4:5], 0x18
	s_waitcnt lgkmcnt(0)
	v_mov_b32_e32 v3, s1
	v_add_co_u32_e32 v2, vcc, s0, v0
	v_addc_co_u32_e32 v3, vcc, v3, v1, vcc
	global_load_dwordx2 v[4:5], v[2:3], off
	v_mov_b32_e32 v3, s9
	v_add_co_u32_e32 v2, vcc, s8, v0
	v_addc_co_u32_e32 v3, vcc, v3, v1, vcc
	global_load_dwordx2 v[6:7], v[2:3], off
	s_load_dword s4, s[4:5], 0x38
	v_mad_i64_i32 v[10:11], s[8:9], s16, v8, 0
	s_lshl_b64 s[8:9], s[2:3], 3
	v_lshlrev_b64 v[10:11], 3, v[10:11]
	s_waitcnt lgkmcnt(0)
	v_mad_i64_i32 v[12:13], s[2:3], s4, v8, 0
	v_mov_b32_e32 v9, s9
	v_add_co_u32_e32 v15, vcc, s8, v10
	s_lshl_b64 s[10:11], s[10:11], 3
	v_lshlrev_b64 v[12:13], 3, v[12:13]
	v_addc_co_u32_e32 v11, vcc, v11, v9, vcc
	v_mov_b32_e32 v14, s11
	v_add_co_u32_e32 v12, vcc, s10, v12
	v_addc_co_u32_e32 v13, vcc, v13, v14, vcc
	s_ashr_i32 s17, s16, 31
	s_ashr_i32 s5, s4, 31
	s_lshl_b64 s[2:3], s[16:17], 8
	s_lshl_b64 s[4:5], s[4:5], 8
	s_mov_b64 s[0:1], 0
	v_pk_mov_b32 v[2:3], 0, 0
	v_mov_b32_e32 v9, s3
	v_mov_b32_e32 v10, s5
	s_waitcnt vmcnt(1)
	v_add_co_u32_e32 v4, vcc, v4, v15
	v_addc_co_u32_e32 v5, vcc, v5, v11, vcc
	v_mov_b32_e32 v11, v8
	s_waitcnt vmcnt(0)
	v_add_co_u32_e32 v6, vcc, v6, v12
	v_addc_co_u32_e32 v7, vcc, v7, v13, vcc
.LBB193_3:                              ; =>This Inner Loop Header: Depth=1
	global_load_dwordx2 v[12:13], v[4:5], off
	global_load_dwordx2 v[14:15], v[6:7], off
	v_add_co_u32_e32 v4, vcc, s2, v4
	v_addc_co_u32_e32 v5, vcc, v5, v9, vcc
	v_add_co_u32_e32 v6, vcc, s4, v6
	v_add_u32_e32 v11, 32, v11
	v_addc_co_u32_e32 v7, vcc, v7, v10, vcc
	v_cmp_le_i32_e32 vcc, s14, v11
	s_or_b64 s[0:1], vcc, s[0:1]
	s_waitcnt vmcnt(0)
	v_fmac_f64_e32 v[2:3], v[12:13], v[14:15]
	s_andn2_b64 exec, exec, s[0:1]
	s_cbranch_execnz .LBB193_3
; %bb.4:
	s_or_b64 exec, exec, s[0:1]
.LBB193_5:
	s_or_b64 exec, exec, s[12:13]
	v_mbcnt_lo_u32_b32 v4, -1, 0
	v_mbcnt_hi_u32_b32 v6, -1, v4
	v_and_b32_e32 v7, 63, v6
	v_cmp_gt_u32_e32 vcc, 48, v7
	v_cndmask_b32_e64 v4, 0, 1, vcc
	v_lshlrev_b32_e32 v4, 4, v4
	v_add_lshl_u32 v5, v4, v6, 2
	ds_bpermute_b32 v4, v5, v2
	ds_bpermute_b32 v5, v5, v3
	v_cmp_gt_u32_e32 vcc, 56, v7
	v_cndmask_b32_e64 v9, 0, 1, vcc
	v_cmp_gt_u32_e32 vcc, 60, v7
	s_waitcnt lgkmcnt(0)
	v_add_f64 v[2:3], v[2:3], v[4:5]
	v_lshlrev_b32_e32 v4, 3, v9
	v_add_lshl_u32 v5, v4, v6, 2
	ds_bpermute_b32 v4, v5, v2
	ds_bpermute_b32 v5, v5, v3
	s_barrier
	s_waitcnt lgkmcnt(0)
	v_add_f64 v[2:3], v[2:3], v[4:5]
	v_cndmask_b32_e64 v4, 0, 1, vcc
	v_lshlrev_b32_e32 v4, 2, v4
	v_add_lshl_u32 v5, v4, v6, 2
	ds_bpermute_b32 v4, v5, v2
	ds_bpermute_b32 v5, v5, v3
	v_cmp_gt_u32_e32 vcc, 62, v7
	s_waitcnt lgkmcnt(0)
	v_add_f64 v[2:3], v[2:3], v[4:5]
	v_cndmask_b32_e64 v4, 0, 1, vcc
	v_lshlrev_b32_e32 v4, 1, v4
	v_add_lshl_u32 v5, v4, v6, 2
	ds_bpermute_b32 v4, v5, v2
	ds_bpermute_b32 v5, v5, v3
	v_cmp_ne_u32_e32 vcc, 63, v7
	s_waitcnt lgkmcnt(0)
	v_add_f64 v[2:3], v[2:3], v[4:5]
	v_addc_co_u32_e32 v4, vcc, 0, v6, vcc
	v_lshlrev_b32_e32 v5, 2, v4
	ds_bpermute_b32 v4, v5, v2
	ds_bpermute_b32 v5, v5, v3
	v_cmp_eq_u32_e32 vcc, 0, v8
	s_and_b64 exec, exec, vcc
	s_cbranch_execz .LBB193_7
; %bb.6:
	v_mov_b32_e32 v6, s7
	v_add_co_u32_e32 v0, vcc, s6, v0
	v_addc_co_u32_e32 v1, vcc, v6, v1, vcc
	s_waitcnt lgkmcnt(0)
	v_add_f64 v[2:3], v[2:3], v[4:5]
	global_store_dwordx2 v[0:1], v[2:3], off
.LBB193_7:
	s_endpgm
	.section	.rodata,"a",@progbits
	.p2align	6, 0x0
	.amdhsa_kernel _ZL28rocblas_dot_batched_4_kernelIiLi32ELi4ELb0EddPKPKdEviT5_lT_lS4_lS5_liPT4_
		.amdhsa_group_segment_fixed_size 0
		.amdhsa_private_segment_fixed_size 0
		.amdhsa_kernarg_size 88
		.amdhsa_user_sgpr_count 6
		.amdhsa_user_sgpr_private_segment_buffer 1
		.amdhsa_user_sgpr_dispatch_ptr 0
		.amdhsa_user_sgpr_queue_ptr 0
		.amdhsa_user_sgpr_kernarg_segment_ptr 1
		.amdhsa_user_sgpr_dispatch_id 0
		.amdhsa_user_sgpr_flat_scratch_init 0
		.amdhsa_user_sgpr_kernarg_preload_length 0
		.amdhsa_user_sgpr_kernarg_preload_offset 0
		.amdhsa_user_sgpr_private_segment_size 0
		.amdhsa_uses_dynamic_stack 0
		.amdhsa_system_sgpr_private_segment_wavefront_offset 0
		.amdhsa_system_sgpr_workgroup_id_x 1
		.amdhsa_system_sgpr_workgroup_id_y 0
		.amdhsa_system_sgpr_workgroup_id_z 0
		.amdhsa_system_sgpr_workgroup_info 0
		.amdhsa_system_vgpr_workitem_id 1
		.amdhsa_next_free_vgpr 16
		.amdhsa_next_free_sgpr 18
		.amdhsa_accum_offset 16
		.amdhsa_reserve_vcc 1
		.amdhsa_reserve_flat_scratch 0
		.amdhsa_float_round_mode_32 0
		.amdhsa_float_round_mode_16_64 0
		.amdhsa_float_denorm_mode_32 3
		.amdhsa_float_denorm_mode_16_64 3
		.amdhsa_dx10_clamp 1
		.amdhsa_ieee_mode 1
		.amdhsa_fp16_overflow 0
		.amdhsa_tg_split 0
		.amdhsa_exception_fp_ieee_invalid_op 0
		.amdhsa_exception_fp_denorm_src 0
		.amdhsa_exception_fp_ieee_div_zero 0
		.amdhsa_exception_fp_ieee_overflow 0
		.amdhsa_exception_fp_ieee_underflow 0
		.amdhsa_exception_fp_ieee_inexact 0
		.amdhsa_exception_int_div_zero 0
	.end_amdhsa_kernel
	.section	.text._ZL28rocblas_dot_batched_4_kernelIiLi32ELi4ELb0EddPKPKdEviT5_lT_lS4_lS5_liPT4_,"axG",@progbits,_ZL28rocblas_dot_batched_4_kernelIiLi32ELi4ELb0EddPKPKdEviT5_lT_lS4_lS5_liPT4_,comdat
.Lfunc_end193:
	.size	_ZL28rocblas_dot_batched_4_kernelIiLi32ELi4ELb0EddPKPKdEviT5_lT_lS4_lS5_liPT4_, .Lfunc_end193-_ZL28rocblas_dot_batched_4_kernelIiLi32ELi4ELb0EddPKPKdEviT5_lT_lS4_lS5_liPT4_
                                        ; -- End function
	.section	.AMDGPU.csdata,"",@progbits
; Kernel info:
; codeLenInByte = 684
; NumSgprs: 22
; NumVgprs: 16
; NumAgprs: 0
; TotalNumVgprs: 16
; ScratchSize: 0
; MemoryBound: 0
; FloatMode: 240
; IeeeMode: 1
; LDSByteSize: 0 bytes/workgroup (compile time only)
; SGPRBlocks: 2
; VGPRBlocks: 1
; NumSGPRsForWavesPerEU: 22
; NumVGPRsForWavesPerEU: 16
; AccumOffset: 16
; Occupancy: 8
; WaveLimiterHint : 0
; COMPUTE_PGM_RSRC2:SCRATCH_EN: 0
; COMPUTE_PGM_RSRC2:USER_SGPR: 6
; COMPUTE_PGM_RSRC2:TRAP_HANDLER: 0
; COMPUTE_PGM_RSRC2:TGID_X_EN: 1
; COMPUTE_PGM_RSRC2:TGID_Y_EN: 0
; COMPUTE_PGM_RSRC2:TGID_Z_EN: 0
; COMPUTE_PGM_RSRC2:TIDIG_COMP_CNT: 1
; COMPUTE_PGM_RSRC3_GFX90A:ACCUM_OFFSET: 3
; COMPUTE_PGM_RSRC3_GFX90A:TG_SPLIT: 0
	.section	.text._ZL28rocblas_dot_batched_4_kernelIiLi64ELi4ELb0EddPKPKdEviT5_lT_lS4_lS5_liPT4_,"axG",@progbits,_ZL28rocblas_dot_batched_4_kernelIiLi64ELi4ELb0EddPKPKdEviT5_lT_lS4_lS5_liPT4_,comdat
	.globl	_ZL28rocblas_dot_batched_4_kernelIiLi64ELi4ELb0EddPKPKdEviT5_lT_lS4_lS5_liPT4_ ; -- Begin function _ZL28rocblas_dot_batched_4_kernelIiLi64ELi4ELb0EddPKPKdEviT5_lT_lS4_lS5_liPT4_
	.p2align	8
	.type	_ZL28rocblas_dot_batched_4_kernelIiLi64ELi4ELb0EddPKPKdEviT5_lT_lS4_lS5_liPT4_,@function
_ZL28rocblas_dot_batched_4_kernelIiLi64ELi4ELb0EddPKPKdEviT5_lT_lS4_lS5_liPT4_: ; @_ZL28rocblas_dot_batched_4_kernelIiLi64ELi4ELb0EddPKPKdEviT5_lT_lS4_lS5_liPT4_
; %bb.0:
	s_load_dword s0, s[4:5], 0x48
	v_bfe_u32 v1, v0, 10, 10
	v_lshl_add_u32 v4, s6, 2, v1
	s_waitcnt lgkmcnt(0)
	v_cmp_gt_u32_e32 vcc, s0, v4
	s_and_saveexec_b64 s[0:1], vcc
	s_cbranch_execz .LBB194_7
; %bb.1:
	s_load_dword s14, s[4:5], 0x0
	s_load_dwordx2 s[6:7], s[4:5], 0x50
	v_mov_b32_e32 v5, 0
	v_and_b32_e32 v8, 0x3ff, v0
	v_pk_mov_b32 v[2:3], 0, 0
	s_waitcnt lgkmcnt(0)
	v_cmp_gt_i32_e32 vcc, s14, v8
	v_lshlrev_b64 v[0:1], 3, v[4:5]
	s_and_saveexec_b64 s[12:13], vcc
	s_cbranch_execz .LBB194_5
; %bb.2:
	s_load_dwordx4 s[0:3], s[4:5], 0x8
	s_load_dwordx4 s[8:11], s[4:5], 0x28
	s_load_dword s16, s[4:5], 0x18
	s_waitcnt lgkmcnt(0)
	v_mov_b32_e32 v3, s1
	v_add_co_u32_e32 v2, vcc, s0, v0
	v_addc_co_u32_e32 v3, vcc, v3, v1, vcc
	global_load_dwordx2 v[4:5], v[2:3], off
	v_mov_b32_e32 v3, s9
	v_add_co_u32_e32 v2, vcc, s8, v0
	v_addc_co_u32_e32 v3, vcc, v3, v1, vcc
	global_load_dwordx2 v[6:7], v[2:3], off
	s_load_dword s4, s[4:5], 0x38
	v_mad_i64_i32 v[10:11], s[8:9], s16, v8, 0
	s_lshl_b64 s[8:9], s[2:3], 3
	v_lshlrev_b64 v[10:11], 3, v[10:11]
	s_waitcnt lgkmcnt(0)
	v_mad_i64_i32 v[12:13], s[2:3], s4, v8, 0
	v_mov_b32_e32 v9, s9
	v_add_co_u32_e32 v15, vcc, s8, v10
	s_lshl_b64 s[10:11], s[10:11], 3
	v_lshlrev_b64 v[12:13], 3, v[12:13]
	v_addc_co_u32_e32 v11, vcc, v11, v9, vcc
	v_mov_b32_e32 v14, s11
	v_add_co_u32_e32 v12, vcc, s10, v12
	v_addc_co_u32_e32 v13, vcc, v13, v14, vcc
	s_ashr_i32 s17, s16, 31
	s_ashr_i32 s5, s4, 31
	s_lshl_b64 s[2:3], s[16:17], 9
	s_lshl_b64 s[4:5], s[4:5], 9
	s_mov_b64 s[0:1], 0
	v_pk_mov_b32 v[2:3], 0, 0
	v_mov_b32_e32 v9, s3
	v_mov_b32_e32 v10, s5
	s_waitcnt vmcnt(1)
	v_add_co_u32_e32 v4, vcc, v4, v15
	v_addc_co_u32_e32 v5, vcc, v5, v11, vcc
	v_mov_b32_e32 v11, v8
	s_waitcnt vmcnt(0)
	v_add_co_u32_e32 v6, vcc, v6, v12
	v_addc_co_u32_e32 v7, vcc, v7, v13, vcc
.LBB194_3:                              ; =>This Inner Loop Header: Depth=1
	global_load_dwordx2 v[12:13], v[4:5], off
	global_load_dwordx2 v[14:15], v[6:7], off
	v_add_co_u32_e32 v4, vcc, s2, v4
	v_addc_co_u32_e32 v5, vcc, v5, v9, vcc
	v_add_co_u32_e32 v6, vcc, s4, v6
	v_add_u32_e32 v11, 64, v11
	v_addc_co_u32_e32 v7, vcc, v7, v10, vcc
	v_cmp_le_i32_e32 vcc, s14, v11
	s_or_b64 s[0:1], vcc, s[0:1]
	s_waitcnt vmcnt(0)
	v_fmac_f64_e32 v[2:3], v[12:13], v[14:15]
	s_andn2_b64 exec, exec, s[0:1]
	s_cbranch_execnz .LBB194_3
; %bb.4:
	s_or_b64 exec, exec, s[0:1]
.LBB194_5:
	s_or_b64 exec, exec, s[12:13]
	v_mbcnt_lo_u32_b32 v4, -1, 0
	v_mbcnt_hi_u32_b32 v6, -1, v4
	v_and_b32_e32 v7, 63, v6
	v_cmp_gt_u32_e32 vcc, 32, v7
	v_cndmask_b32_e64 v4, 0, 1, vcc
	v_lshlrev_b32_e32 v4, 5, v4
	v_add_lshl_u32 v5, v4, v6, 2
	ds_bpermute_b32 v4, v5, v2
	ds_bpermute_b32 v5, v5, v3
	v_cmp_gt_u32_e32 vcc, 48, v7
	v_cndmask_b32_e64 v9, 0, 1, vcc
	v_cmp_gt_u32_e32 vcc, 56, v7
	s_waitcnt lgkmcnt(0)
	v_add_f64 v[2:3], v[2:3], v[4:5]
	v_lshlrev_b32_e32 v4, 4, v9
	v_add_lshl_u32 v5, v4, v6, 2
	ds_bpermute_b32 v4, v5, v2
	ds_bpermute_b32 v5, v5, v3
	s_barrier
	s_waitcnt lgkmcnt(0)
	v_add_f64 v[2:3], v[2:3], v[4:5]
	v_cndmask_b32_e64 v4, 0, 1, vcc
	v_lshlrev_b32_e32 v4, 3, v4
	v_add_lshl_u32 v5, v4, v6, 2
	ds_bpermute_b32 v4, v5, v2
	ds_bpermute_b32 v5, v5, v3
	v_cmp_gt_u32_e32 vcc, 60, v7
	s_waitcnt lgkmcnt(0)
	v_add_f64 v[2:3], v[2:3], v[4:5]
	v_cndmask_b32_e64 v4, 0, 1, vcc
	v_lshlrev_b32_e32 v4, 2, v4
	v_add_lshl_u32 v5, v4, v6, 2
	ds_bpermute_b32 v4, v5, v2
	ds_bpermute_b32 v5, v5, v3
	v_cmp_gt_u32_e32 vcc, 62, v7
	s_waitcnt lgkmcnt(0)
	v_add_f64 v[2:3], v[2:3], v[4:5]
	v_cndmask_b32_e64 v4, 0, 1, vcc
	v_lshlrev_b32_e32 v4, 1, v4
	v_add_lshl_u32 v5, v4, v6, 2
	ds_bpermute_b32 v4, v5, v2
	ds_bpermute_b32 v5, v5, v3
	v_cmp_ne_u32_e32 vcc, 63, v7
	s_waitcnt lgkmcnt(0)
	v_add_f64 v[2:3], v[2:3], v[4:5]
	v_addc_co_u32_e32 v4, vcc, 0, v6, vcc
	v_lshlrev_b32_e32 v5, 2, v4
	ds_bpermute_b32 v4, v5, v2
	ds_bpermute_b32 v5, v5, v3
	v_cmp_eq_u32_e32 vcc, 0, v8
	s_and_b64 exec, exec, vcc
	s_cbranch_execz .LBB194_7
; %bb.6:
	v_mov_b32_e32 v6, s7
	v_add_co_u32_e32 v0, vcc, s6, v0
	v_addc_co_u32_e32 v1, vcc, v6, v1, vcc
	s_waitcnt lgkmcnt(0)
	v_add_f64 v[2:3], v[2:3], v[4:5]
	global_store_dwordx2 v[0:1], v[2:3], off
.LBB194_7:
	s_endpgm
	.section	.rodata,"a",@progbits
	.p2align	6, 0x0
	.amdhsa_kernel _ZL28rocblas_dot_batched_4_kernelIiLi64ELi4ELb0EddPKPKdEviT5_lT_lS4_lS5_liPT4_
		.amdhsa_group_segment_fixed_size 0
		.amdhsa_private_segment_fixed_size 0
		.amdhsa_kernarg_size 88
		.amdhsa_user_sgpr_count 6
		.amdhsa_user_sgpr_private_segment_buffer 1
		.amdhsa_user_sgpr_dispatch_ptr 0
		.amdhsa_user_sgpr_queue_ptr 0
		.amdhsa_user_sgpr_kernarg_segment_ptr 1
		.amdhsa_user_sgpr_dispatch_id 0
		.amdhsa_user_sgpr_flat_scratch_init 0
		.amdhsa_user_sgpr_kernarg_preload_length 0
		.amdhsa_user_sgpr_kernarg_preload_offset 0
		.amdhsa_user_sgpr_private_segment_size 0
		.amdhsa_uses_dynamic_stack 0
		.amdhsa_system_sgpr_private_segment_wavefront_offset 0
		.amdhsa_system_sgpr_workgroup_id_x 1
		.amdhsa_system_sgpr_workgroup_id_y 0
		.amdhsa_system_sgpr_workgroup_id_z 0
		.amdhsa_system_sgpr_workgroup_info 0
		.amdhsa_system_vgpr_workitem_id 1
		.amdhsa_next_free_vgpr 16
		.amdhsa_next_free_sgpr 18
		.amdhsa_accum_offset 16
		.amdhsa_reserve_vcc 1
		.amdhsa_reserve_flat_scratch 0
		.amdhsa_float_round_mode_32 0
		.amdhsa_float_round_mode_16_64 0
		.amdhsa_float_denorm_mode_32 3
		.amdhsa_float_denorm_mode_16_64 3
		.amdhsa_dx10_clamp 1
		.amdhsa_ieee_mode 1
		.amdhsa_fp16_overflow 0
		.amdhsa_tg_split 0
		.amdhsa_exception_fp_ieee_invalid_op 0
		.amdhsa_exception_fp_denorm_src 0
		.amdhsa_exception_fp_ieee_div_zero 0
		.amdhsa_exception_fp_ieee_overflow 0
		.amdhsa_exception_fp_ieee_underflow 0
		.amdhsa_exception_fp_ieee_inexact 0
		.amdhsa_exception_int_div_zero 0
	.end_amdhsa_kernel
	.section	.text._ZL28rocblas_dot_batched_4_kernelIiLi64ELi4ELb0EddPKPKdEviT5_lT_lS4_lS5_liPT4_,"axG",@progbits,_ZL28rocblas_dot_batched_4_kernelIiLi64ELi4ELb0EddPKPKdEviT5_lT_lS4_lS5_liPT4_,comdat
.Lfunc_end194:
	.size	_ZL28rocblas_dot_batched_4_kernelIiLi64ELi4ELb0EddPKPKdEviT5_lT_lS4_lS5_liPT4_, .Lfunc_end194-_ZL28rocblas_dot_batched_4_kernelIiLi64ELi4ELb0EddPKPKdEviT5_lT_lS4_lS5_liPT4_
                                        ; -- End function
	.section	.AMDGPU.csdata,"",@progbits
; Kernel info:
; codeLenInByte = 736
; NumSgprs: 22
; NumVgprs: 16
; NumAgprs: 0
; TotalNumVgprs: 16
; ScratchSize: 0
; MemoryBound: 0
; FloatMode: 240
; IeeeMode: 1
; LDSByteSize: 0 bytes/workgroup (compile time only)
; SGPRBlocks: 2
; VGPRBlocks: 1
; NumSGPRsForWavesPerEU: 22
; NumVGPRsForWavesPerEU: 16
; AccumOffset: 16
; Occupancy: 8
; WaveLimiterHint : 0
; COMPUTE_PGM_RSRC2:SCRATCH_EN: 0
; COMPUTE_PGM_RSRC2:USER_SGPR: 6
; COMPUTE_PGM_RSRC2:TRAP_HANDLER: 0
; COMPUTE_PGM_RSRC2:TGID_X_EN: 1
; COMPUTE_PGM_RSRC2:TGID_Y_EN: 0
; COMPUTE_PGM_RSRC2:TGID_Z_EN: 0
; COMPUTE_PGM_RSRC2:TIDIG_COMP_CNT: 1
; COMPUTE_PGM_RSRC3_GFX90A:ACCUM_OFFSET: 3
; COMPUTE_PGM_RSRC3_GFX90A:TG_SPLIT: 0
	.section	.text._ZL26rocblas_dot_kernel_inc1by2ILb1ELi1024ELi32ELb0EdPKPKddEviT4_llS4_lliPT5_PT3_,"axG",@progbits,_ZL26rocblas_dot_kernel_inc1by2ILb1ELi1024ELi32ELb0EdPKPKddEviT4_llS4_lliPT5_PT3_,comdat
	.globl	_ZL26rocblas_dot_kernel_inc1by2ILb1ELi1024ELi32ELb0EdPKPKddEviT4_llS4_lliPT5_PT3_ ; -- Begin function _ZL26rocblas_dot_kernel_inc1by2ILb1ELi1024ELi32ELb0EdPKPKddEviT4_llS4_lliPT5_PT3_
	.p2align	8
	.type	_ZL26rocblas_dot_kernel_inc1by2ILb1ELi1024ELi32ELb0EdPKPKddEviT4_llS4_lliPT5_PT3_,@function
_ZL26rocblas_dot_kernel_inc1by2ILb1ELi1024ELi32ELb0EdPKPKddEviT4_llS4_lliPT5_PT3_: ; @_ZL26rocblas_dot_kernel_inc1by2ILb1ELi1024ELi32ELb0EdPKPKddEviT4_llS4_lliPT5_PT3_
; %bb.0:
	s_mov_b32 s2, s7
	s_load_dword s10, s[4:5], 0x0
	s_load_dwordx2 s[6:7], s[4:5], 0x48
	s_mov_b32 s3, 0
	v_pk_mov_b32 v[2:3], 0, 0
	s_waitcnt lgkmcnt(0)
	v_cmp_gt_i32_e32 vcc, s10, v0
	s_and_saveexec_b64 s[8:9], vcc
	s_cbranch_execz .LBB195_4
; %bb.1:
	s_load_dwordx4 s[12:15], s[4:5], 0x8
	s_load_dwordx4 s[16:19], s[4:5], 0x20
	s_lshl_b64 s[0:1], s[2:3], 3
	v_lshlrev_b32_e32 v2, 3, v0
	v_or_b32_e32 v1, 0x400, v0
	s_waitcnt lgkmcnt(0)
	s_add_u32 s4, s12, s0
	s_addc_u32 s5, s13, s1
	s_add_u32 s0, s16, s0
	s_addc_u32 s1, s17, s1
	s_load_dwordx2 s[0:1], s[0:1], 0x0
	s_lshl_b64 s[12:13], s[18:19], 3
	s_load_dwordx2 s[4:5], s[4:5], 0x0
	s_mov_b32 s11, s3
	s_waitcnt lgkmcnt(0)
	s_add_u32 s0, s0, s12
	s_addc_u32 s1, s1, s13
	v_mov_b32_e32 v3, s1
	v_add_co_u32_e32 v4, vcc, s0, v2
	s_lshl_b64 s[0:1], s[14:15], 3
	s_add_u32 s0, s4, s0
	v_addc_co_u32_e32 v5, vcc, 0, v3, vcc
	s_addc_u32 s1, s5, s1
	v_mov_b32_e32 v3, s1
	v_add_co_u32_e32 v6, vcc, s0, v2
	v_addc_co_u32_e32 v7, vcc, 0, v3, vcc
	s_mov_b64 s[4:5], 0
	v_pk_mov_b32 v[2:3], 0, 0
.LBB195_2:                              ; =>This Inner Loop Header: Depth=1
	global_load_dwordx2 v[8:9], v[4:5], off
	global_load_dwordx2 v[10:11], v[6:7], off
	s_add_i32 s12, s11, 1
	s_cmp_gt_u32 s11, 30
	v_cmp_le_i32_e64 s[0:1], s10, v1
	v_add_co_u32_e32 v4, vcc, 0x2000, v4
	s_mov_b32 s11, s12
	s_cselect_b64 s[12:13], -1, 0
	v_addc_co_u32_e32 v5, vcc, 0, v5, vcc
	s_or_b64 s[0:1], s[12:13], s[0:1]
	v_add_co_u32_e32 v6, vcc, 0x2000, v6
	s_and_b64 s[0:1], exec, s[0:1]
	v_add_u32_e32 v1, 0x400, v1
	v_addc_co_u32_e32 v7, vcc, 0, v7, vcc
	s_or_b64 s[4:5], s[0:1], s[4:5]
	s_waitcnt vmcnt(0)
	v_fmac_f64_e32 v[2:3], v[8:9], v[10:11]
	s_andn2_b64 exec, exec, s[4:5]
	s_cbranch_execnz .LBB195_2
; %bb.3:
	s_or_b64 exec, exec, s[4:5]
.LBB195_4:
	s_or_b64 exec, exec, s[8:9]
	v_and_b32_e32 v6, 63, v0
	v_cmp_gt_u32_e32 vcc, 64, v0
	v_lshlrev_b32_e32 v1, 3, v6
	s_and_saveexec_b64 s[0:1], vcc
	s_cbranch_execz .LBB195_6
; %bb.5:
	v_mov_b32_e32 v4, 0
	v_mov_b32_e32 v5, v4
	ds_write_b64 v1, v[4:5]
.LBB195_6:
	s_or_b64 exec, exec, s[0:1]
	v_mbcnt_lo_u32_b32 v4, -1, 0
	v_mbcnt_hi_u32_b32 v10, -1, v4
	v_and_b32_e32 v11, 63, v10
	v_cmp_gt_u32_e64 s[0:1], 32, v11
	v_cndmask_b32_e64 v4, 0, 1, s[0:1]
	v_lshlrev_b32_e32 v4, 5, v4
	v_add_lshl_u32 v5, v4, v10, 2
	ds_bpermute_b32 v4, v5, v2
	ds_bpermute_b32 v5, v5, v3
	v_cmp_gt_u32_e64 s[0:1], 48, v11
	v_cndmask_b32_e64 v7, 0, 1, s[0:1]
	v_cmp_gt_u32_e64 s[0:1], 56, v11
	s_waitcnt lgkmcnt(0)
	v_add_f64 v[2:3], v[2:3], v[4:5]
	v_lshlrev_b32_e32 v4, 4, v7
	v_add_lshl_u32 v5, v4, v10, 2
	ds_bpermute_b32 v4, v5, v2
	ds_bpermute_b32 v5, v5, v3
	s_barrier
	s_waitcnt lgkmcnt(0)
	v_add_f64 v[2:3], v[2:3], v[4:5]
	v_cndmask_b32_e64 v4, 0, 1, s[0:1]
	v_lshlrev_b32_e32 v4, 3, v4
	v_add_lshl_u32 v7, v4, v10, 2
	ds_bpermute_b32 v4, v7, v2
	ds_bpermute_b32 v5, v7, v3
	v_cmp_gt_u32_e64 s[0:1], 60, v11
	s_waitcnt lgkmcnt(0)
	v_add_f64 v[2:3], v[2:3], v[4:5]
	v_cndmask_b32_e64 v4, 0, 1, s[0:1]
	v_lshlrev_b32_e32 v4, 2, v4
	v_add_lshl_u32 v8, v4, v10, 2
	ds_bpermute_b32 v4, v8, v2
	ds_bpermute_b32 v5, v8, v3
	v_cmp_gt_u32_e64 s[0:1], 62, v11
	s_waitcnt lgkmcnt(0)
	v_add_f64 v[2:3], v[2:3], v[4:5]
	v_cndmask_b32_e64 v4, 0, 1, s[0:1]
	v_lshlrev_b32_e32 v4, 1, v4
	v_add_lshl_u32 v9, v4, v10, 2
	ds_bpermute_b32 v4, v9, v2
	ds_bpermute_b32 v5, v9, v3
	v_cmp_ne_u32_e64 s[0:1], 63, v11
	s_waitcnt lgkmcnt(0)
	v_add_f64 v[2:3], v[2:3], v[4:5]
	v_addc_co_u32_e64 v4, s[0:1], 0, v10, s[0:1]
	v_lshlrev_b32_e32 v10, 2, v4
	ds_bpermute_b32 v4, v10, v2
	ds_bpermute_b32 v5, v10, v3
	v_cmp_eq_u32_e64 s[0:1], 0, v6
	s_and_saveexec_b64 s[4:5], s[0:1]
	s_cbranch_execz .LBB195_8
; %bb.7:
	s_waitcnt lgkmcnt(0)
	v_add_f64 v[2:3], v[2:3], v[4:5]
	v_lshrrev_b32_e32 v4, 3, v0
	v_and_b32_e32 v4, 0x78, v4
	ds_write_b64 v4, v[2:3]
.LBB195_8:
	s_or_b64 exec, exec, s[4:5]
	v_cmp_gt_u32_e64 s[0:1], 16, v0
	v_pk_mov_b32 v[2:3], 0, 0
	s_waitcnt lgkmcnt(0)
	s_barrier
	s_and_saveexec_b64 s[4:5], s[0:1]
	s_cbranch_execnz .LBB195_12
; %bb.9:
	s_or_b64 exec, exec, s[4:5]
	s_and_saveexec_b64 s[0:1], vcc
	s_cbranch_execnz .LBB195_13
.LBB195_10:
	s_or_b64 exec, exec, s[0:1]
	v_cmp_eq_u32_e32 vcc, 0, v0
	s_and_saveexec_b64 s[0:1], vcc
	s_cbranch_execnz .LBB195_14
.LBB195_11:
	s_endpgm
.LBB195_12:
	ds_read_b64 v[2:3], v1
	s_or_b64 exec, exec, s[4:5]
	s_and_saveexec_b64 s[0:1], vcc
	s_cbranch_execz .LBB195_10
.LBB195_13:
	s_waitcnt lgkmcnt(0)
	ds_bpermute_b32 v4, v7, v2
	ds_bpermute_b32 v5, v7, v3
	s_waitcnt lgkmcnt(0)
	v_add_f64 v[2:3], v[2:3], v[4:5]
	ds_bpermute_b32 v4, v8, v2
	ds_bpermute_b32 v5, v8, v3
	s_waitcnt lgkmcnt(0)
	v_add_f64 v[2:3], v[2:3], v[4:5]
	;; [unrolled: 4-line block ×4, first 2 shown]
	s_or_b64 exec, exec, s[0:1]
	v_cmp_eq_u32_e32 vcc, 0, v0
	s_and_saveexec_b64 s[0:1], vcc
	s_cbranch_execz .LBB195_11
.LBB195_14:
	s_lshl_b64 s[0:1], s[2:3], 3
	s_add_u32 s0, s6, s0
	s_addc_u32 s1, s7, s1
	v_mov_b32_e32 v0, 0
	s_waitcnt lgkmcnt(0)
	global_store_dwordx2 v0, v[2:3], s[0:1]
	s_endpgm
	.section	.rodata,"a",@progbits
	.p2align	6, 0x0
	.amdhsa_kernel _ZL26rocblas_dot_kernel_inc1by2ILb1ELi1024ELi32ELb0EdPKPKddEviT4_llS4_lliPT5_PT3_
		.amdhsa_group_segment_fixed_size 512
		.amdhsa_private_segment_fixed_size 0
		.amdhsa_kernarg_size 80
		.amdhsa_user_sgpr_count 6
		.amdhsa_user_sgpr_private_segment_buffer 1
		.amdhsa_user_sgpr_dispatch_ptr 0
		.amdhsa_user_sgpr_queue_ptr 0
		.amdhsa_user_sgpr_kernarg_segment_ptr 1
		.amdhsa_user_sgpr_dispatch_id 0
		.amdhsa_user_sgpr_flat_scratch_init 0
		.amdhsa_user_sgpr_kernarg_preload_length 0
		.amdhsa_user_sgpr_kernarg_preload_offset 0
		.amdhsa_user_sgpr_private_segment_size 0
		.amdhsa_uses_dynamic_stack 0
		.amdhsa_system_sgpr_private_segment_wavefront_offset 0
		.amdhsa_system_sgpr_workgroup_id_x 1
		.amdhsa_system_sgpr_workgroup_id_y 0
		.amdhsa_system_sgpr_workgroup_id_z 1
		.amdhsa_system_sgpr_workgroup_info 0
		.amdhsa_system_vgpr_workitem_id 0
		.amdhsa_next_free_vgpr 12
		.amdhsa_next_free_sgpr 20
		.amdhsa_accum_offset 12
		.amdhsa_reserve_vcc 1
		.amdhsa_reserve_flat_scratch 0
		.amdhsa_float_round_mode_32 0
		.amdhsa_float_round_mode_16_64 0
		.amdhsa_float_denorm_mode_32 3
		.amdhsa_float_denorm_mode_16_64 3
		.amdhsa_dx10_clamp 1
		.amdhsa_ieee_mode 1
		.amdhsa_fp16_overflow 0
		.amdhsa_tg_split 0
		.amdhsa_exception_fp_ieee_invalid_op 0
		.amdhsa_exception_fp_denorm_src 0
		.amdhsa_exception_fp_ieee_div_zero 0
		.amdhsa_exception_fp_ieee_overflow 0
		.amdhsa_exception_fp_ieee_underflow 0
		.amdhsa_exception_fp_ieee_inexact 0
		.amdhsa_exception_int_div_zero 0
	.end_amdhsa_kernel
	.section	.text._ZL26rocblas_dot_kernel_inc1by2ILb1ELi1024ELi32ELb0EdPKPKddEviT4_llS4_lliPT5_PT3_,"axG",@progbits,_ZL26rocblas_dot_kernel_inc1by2ILb1ELi1024ELi32ELb0EdPKPKddEviT4_llS4_lliPT5_PT3_,comdat
.Lfunc_end195:
	.size	_ZL26rocblas_dot_kernel_inc1by2ILb1ELi1024ELi32ELb0EdPKPKddEviT4_llS4_lliPT5_PT3_, .Lfunc_end195-_ZL26rocblas_dot_kernel_inc1by2ILb1ELi1024ELi32ELb0EdPKPKddEviT4_llS4_lliPT5_PT3_
                                        ; -- End function
	.section	.AMDGPU.csdata,"",@progbits
; Kernel info:
; codeLenInByte = 972
; NumSgprs: 24
; NumVgprs: 12
; NumAgprs: 0
; TotalNumVgprs: 12
; ScratchSize: 0
; MemoryBound: 0
; FloatMode: 240
; IeeeMode: 1
; LDSByteSize: 512 bytes/workgroup (compile time only)
; SGPRBlocks: 2
; VGPRBlocks: 1
; NumSGPRsForWavesPerEU: 24
; NumVGPRsForWavesPerEU: 12
; AccumOffset: 12
; Occupancy: 8
; WaveLimiterHint : 0
; COMPUTE_PGM_RSRC2:SCRATCH_EN: 0
; COMPUTE_PGM_RSRC2:USER_SGPR: 6
; COMPUTE_PGM_RSRC2:TRAP_HANDLER: 0
; COMPUTE_PGM_RSRC2:TGID_X_EN: 1
; COMPUTE_PGM_RSRC2:TGID_Y_EN: 0
; COMPUTE_PGM_RSRC2:TGID_Z_EN: 1
; COMPUTE_PGM_RSRC2:TIDIG_COMP_CNT: 0
; COMPUTE_PGM_RSRC3_GFX90A:ACCUM_OFFSET: 2
; COMPUTE_PGM_RSRC3_GFX90A:TG_SPLIT: 0
	.section	.text._ZL18rocblas_dot_kernelIiLb1ELi1024ELi32ELb0EdPKPKddEviT5_lT_lS4_lS5_liPT6_PT4_,"axG",@progbits,_ZL18rocblas_dot_kernelIiLb1ELi1024ELi32ELb0EdPKPKddEviT5_lT_lS4_lS5_liPT6_PT4_,comdat
	.globl	_ZL18rocblas_dot_kernelIiLb1ELi1024ELi32ELb0EdPKPKddEviT5_lT_lS4_lS5_liPT6_PT4_ ; -- Begin function _ZL18rocblas_dot_kernelIiLb1ELi1024ELi32ELb0EdPKPKddEviT5_lT_lS4_lS5_liPT6_PT4_
	.p2align	8
	.type	_ZL18rocblas_dot_kernelIiLb1ELi1024ELi32ELb0EdPKPKddEviT5_lT_lS4_lS5_liPT6_PT4_,@function
_ZL18rocblas_dot_kernelIiLb1ELi1024ELi32ELb0EdPKPKddEviT5_lT_lS4_lS5_liPT6_PT4_: ; @_ZL18rocblas_dot_kernelIiLb1ELi1024ELi32ELb0EdPKPKddEviT5_lT_lS4_lS5_liPT6_PT4_
; %bb.0:
	s_mov_b32 s2, s7
	s_load_dword s14, s[4:5], 0x0
	s_load_dwordx2 s[6:7], s[4:5], 0x58
	s_mov_b32 s3, 0
	v_pk_mov_b32 v[2:3], 0, 0
	s_waitcnt lgkmcnt(0)
	v_cmp_gt_i32_e32 vcc, s14, v0
	s_and_saveexec_b64 s[8:9], vcc
	s_cbranch_execz .LBB196_4
; %bb.1:
	s_load_dwordx4 s[16:19], s[4:5], 0x8
	s_load_dword s24, s[4:5], 0x18
	s_lshl_b64 s[0:1], s[2:3], 3
	s_load_dwordx4 s[20:23], s[4:5], 0x28
	s_waitcnt lgkmcnt(0)
	s_add_u32 s10, s16, s0
	s_addc_u32 s11, s17, s1
	s_load_dword s16, s[4:5], 0x38
	s_load_dword s15, s[4:5], 0x60
	s_load_dwordx2 s[12:13], s[10:11], 0x0
	s_add_u32 s0, s20, s0
	v_mad_i64_i32 v[2:3], s[4:5], s24, v0, 0
	s_addc_u32 s1, s21, s1
	s_waitcnt lgkmcnt(0)
	s_lshl_b32 s15, s15, 10
	s_lshl_b64 s[4:5], s[18:19], 3
	s_load_dwordx2 s[0:1], s[0:1], 0x0
	s_add_u32 s4, s12, s4
	v_lshlrev_b64 v[2:3], 3, v[2:3]
	s_addc_u32 s5, s13, s5
	v_mov_b32_e32 v5, s5
	v_add_co_u32_e32 v4, vcc, s4, v2
	v_addc_co_u32_e32 v5, vcc, v5, v3, vcc
	s_mul_hi_i32 s5, s24, s15
	s_mul_i32 s4, s24, s15
	v_mad_i64_i32 v[2:3], s[10:11], s16, v0, 0
	s_lshl_b64 s[4:5], s[4:5], 3
	s_lshl_b64 s[10:11], s[22:23], 3
	s_waitcnt lgkmcnt(0)
	s_add_u32 s0, s0, s10
	v_lshlrev_b64 v[2:3], 3, v[2:3]
	s_addc_u32 s1, s1, s11
	v_mov_b32_e32 v7, s1
	v_add_co_u32_e32 v6, vcc, s0, v2
	s_mul_hi_i32 s1, s16, s15
	s_mul_i32 s0, s16, s15
	s_lshl_b64 s[12:13], s[0:1], 3
	v_or_b32_e32 v1, s15, v0
	v_addc_co_u32_e32 v7, vcc, v7, v3, vcc
	s_mov_b64 s[10:11], 0
	v_pk_mov_b32 v[2:3], 0, 0
	v_mov_b32_e32 v8, s5
	v_mov_b32_e32 v9, s13
	s_mov_b32 s5, s3
.LBB196_2:                              ; =>This Inner Loop Header: Depth=1
	global_load_dwordx2 v[10:11], v[6:7], off
	global_load_dwordx2 v[12:13], v[4:5], off
	v_add_co_u32_e64 v4, s[0:1], s4, v4
	v_addc_co_u32_e64 v5, s[0:1], v5, v8, s[0:1]
	s_add_i32 s13, s5, 1
	v_add_co_u32_e64 v6, s[0:1], s12, v6
	v_addc_co_u32_e64 v7, s[0:1], v7, v9, s[0:1]
	s_cmp_gt_u32 s5, 30
	v_cmp_le_i32_e32 vcc, s14, v1
	s_cselect_b64 s[0:1], -1, 0
	s_or_b64 s[0:1], s[0:1], vcc
	s_and_b64 s[0:1], exec, s[0:1]
	v_add_u32_e32 v1, s15, v1
	s_mov_b32 s5, s13
	s_or_b64 s[10:11], s[0:1], s[10:11]
	s_waitcnt vmcnt(0)
	v_fmac_f64_e32 v[2:3], v[10:11], v[12:13]
	s_andn2_b64 exec, exec, s[10:11]
	s_cbranch_execnz .LBB196_2
; %bb.3:
	s_or_b64 exec, exec, s[10:11]
.LBB196_4:
	s_or_b64 exec, exec, s[8:9]
	v_and_b32_e32 v6, 63, v0
	v_cmp_gt_u32_e32 vcc, 64, v0
	v_lshlrev_b32_e32 v1, 3, v6
	s_and_saveexec_b64 s[0:1], vcc
	s_cbranch_execz .LBB196_6
; %bb.5:
	v_mov_b32_e32 v4, 0
	v_mov_b32_e32 v5, v4
	ds_write_b64 v1, v[4:5]
.LBB196_6:
	s_or_b64 exec, exec, s[0:1]
	v_mbcnt_lo_u32_b32 v4, -1, 0
	v_mbcnt_hi_u32_b32 v10, -1, v4
	v_and_b32_e32 v11, 63, v10
	v_cmp_gt_u32_e64 s[0:1], 32, v11
	v_cndmask_b32_e64 v4, 0, 1, s[0:1]
	v_lshlrev_b32_e32 v4, 5, v4
	v_add_lshl_u32 v5, v4, v10, 2
	ds_bpermute_b32 v4, v5, v2
	ds_bpermute_b32 v5, v5, v3
	v_cmp_gt_u32_e64 s[0:1], 48, v11
	v_cndmask_b32_e64 v7, 0, 1, s[0:1]
	v_cmp_gt_u32_e64 s[0:1], 56, v11
	s_waitcnt lgkmcnt(0)
	v_add_f64 v[2:3], v[2:3], v[4:5]
	v_lshlrev_b32_e32 v4, 4, v7
	v_add_lshl_u32 v5, v4, v10, 2
	ds_bpermute_b32 v4, v5, v2
	ds_bpermute_b32 v5, v5, v3
	s_barrier
	s_waitcnt lgkmcnt(0)
	v_add_f64 v[2:3], v[2:3], v[4:5]
	v_cndmask_b32_e64 v4, 0, 1, s[0:1]
	v_lshlrev_b32_e32 v4, 3, v4
	v_add_lshl_u32 v7, v4, v10, 2
	ds_bpermute_b32 v4, v7, v2
	ds_bpermute_b32 v5, v7, v3
	v_cmp_gt_u32_e64 s[0:1], 60, v11
	s_waitcnt lgkmcnt(0)
	v_add_f64 v[2:3], v[2:3], v[4:5]
	v_cndmask_b32_e64 v4, 0, 1, s[0:1]
	v_lshlrev_b32_e32 v4, 2, v4
	v_add_lshl_u32 v8, v4, v10, 2
	ds_bpermute_b32 v4, v8, v2
	ds_bpermute_b32 v5, v8, v3
	v_cmp_gt_u32_e64 s[0:1], 62, v11
	s_waitcnt lgkmcnt(0)
	v_add_f64 v[2:3], v[2:3], v[4:5]
	v_cndmask_b32_e64 v4, 0, 1, s[0:1]
	v_lshlrev_b32_e32 v4, 1, v4
	v_add_lshl_u32 v9, v4, v10, 2
	ds_bpermute_b32 v4, v9, v2
	ds_bpermute_b32 v5, v9, v3
	v_cmp_ne_u32_e64 s[0:1], 63, v11
	s_waitcnt lgkmcnt(0)
	v_add_f64 v[2:3], v[2:3], v[4:5]
	v_addc_co_u32_e64 v4, s[0:1], 0, v10, s[0:1]
	v_lshlrev_b32_e32 v10, 2, v4
	ds_bpermute_b32 v4, v10, v2
	ds_bpermute_b32 v5, v10, v3
	v_cmp_eq_u32_e64 s[0:1], 0, v6
	s_and_saveexec_b64 s[4:5], s[0:1]
	s_cbranch_execz .LBB196_8
; %bb.7:
	s_waitcnt lgkmcnt(0)
	v_add_f64 v[2:3], v[2:3], v[4:5]
	v_lshrrev_b32_e32 v4, 3, v0
	v_and_b32_e32 v4, 0x78, v4
	ds_write_b64 v4, v[2:3]
.LBB196_8:
	s_or_b64 exec, exec, s[4:5]
	v_cmp_gt_u32_e64 s[0:1], 16, v0
	v_pk_mov_b32 v[2:3], 0, 0
	s_waitcnt lgkmcnt(0)
	s_barrier
	s_and_saveexec_b64 s[4:5], s[0:1]
	s_cbranch_execnz .LBB196_12
; %bb.9:
	s_or_b64 exec, exec, s[4:5]
	s_and_saveexec_b64 s[0:1], vcc
	s_cbranch_execnz .LBB196_13
.LBB196_10:
	s_or_b64 exec, exec, s[0:1]
	v_cmp_eq_u32_e32 vcc, 0, v0
	s_and_saveexec_b64 s[0:1], vcc
	s_cbranch_execnz .LBB196_14
.LBB196_11:
	s_endpgm
.LBB196_12:
	ds_read_b64 v[2:3], v1
	s_or_b64 exec, exec, s[4:5]
	s_and_saveexec_b64 s[0:1], vcc
	s_cbranch_execz .LBB196_10
.LBB196_13:
	s_waitcnt lgkmcnt(0)
	ds_bpermute_b32 v4, v7, v2
	ds_bpermute_b32 v5, v7, v3
	s_waitcnt lgkmcnt(0)
	v_add_f64 v[2:3], v[2:3], v[4:5]
	ds_bpermute_b32 v4, v8, v2
	ds_bpermute_b32 v5, v8, v3
	s_waitcnt lgkmcnt(0)
	v_add_f64 v[2:3], v[2:3], v[4:5]
	;; [unrolled: 4-line block ×4, first 2 shown]
	s_or_b64 exec, exec, s[0:1]
	v_cmp_eq_u32_e32 vcc, 0, v0
	s_and_saveexec_b64 s[0:1], vcc
	s_cbranch_execz .LBB196_11
.LBB196_14:
	s_lshl_b64 s[0:1], s[2:3], 3
	s_add_u32 s0, s6, s0
	s_addc_u32 s1, s7, s1
	v_mov_b32_e32 v0, 0
	s_waitcnt lgkmcnt(0)
	global_store_dwordx2 v0, v[2:3], s[0:1]
	s_endpgm
	.section	.rodata,"a",@progbits
	.p2align	6, 0x0
	.amdhsa_kernel _ZL18rocblas_dot_kernelIiLb1ELi1024ELi32ELb0EdPKPKddEviT5_lT_lS4_lS5_liPT6_PT4_
		.amdhsa_group_segment_fixed_size 512
		.amdhsa_private_segment_fixed_size 0
		.amdhsa_kernarg_size 352
		.amdhsa_user_sgpr_count 6
		.amdhsa_user_sgpr_private_segment_buffer 1
		.amdhsa_user_sgpr_dispatch_ptr 0
		.amdhsa_user_sgpr_queue_ptr 0
		.amdhsa_user_sgpr_kernarg_segment_ptr 1
		.amdhsa_user_sgpr_dispatch_id 0
		.amdhsa_user_sgpr_flat_scratch_init 0
		.amdhsa_user_sgpr_kernarg_preload_length 0
		.amdhsa_user_sgpr_kernarg_preload_offset 0
		.amdhsa_user_sgpr_private_segment_size 0
		.amdhsa_uses_dynamic_stack 0
		.amdhsa_system_sgpr_private_segment_wavefront_offset 0
		.amdhsa_system_sgpr_workgroup_id_x 1
		.amdhsa_system_sgpr_workgroup_id_y 0
		.amdhsa_system_sgpr_workgroup_id_z 1
		.amdhsa_system_sgpr_workgroup_info 0
		.amdhsa_system_vgpr_workitem_id 0
		.amdhsa_next_free_vgpr 14
		.amdhsa_next_free_sgpr 25
		.amdhsa_accum_offset 16
		.amdhsa_reserve_vcc 1
		.amdhsa_reserve_flat_scratch 0
		.amdhsa_float_round_mode_32 0
		.amdhsa_float_round_mode_16_64 0
		.amdhsa_float_denorm_mode_32 3
		.amdhsa_float_denorm_mode_16_64 3
		.amdhsa_dx10_clamp 1
		.amdhsa_ieee_mode 1
		.amdhsa_fp16_overflow 0
		.amdhsa_tg_split 0
		.amdhsa_exception_fp_ieee_invalid_op 0
		.amdhsa_exception_fp_denorm_src 0
		.amdhsa_exception_fp_ieee_div_zero 0
		.amdhsa_exception_fp_ieee_overflow 0
		.amdhsa_exception_fp_ieee_underflow 0
		.amdhsa_exception_fp_ieee_inexact 0
		.amdhsa_exception_int_div_zero 0
	.end_amdhsa_kernel
	.section	.text._ZL18rocblas_dot_kernelIiLb1ELi1024ELi32ELb0EdPKPKddEviT5_lT_lS4_lS5_liPT6_PT4_,"axG",@progbits,_ZL18rocblas_dot_kernelIiLb1ELi1024ELi32ELb0EdPKPKddEviT5_lT_lS4_lS5_liPT6_PT4_,comdat
.Lfunc_end196:
	.size	_ZL18rocblas_dot_kernelIiLb1ELi1024ELi32ELb0EdPKPKddEviT5_lT_lS4_lS5_liPT6_PT4_, .Lfunc_end196-_ZL18rocblas_dot_kernelIiLb1ELi1024ELi32ELb0EdPKPKddEviT5_lT_lS4_lS5_liPT6_PT4_
                                        ; -- End function
	.section	.AMDGPU.csdata,"",@progbits
; Kernel info:
; codeLenInByte = 1060
; NumSgprs: 29
; NumVgprs: 14
; NumAgprs: 0
; TotalNumVgprs: 14
; ScratchSize: 0
; MemoryBound: 0
; FloatMode: 240
; IeeeMode: 1
; LDSByteSize: 512 bytes/workgroup (compile time only)
; SGPRBlocks: 3
; VGPRBlocks: 1
; NumSGPRsForWavesPerEU: 29
; NumVGPRsForWavesPerEU: 14
; AccumOffset: 16
; Occupancy: 8
; WaveLimiterHint : 0
; COMPUTE_PGM_RSRC2:SCRATCH_EN: 0
; COMPUTE_PGM_RSRC2:USER_SGPR: 6
; COMPUTE_PGM_RSRC2:TRAP_HANDLER: 0
; COMPUTE_PGM_RSRC2:TGID_X_EN: 1
; COMPUTE_PGM_RSRC2:TGID_Y_EN: 0
; COMPUTE_PGM_RSRC2:TGID_Z_EN: 1
; COMPUTE_PGM_RSRC2:TIDIG_COMP_CNT: 0
; COMPUTE_PGM_RSRC3_GFX90A:ACCUM_OFFSET: 3
; COMPUTE_PGM_RSRC3_GFX90A:TG_SPLIT: 0
	.section	.text._ZL24rocblas_dot_kernel_magsqIiLb1ELi1024ELi32ELb0EdPKPKddEviT5_lT_liPT6_PT4_,"axG",@progbits,_ZL24rocblas_dot_kernel_magsqIiLb1ELi1024ELi32ELb0EdPKPKddEviT5_lT_liPT6_PT4_,comdat
	.globl	_ZL24rocblas_dot_kernel_magsqIiLb1ELi1024ELi32ELb0EdPKPKddEviT5_lT_liPT6_PT4_ ; -- Begin function _ZL24rocblas_dot_kernel_magsqIiLb1ELi1024ELi32ELb0EdPKPKddEviT5_lT_liPT6_PT4_
	.p2align	8
	.type	_ZL24rocblas_dot_kernel_magsqIiLb1ELi1024ELi32ELb0EdPKPKddEviT5_lT_liPT6_PT4_,@function
_ZL24rocblas_dot_kernel_magsqIiLb1ELi1024ELi32ELb0EdPKPKddEviT5_lT_liPT6_PT4_: ; @_ZL24rocblas_dot_kernel_magsqIiLb1ELi1024ELi32ELb0EdPKPKddEviT5_lT_liPT6_PT4_
; %bb.0:
	s_mov_b32 s2, s7
	s_load_dword s12, s[4:5], 0x0
	s_load_dwordx2 s[6:7], s[4:5], 0x38
	s_mov_b32 s3, 0
	v_pk_mov_b32 v[2:3], 0, 0
	s_waitcnt lgkmcnt(0)
	v_cmp_gt_i32_e32 vcc, s12, v0
	s_and_saveexec_b64 s[8:9], vcc
	s_cbranch_execz .LBB197_4
; %bb.1:
	s_load_dwordx4 s[16:19], s[4:5], 0x8
	s_load_dword s10, s[4:5], 0x40
	s_load_dword s11, s[4:5], 0x18
	s_lshl_b64 s[0:1], s[2:3], 3
	s_waitcnt lgkmcnt(0)
	s_add_u32 s0, s16, s0
	s_addc_u32 s1, s17, s1
	s_load_dwordx2 s[0:1], s[0:1], 0x0
	v_mad_i64_i32 v[2:3], s[4:5], s11, v0, 0
	s_lshl_b32 s13, s10, 10
	s_lshl_b64 s[4:5], s[18:19], 3
	s_waitcnt lgkmcnt(0)
	s_add_u32 s0, s0, s4
	v_lshlrev_b64 v[2:3], 3, v[2:3]
	s_addc_u32 s1, s1, s5
	v_mov_b32_e32 v5, s1
	v_add_co_u32_e32 v4, vcc, s0, v2
	s_mul_hi_i32 s1, s11, s13
	s_mul_i32 s0, s11, s13
	s_lshl_b64 s[10:11], s[0:1], 3
	v_or_b32_e32 v1, s13, v0
	v_addc_co_u32_e32 v5, vcc, v5, v3, vcc
	s_mov_b64 s[4:5], 0
	v_pk_mov_b32 v[2:3], 0, 0
	v_mov_b32_e32 v6, s11
	s_mov_b32 s11, s3
.LBB197_2:                              ; =>This Inner Loop Header: Depth=1
	global_load_dwordx2 v[8:9], v[4:5], off
	s_add_i32 s14, s11, 1
	v_add_co_u32_e64 v4, s[0:1], s10, v4
	v_addc_co_u32_e64 v5, s[0:1], v5, v6, s[0:1]
	s_cmp_gt_u32 s11, 30
	v_cmp_le_i32_e32 vcc, s12, v1
	s_cselect_b64 s[0:1], -1, 0
	s_or_b64 s[0:1], s[0:1], vcc
	s_and_b64 s[0:1], exec, s[0:1]
	v_add_u32_e32 v1, s13, v1
	s_mov_b32 s11, s14
	s_or_b64 s[4:5], s[0:1], s[4:5]
	s_waitcnt vmcnt(0)
	v_fmac_f64_e32 v[2:3], v[8:9], v[8:9]
	s_andn2_b64 exec, exec, s[4:5]
	s_cbranch_execnz .LBB197_2
; %bb.3:
	s_or_b64 exec, exec, s[4:5]
.LBB197_4:
	s_or_b64 exec, exec, s[8:9]
	v_and_b32_e32 v6, 63, v0
	v_cmp_gt_u32_e32 vcc, 64, v0
	v_lshlrev_b32_e32 v1, 3, v6
	s_and_saveexec_b64 s[0:1], vcc
	s_cbranch_execz .LBB197_6
; %bb.5:
	v_mov_b32_e32 v4, 0
	v_mov_b32_e32 v5, v4
	ds_write_b64 v1, v[4:5]
.LBB197_6:
	s_or_b64 exec, exec, s[0:1]
	v_mbcnt_lo_u32_b32 v4, -1, 0
	v_mbcnt_hi_u32_b32 v10, -1, v4
	v_and_b32_e32 v11, 63, v10
	v_cmp_gt_u32_e64 s[0:1], 32, v11
	v_cndmask_b32_e64 v4, 0, 1, s[0:1]
	v_lshlrev_b32_e32 v4, 5, v4
	v_add_lshl_u32 v5, v4, v10, 2
	ds_bpermute_b32 v4, v5, v2
	ds_bpermute_b32 v5, v5, v3
	v_cmp_gt_u32_e64 s[0:1], 48, v11
	v_cndmask_b32_e64 v7, 0, 1, s[0:1]
	v_cmp_gt_u32_e64 s[0:1], 56, v11
	s_waitcnt lgkmcnt(0)
	v_add_f64 v[2:3], v[2:3], v[4:5]
	v_lshlrev_b32_e32 v4, 4, v7
	v_add_lshl_u32 v5, v4, v10, 2
	ds_bpermute_b32 v4, v5, v2
	ds_bpermute_b32 v5, v5, v3
	s_barrier
	s_waitcnt lgkmcnt(0)
	v_add_f64 v[2:3], v[2:3], v[4:5]
	v_cndmask_b32_e64 v4, 0, 1, s[0:1]
	v_lshlrev_b32_e32 v4, 3, v4
	v_add_lshl_u32 v7, v4, v10, 2
	ds_bpermute_b32 v4, v7, v2
	ds_bpermute_b32 v5, v7, v3
	v_cmp_gt_u32_e64 s[0:1], 60, v11
	s_waitcnt lgkmcnt(0)
	v_add_f64 v[2:3], v[2:3], v[4:5]
	v_cndmask_b32_e64 v4, 0, 1, s[0:1]
	v_lshlrev_b32_e32 v4, 2, v4
	v_add_lshl_u32 v8, v4, v10, 2
	ds_bpermute_b32 v4, v8, v2
	ds_bpermute_b32 v5, v8, v3
	v_cmp_gt_u32_e64 s[0:1], 62, v11
	s_waitcnt lgkmcnt(0)
	v_add_f64 v[2:3], v[2:3], v[4:5]
	v_cndmask_b32_e64 v4, 0, 1, s[0:1]
	v_lshlrev_b32_e32 v4, 1, v4
	v_add_lshl_u32 v9, v4, v10, 2
	ds_bpermute_b32 v4, v9, v2
	ds_bpermute_b32 v5, v9, v3
	v_cmp_ne_u32_e64 s[0:1], 63, v11
	s_waitcnt lgkmcnt(0)
	v_add_f64 v[2:3], v[2:3], v[4:5]
	v_addc_co_u32_e64 v4, s[0:1], 0, v10, s[0:1]
	v_lshlrev_b32_e32 v10, 2, v4
	ds_bpermute_b32 v4, v10, v2
	ds_bpermute_b32 v5, v10, v3
	v_cmp_eq_u32_e64 s[0:1], 0, v6
	s_and_saveexec_b64 s[4:5], s[0:1]
	s_cbranch_execz .LBB197_8
; %bb.7:
	s_waitcnt lgkmcnt(0)
	v_add_f64 v[2:3], v[2:3], v[4:5]
	v_lshrrev_b32_e32 v4, 3, v0
	v_and_b32_e32 v4, 0x78, v4
	ds_write_b64 v4, v[2:3]
.LBB197_8:
	s_or_b64 exec, exec, s[4:5]
	v_cmp_gt_u32_e64 s[0:1], 16, v0
	v_pk_mov_b32 v[2:3], 0, 0
	s_waitcnt lgkmcnt(0)
	s_barrier
	s_and_saveexec_b64 s[4:5], s[0:1]
	s_cbranch_execnz .LBB197_12
; %bb.9:
	s_or_b64 exec, exec, s[4:5]
	s_and_saveexec_b64 s[0:1], vcc
	s_cbranch_execnz .LBB197_13
.LBB197_10:
	s_or_b64 exec, exec, s[0:1]
	v_cmp_eq_u32_e32 vcc, 0, v0
	s_and_saveexec_b64 s[0:1], vcc
	s_cbranch_execnz .LBB197_14
.LBB197_11:
	s_endpgm
.LBB197_12:
	ds_read_b64 v[2:3], v1
	s_or_b64 exec, exec, s[4:5]
	s_and_saveexec_b64 s[0:1], vcc
	s_cbranch_execz .LBB197_10
.LBB197_13:
	s_waitcnt lgkmcnt(0)
	ds_bpermute_b32 v4, v7, v2
	ds_bpermute_b32 v5, v7, v3
	s_waitcnt lgkmcnt(0)
	v_add_f64 v[2:3], v[2:3], v[4:5]
	ds_bpermute_b32 v4, v8, v2
	ds_bpermute_b32 v5, v8, v3
	s_waitcnt lgkmcnt(0)
	v_add_f64 v[2:3], v[2:3], v[4:5]
	;; [unrolled: 4-line block ×4, first 2 shown]
	s_or_b64 exec, exec, s[0:1]
	v_cmp_eq_u32_e32 vcc, 0, v0
	s_and_saveexec_b64 s[0:1], vcc
	s_cbranch_execz .LBB197_11
.LBB197_14:
	s_lshl_b64 s[0:1], s[2:3], 3
	s_add_u32 s0, s6, s0
	s_addc_u32 s1, s7, s1
	v_mov_b32_e32 v0, 0
	s_waitcnt lgkmcnt(0)
	global_store_dwordx2 v0, v[2:3], s[0:1]
	s_endpgm
	.section	.rodata,"a",@progbits
	.p2align	6, 0x0
	.amdhsa_kernel _ZL24rocblas_dot_kernel_magsqIiLb1ELi1024ELi32ELb0EdPKPKddEviT5_lT_liPT6_PT4_
		.amdhsa_group_segment_fixed_size 512
		.amdhsa_private_segment_fixed_size 0
		.amdhsa_kernarg_size 320
		.amdhsa_user_sgpr_count 6
		.amdhsa_user_sgpr_private_segment_buffer 1
		.amdhsa_user_sgpr_dispatch_ptr 0
		.amdhsa_user_sgpr_queue_ptr 0
		.amdhsa_user_sgpr_kernarg_segment_ptr 1
		.amdhsa_user_sgpr_dispatch_id 0
		.amdhsa_user_sgpr_flat_scratch_init 0
		.amdhsa_user_sgpr_kernarg_preload_length 0
		.amdhsa_user_sgpr_kernarg_preload_offset 0
		.amdhsa_user_sgpr_private_segment_size 0
		.amdhsa_uses_dynamic_stack 0
		.amdhsa_system_sgpr_private_segment_wavefront_offset 0
		.amdhsa_system_sgpr_workgroup_id_x 1
		.amdhsa_system_sgpr_workgroup_id_y 0
		.amdhsa_system_sgpr_workgroup_id_z 1
		.amdhsa_system_sgpr_workgroup_info 0
		.amdhsa_system_vgpr_workitem_id 0
		.amdhsa_next_free_vgpr 12
		.amdhsa_next_free_sgpr 20
		.amdhsa_accum_offset 12
		.amdhsa_reserve_vcc 1
		.amdhsa_reserve_flat_scratch 0
		.amdhsa_float_round_mode_32 0
		.amdhsa_float_round_mode_16_64 0
		.amdhsa_float_denorm_mode_32 3
		.amdhsa_float_denorm_mode_16_64 3
		.amdhsa_dx10_clamp 1
		.amdhsa_ieee_mode 1
		.amdhsa_fp16_overflow 0
		.amdhsa_tg_split 0
		.amdhsa_exception_fp_ieee_invalid_op 0
		.amdhsa_exception_fp_denorm_src 0
		.amdhsa_exception_fp_ieee_div_zero 0
		.amdhsa_exception_fp_ieee_overflow 0
		.amdhsa_exception_fp_ieee_underflow 0
		.amdhsa_exception_fp_ieee_inexact 0
		.amdhsa_exception_int_div_zero 0
	.end_amdhsa_kernel
	.section	.text._ZL24rocblas_dot_kernel_magsqIiLb1ELi1024ELi32ELb0EdPKPKddEviT5_lT_liPT6_PT4_,"axG",@progbits,_ZL24rocblas_dot_kernel_magsqIiLb1ELi1024ELi32ELb0EdPKPKddEviT5_lT_liPT6_PT4_,comdat
.Lfunc_end197:
	.size	_ZL24rocblas_dot_kernel_magsqIiLb1ELi1024ELi32ELb0EdPKPKddEviT5_lT_liPT6_PT4_, .Lfunc_end197-_ZL24rocblas_dot_kernel_magsqIiLb1ELi1024ELi32ELb0EdPKPKddEviT5_lT_liPT6_PT4_
                                        ; -- End function
	.section	.AMDGPU.csdata,"",@progbits
; Kernel info:
; codeLenInByte = 944
; NumSgprs: 24
; NumVgprs: 12
; NumAgprs: 0
; TotalNumVgprs: 12
; ScratchSize: 0
; MemoryBound: 0
; FloatMode: 240
; IeeeMode: 1
; LDSByteSize: 512 bytes/workgroup (compile time only)
; SGPRBlocks: 2
; VGPRBlocks: 1
; NumSGPRsForWavesPerEU: 24
; NumVGPRsForWavesPerEU: 12
; AccumOffset: 12
; Occupancy: 8
; WaveLimiterHint : 0
; COMPUTE_PGM_RSRC2:SCRATCH_EN: 0
; COMPUTE_PGM_RSRC2:USER_SGPR: 6
; COMPUTE_PGM_RSRC2:TRAP_HANDLER: 0
; COMPUTE_PGM_RSRC2:TGID_X_EN: 1
; COMPUTE_PGM_RSRC2:TGID_Y_EN: 0
; COMPUTE_PGM_RSRC2:TGID_Z_EN: 1
; COMPUTE_PGM_RSRC2:TIDIG_COMP_CNT: 0
; COMPUTE_PGM_RSRC3_GFX90A:ACCUM_OFFSET: 2
; COMPUTE_PGM_RSRC3_GFX90A:TG_SPLIT: 0
	.section	.text._ZL38rocblas_dot_kernel_gfx942_float_doubleIiLi1024EdPKPKddEviT2_lT_lS4_lS5_lPT3_PT1_,"axG",@progbits,_ZL38rocblas_dot_kernel_gfx942_float_doubleIiLi1024EdPKPKddEviT2_lT_lS4_lS5_lPT3_PT1_,comdat
	.globl	_ZL38rocblas_dot_kernel_gfx942_float_doubleIiLi1024EdPKPKddEviT2_lT_lS4_lS5_lPT3_PT1_ ; -- Begin function _ZL38rocblas_dot_kernel_gfx942_float_doubleIiLi1024EdPKPKddEviT2_lT_lS4_lS5_lPT3_PT1_
	.p2align	8
	.type	_ZL38rocblas_dot_kernel_gfx942_float_doubleIiLi1024EdPKPKddEviT2_lT_lS4_lS5_lPT3_PT1_,@function
_ZL38rocblas_dot_kernel_gfx942_float_doubleIiLi1024EdPKPKddEviT2_lT_lS4_lS5_lPT3_PT1_: ; @_ZL38rocblas_dot_kernel_gfx942_float_doubleIiLi1024EdPKPKddEviT2_lT_lS4_lS5_lPT3_PT1_
; %bb.0:
	s_endpgm
	.section	.rodata,"a",@progbits
	.p2align	6, 0x0
	.amdhsa_kernel _ZL38rocblas_dot_kernel_gfx942_float_doubleIiLi1024EdPKPKddEviT2_lT_lS4_lS5_lPT3_PT1_
		.amdhsa_group_segment_fixed_size 0
		.amdhsa_private_segment_fixed_size 0
		.amdhsa_kernarg_size 88
		.amdhsa_user_sgpr_count 6
		.amdhsa_user_sgpr_private_segment_buffer 1
		.amdhsa_user_sgpr_dispatch_ptr 0
		.amdhsa_user_sgpr_queue_ptr 0
		.amdhsa_user_sgpr_kernarg_segment_ptr 1
		.amdhsa_user_sgpr_dispatch_id 0
		.amdhsa_user_sgpr_flat_scratch_init 0
		.amdhsa_user_sgpr_kernarg_preload_length 0
		.amdhsa_user_sgpr_kernarg_preload_offset 0
		.amdhsa_user_sgpr_private_segment_size 0
		.amdhsa_uses_dynamic_stack 0
		.amdhsa_system_sgpr_private_segment_wavefront_offset 0
		.amdhsa_system_sgpr_workgroup_id_x 1
		.amdhsa_system_sgpr_workgroup_id_y 0
		.amdhsa_system_sgpr_workgroup_id_z 0
		.amdhsa_system_sgpr_workgroup_info 0
		.amdhsa_system_vgpr_workitem_id 0
		.amdhsa_next_free_vgpr 1
		.amdhsa_next_free_sgpr 0
		.amdhsa_accum_offset 4
		.amdhsa_reserve_vcc 0
		.amdhsa_reserve_flat_scratch 0
		.amdhsa_float_round_mode_32 0
		.amdhsa_float_round_mode_16_64 0
		.amdhsa_float_denorm_mode_32 3
		.amdhsa_float_denorm_mode_16_64 3
		.amdhsa_dx10_clamp 1
		.amdhsa_ieee_mode 1
		.amdhsa_fp16_overflow 0
		.amdhsa_tg_split 0
		.amdhsa_exception_fp_ieee_invalid_op 0
		.amdhsa_exception_fp_denorm_src 0
		.amdhsa_exception_fp_ieee_div_zero 0
		.amdhsa_exception_fp_ieee_overflow 0
		.amdhsa_exception_fp_ieee_underflow 0
		.amdhsa_exception_fp_ieee_inexact 0
		.amdhsa_exception_int_div_zero 0
	.end_amdhsa_kernel
	.section	.text._ZL38rocblas_dot_kernel_gfx942_float_doubleIiLi1024EdPKPKddEviT2_lT_lS4_lS5_lPT3_PT1_,"axG",@progbits,_ZL38rocblas_dot_kernel_gfx942_float_doubleIiLi1024EdPKPKddEviT2_lT_lS4_lS5_lPT3_PT1_,comdat
.Lfunc_end198:
	.size	_ZL38rocblas_dot_kernel_gfx942_float_doubleIiLi1024EdPKPKddEviT2_lT_lS4_lS5_lPT3_PT1_, .Lfunc_end198-_ZL38rocblas_dot_kernel_gfx942_float_doubleIiLi1024EdPKPKddEviT2_lT_lS4_lS5_lPT3_PT1_
                                        ; -- End function
	.section	.AMDGPU.csdata,"",@progbits
; Kernel info:
; codeLenInByte = 4
; NumSgprs: 4
; NumVgprs: 0
; NumAgprs: 0
; TotalNumVgprs: 0
; ScratchSize: 0
; MemoryBound: 0
; FloatMode: 240
; IeeeMode: 1
; LDSByteSize: 0 bytes/workgroup (compile time only)
; SGPRBlocks: 0
; VGPRBlocks: 0
; NumSGPRsForWavesPerEU: 4
; NumVGPRsForWavesPerEU: 1
; AccumOffset: 4
; Occupancy: 8
; WaveLimiterHint : 0
; COMPUTE_PGM_RSRC2:SCRATCH_EN: 0
; COMPUTE_PGM_RSRC2:USER_SGPR: 6
; COMPUTE_PGM_RSRC2:TRAP_HANDLER: 0
; COMPUTE_PGM_RSRC2:TGID_X_EN: 1
; COMPUTE_PGM_RSRC2:TGID_Y_EN: 0
; COMPUTE_PGM_RSRC2:TGID_Z_EN: 0
; COMPUTE_PGM_RSRC2:TIDIG_COMP_CNT: 0
; COMPUTE_PGM_RSRC3_GFX90A:ACCUM_OFFSET: 0
; COMPUTE_PGM_RSRC3_GFX90A:TG_SPLIT: 0
	.section	.text._ZL23rocblas_dot_kernel_inc1ILb0ELi512ELi2ELb0EdPKPKddEviT4_llS4_lliPT5_PT3_,"axG",@progbits,_ZL23rocblas_dot_kernel_inc1ILb0ELi512ELi2ELb0EdPKPKddEviT4_llS4_lliPT5_PT3_,comdat
	.globl	_ZL23rocblas_dot_kernel_inc1ILb0ELi512ELi2ELb0EdPKPKddEviT4_llS4_lliPT5_PT3_ ; -- Begin function _ZL23rocblas_dot_kernel_inc1ILb0ELi512ELi2ELb0EdPKPKddEviT4_llS4_lliPT5_PT3_
	.p2align	8
	.type	_ZL23rocblas_dot_kernel_inc1ILb0ELi512ELi2ELb0EdPKPKddEviT4_llS4_lliPT5_PT3_,@function
_ZL23rocblas_dot_kernel_inc1ILb0ELi512ELi2ELb0EdPKPKddEviT4_llS4_lliPT5_PT3_: ; @_ZL23rocblas_dot_kernel_inc1ILb0ELi512ELi2ELb0EdPKPKddEviT4_llS4_lliPT5_PT3_
; %bb.0:
	s_mov_b32 s2, s7
	s_load_dword s7, s[4:5], 0x0
	s_load_dword s10, s[4:5], 0x50
	v_lshl_or_b32 v4, s6, 9, v0
	s_mov_b32 s3, 0
	v_pk_mov_b32 v[2:3], 0, 0
	s_waitcnt lgkmcnt(0)
	v_cmp_gt_i32_e32 vcc, s7, v4
	s_and_saveexec_b64 s[0:1], vcc
	s_cbranch_execz .LBB199_4
; %bb.1:
	s_load_dwordx4 s[12:15], s[4:5], 0x8
	s_load_dwordx4 s[16:19], s[4:5], 0x20
	s_lshl_b64 s[8:9], s[2:3], 3
	v_ashrrev_i32_e32 v5, 31, v4
	v_lshlrev_b64 v[2:3], 3, v[4:5]
	s_waitcnt lgkmcnt(0)
	s_add_u32 s12, s12, s8
	s_addc_u32 s13, s13, s9
	s_load_dwordx2 s[12:13], s[12:13], 0x0
	s_lshl_b64 s[14:15], s[14:15], 3
	s_waitcnt lgkmcnt(0)
	s_add_u32 s11, s12, s14
	s_addc_u32 s12, s13, s15
	s_add_u32 s8, s16, s8
	s_addc_u32 s9, s17, s9
	s_load_dwordx2 s[8:9], s[8:9], 0x0
	s_lshl_b64 s[14:15], s[18:19], 3
	v_mov_b32_e32 v1, s12
	s_waitcnt lgkmcnt(0)
	s_add_u32 s13, s8, s14
	s_addc_u32 s14, s9, s15
	v_mov_b32_e32 v5, s14
	v_add_co_u32_e32 v4, vcc, s13, v2
	v_addc_co_u32_e32 v5, vcc, v5, v3, vcc
	v_add_co_u32_e32 v2, vcc, s11, v2
	v_addc_co_u32_e32 v3, vcc, v1, v3, vcc
	global_load_dwordx2 v[6:7], v[2:3], off
	global_load_dwordx2 v[8:9], v[4:5], off
	s_add_i32 s8, s6, s10
	v_lshl_or_b32 v4, s8, 9, v0
	v_cmp_gt_i32_e32 vcc, s7, v4
	s_waitcnt vmcnt(0)
	v_fma_f64 v[2:3], v[8:9], v[6:7], 0
	s_and_saveexec_b64 s[8:9], vcc
	s_cbranch_execz .LBB199_3
; %bb.2:
	v_ashrrev_i32_e32 v5, 31, v4
	v_lshlrev_b64 v[4:5], 3, v[4:5]
	v_mov_b32_e32 v1, s14
	v_add_co_u32_e32 v6, vcc, s13, v4
	v_addc_co_u32_e32 v7, vcc, v1, v5, vcc
	v_mov_b32_e32 v1, s12
	v_add_co_u32_e32 v4, vcc, s11, v4
	v_addc_co_u32_e32 v5, vcc, v1, v5, vcc
	global_load_dwordx2 v[6:7], v[6:7], off
	s_nop 0
	global_load_dwordx2 v[4:5], v[4:5], off
	s_waitcnt vmcnt(0)
	v_fmac_f64_e32 v[2:3], v[6:7], v[4:5]
.LBB199_3:
	s_or_b64 exec, exec, s[8:9]
.LBB199_4:
	s_or_b64 exec, exec, s[0:1]
	v_and_b32_e32 v6, 63, v0
	v_cmp_gt_u32_e32 vcc, 64, v0
	v_lshlrev_b32_e32 v1, 3, v6
	s_and_saveexec_b64 s[0:1], vcc
	s_cbranch_execz .LBB199_6
; %bb.5:
	v_mov_b32_e32 v4, 0
	v_mov_b32_e32 v5, v4
	ds_write_b64 v1, v[4:5]
.LBB199_6:
	s_or_b64 exec, exec, s[0:1]
	v_mbcnt_lo_u32_b32 v4, -1, 0
	v_mbcnt_hi_u32_b32 v9, -1, v4
	v_and_b32_e32 v10, 63, v9
	v_cmp_gt_u32_e64 s[0:1], 32, v10
	v_cndmask_b32_e64 v4, 0, 1, s[0:1]
	v_lshlrev_b32_e32 v4, 5, v4
	v_add_lshl_u32 v5, v4, v9, 2
	ds_bpermute_b32 v4, v5, v2
	ds_bpermute_b32 v5, v5, v3
	v_cmp_gt_u32_e64 s[0:1], 48, v10
	v_cndmask_b32_e64 v7, 0, 1, s[0:1]
	v_cmp_gt_u32_e64 s[0:1], 56, v10
	s_waitcnt lgkmcnt(0)
	v_add_f64 v[2:3], v[2:3], v[4:5]
	v_lshlrev_b32_e32 v4, 4, v7
	v_add_lshl_u32 v5, v4, v9, 2
	ds_bpermute_b32 v4, v5, v2
	ds_bpermute_b32 v5, v5, v3
	s_barrier
	s_waitcnt lgkmcnt(0)
	v_add_f64 v[2:3], v[2:3], v[4:5]
	v_cndmask_b32_e64 v4, 0, 1, s[0:1]
	v_lshlrev_b32_e32 v4, 3, v4
	v_add_lshl_u32 v5, v4, v9, 2
	ds_bpermute_b32 v4, v5, v2
	ds_bpermute_b32 v5, v5, v3
	v_cmp_gt_u32_e64 s[0:1], 60, v10
	s_waitcnt lgkmcnt(0)
	v_add_f64 v[2:3], v[2:3], v[4:5]
	v_cndmask_b32_e64 v4, 0, 1, s[0:1]
	v_lshlrev_b32_e32 v4, 2, v4
	v_add_lshl_u32 v7, v4, v9, 2
	ds_bpermute_b32 v4, v7, v2
	ds_bpermute_b32 v5, v7, v3
	v_cmp_gt_u32_e64 s[0:1], 62, v10
	s_waitcnt lgkmcnt(0)
	v_add_f64 v[2:3], v[2:3], v[4:5]
	v_cndmask_b32_e64 v4, 0, 1, s[0:1]
	v_lshlrev_b32_e32 v4, 1, v4
	v_add_lshl_u32 v8, v4, v9, 2
	ds_bpermute_b32 v4, v8, v2
	ds_bpermute_b32 v5, v8, v3
	v_cmp_ne_u32_e64 s[0:1], 63, v10
	s_waitcnt lgkmcnt(0)
	v_add_f64 v[2:3], v[2:3], v[4:5]
	v_addc_co_u32_e64 v4, s[0:1], 0, v9, s[0:1]
	v_lshlrev_b32_e32 v9, 2, v4
	ds_bpermute_b32 v4, v9, v2
	ds_bpermute_b32 v5, v9, v3
	v_cmp_eq_u32_e64 s[0:1], 0, v6
	s_and_saveexec_b64 s[8:9], s[0:1]
	s_cbranch_execz .LBB199_8
; %bb.7:
	s_waitcnt lgkmcnt(0)
	v_add_f64 v[2:3], v[2:3], v[4:5]
	v_lshrrev_b32_e32 v4, 3, v0
	v_and_b32_e32 v4, 56, v4
	ds_write_b64 v4, v[2:3]
.LBB199_8:
	s_or_b64 exec, exec, s[8:9]
	v_cmp_gt_u32_e64 s[0:1], 8, v0
	v_pk_mov_b32 v[2:3], 0, 0
	s_waitcnt lgkmcnt(0)
	s_barrier
	s_and_saveexec_b64 s[8:9], s[0:1]
	s_cbranch_execnz .LBB199_12
; %bb.9:
	s_or_b64 exec, exec, s[8:9]
	s_and_saveexec_b64 s[0:1], vcc
	s_cbranch_execnz .LBB199_13
.LBB199_10:
	s_or_b64 exec, exec, s[0:1]
	v_cmp_eq_u32_e32 vcc, 0, v0
	s_and_saveexec_b64 s[0:1], vcc
	s_cbranch_execnz .LBB199_14
.LBB199_11:
	s_endpgm
.LBB199_12:
	ds_read_b64 v[2:3], v1
	s_or_b64 exec, exec, s[8:9]
	s_and_saveexec_b64 s[0:1], vcc
	s_cbranch_execz .LBB199_10
.LBB199_13:
	s_waitcnt lgkmcnt(0)
	ds_bpermute_b32 v4, v7, v2
	ds_bpermute_b32 v5, v7, v3
	s_waitcnt lgkmcnt(0)
	v_add_f64 v[2:3], v[2:3], v[4:5]
	ds_bpermute_b32 v4, v8, v2
	ds_bpermute_b32 v5, v8, v3
	s_waitcnt lgkmcnt(0)
	v_add_f64 v[2:3], v[2:3], v[4:5]
	;; [unrolled: 4-line block ×3, first 2 shown]
	s_or_b64 exec, exec, s[0:1]
	v_cmp_eq_u32_e32 vcc, 0, v0
	s_and_saveexec_b64 s[0:1], vcc
	s_cbranch_execz .LBB199_11
.LBB199_14:
	s_cmp_lg_u32 s10, 1
	s_cbranch_scc0 .LBB199_16
; %bb.15:
	s_load_dwordx2 s[0:1], s[4:5], 0x40
	s_mul_hi_u32 s9, s10, s2
	s_mul_i32 s8, s10, s2
	s_lshl_b64 s[8:9], s[8:9], 3
	s_mov_b32 s7, 0
	s_waitcnt lgkmcnt(0)
	s_add_u32 s8, s0, s8
	s_addc_u32 s9, s1, s9
	s_lshl_b64 s[0:1], s[6:7], 3
	s_add_u32 s0, s8, s0
	s_addc_u32 s1, s9, s1
	s_cbranch_execz .LBB199_17
	s_branch .LBB199_18
.LBB199_16:
                                        ; implicit-def: $sgpr0_sgpr1
.LBB199_17:
	s_load_dwordx2 s[0:1], s[4:5], 0x48
	s_lshl_b64 s[2:3], s[2:3], 3
	s_waitcnt lgkmcnt(0)
	s_add_u32 s0, s0, s2
	s_addc_u32 s1, s1, s3
.LBB199_18:
	v_mov_b32_e32 v0, 0
	s_waitcnt lgkmcnt(0)
	global_store_dwordx2 v0, v[2:3], s[0:1]
	s_endpgm
	.section	.rodata,"a",@progbits
	.p2align	6, 0x0
	.amdhsa_kernel _ZL23rocblas_dot_kernel_inc1ILb0ELi512ELi2ELb0EdPKPKddEviT4_llS4_lliPT5_PT3_
		.amdhsa_group_segment_fixed_size 512
		.amdhsa_private_segment_fixed_size 0
		.amdhsa_kernarg_size 336
		.amdhsa_user_sgpr_count 6
		.amdhsa_user_sgpr_private_segment_buffer 1
		.amdhsa_user_sgpr_dispatch_ptr 0
		.amdhsa_user_sgpr_queue_ptr 0
		.amdhsa_user_sgpr_kernarg_segment_ptr 1
		.amdhsa_user_sgpr_dispatch_id 0
		.amdhsa_user_sgpr_flat_scratch_init 0
		.amdhsa_user_sgpr_kernarg_preload_length 0
		.amdhsa_user_sgpr_kernarg_preload_offset 0
		.amdhsa_user_sgpr_private_segment_size 0
		.amdhsa_uses_dynamic_stack 0
		.amdhsa_system_sgpr_private_segment_wavefront_offset 0
		.amdhsa_system_sgpr_workgroup_id_x 1
		.amdhsa_system_sgpr_workgroup_id_y 0
		.amdhsa_system_sgpr_workgroup_id_z 1
		.amdhsa_system_sgpr_workgroup_info 0
		.amdhsa_system_vgpr_workitem_id 0
		.amdhsa_next_free_vgpr 11
		.amdhsa_next_free_sgpr 20
		.amdhsa_accum_offset 12
		.amdhsa_reserve_vcc 1
		.amdhsa_reserve_flat_scratch 0
		.amdhsa_float_round_mode_32 0
		.amdhsa_float_round_mode_16_64 0
		.amdhsa_float_denorm_mode_32 3
		.amdhsa_float_denorm_mode_16_64 3
		.amdhsa_dx10_clamp 1
		.amdhsa_ieee_mode 1
		.amdhsa_fp16_overflow 0
		.amdhsa_tg_split 0
		.amdhsa_exception_fp_ieee_invalid_op 0
		.amdhsa_exception_fp_denorm_src 0
		.amdhsa_exception_fp_ieee_div_zero 0
		.amdhsa_exception_fp_ieee_overflow 0
		.amdhsa_exception_fp_ieee_underflow 0
		.amdhsa_exception_fp_ieee_inexact 0
		.amdhsa_exception_int_div_zero 0
	.end_amdhsa_kernel
	.section	.text._ZL23rocblas_dot_kernel_inc1ILb0ELi512ELi2ELb0EdPKPKddEviT4_llS4_lliPT5_PT3_,"axG",@progbits,_ZL23rocblas_dot_kernel_inc1ILb0ELi512ELi2ELb0EdPKPKddEviT4_llS4_lliPT5_PT3_,comdat
.Lfunc_end199:
	.size	_ZL23rocblas_dot_kernel_inc1ILb0ELi512ELi2ELb0EdPKPKddEviT4_llS4_lliPT5_PT3_, .Lfunc_end199-_ZL23rocblas_dot_kernel_inc1ILb0ELi512ELi2ELb0EdPKPKddEviT4_llS4_lliPT5_PT3_
                                        ; -- End function
	.section	.AMDGPU.csdata,"",@progbits
; Kernel info:
; codeLenInByte = 1028
; NumSgprs: 24
; NumVgprs: 11
; NumAgprs: 0
; TotalNumVgprs: 11
; ScratchSize: 0
; MemoryBound: 0
; FloatMode: 240
; IeeeMode: 1
; LDSByteSize: 512 bytes/workgroup (compile time only)
; SGPRBlocks: 2
; VGPRBlocks: 1
; NumSGPRsForWavesPerEU: 24
; NumVGPRsForWavesPerEU: 11
; AccumOffset: 12
; Occupancy: 8
; WaveLimiterHint : 1
; COMPUTE_PGM_RSRC2:SCRATCH_EN: 0
; COMPUTE_PGM_RSRC2:USER_SGPR: 6
; COMPUTE_PGM_RSRC2:TRAP_HANDLER: 0
; COMPUTE_PGM_RSRC2:TGID_X_EN: 1
; COMPUTE_PGM_RSRC2:TGID_Y_EN: 0
; COMPUTE_PGM_RSRC2:TGID_Z_EN: 1
; COMPUTE_PGM_RSRC2:TIDIG_COMP_CNT: 0
; COMPUTE_PGM_RSRC3_GFX90A:ACCUM_OFFSET: 2
; COMPUTE_PGM_RSRC3_GFX90A:TG_SPLIT: 0
	.section	.text._ZL18rocblas_dot_kernelIiLb0ELi512ELi2ELb0EdPKPKddEviT5_lT_lS4_lS5_liPT6_PT4_,"axG",@progbits,_ZL18rocblas_dot_kernelIiLb0ELi512ELi2ELb0EdPKPKddEviT5_lT_lS4_lS5_liPT6_PT4_,comdat
	.globl	_ZL18rocblas_dot_kernelIiLb0ELi512ELi2ELb0EdPKPKddEviT5_lT_lS4_lS5_liPT6_PT4_ ; -- Begin function _ZL18rocblas_dot_kernelIiLb0ELi512ELi2ELb0EdPKPKddEviT5_lT_lS4_lS5_liPT6_PT4_
	.p2align	8
	.type	_ZL18rocblas_dot_kernelIiLb0ELi512ELi2ELb0EdPKPKddEviT5_lT_lS4_lS5_liPT6_PT4_,@function
_ZL18rocblas_dot_kernelIiLb0ELi512ELi2ELb0EdPKPKddEviT5_lT_lS4_lS5_liPT6_PT4_: ; @_ZL18rocblas_dot_kernelIiLb0ELi512ELi2ELb0EdPKPKddEviT5_lT_lS4_lS5_liPT6_PT4_
; %bb.0:
	s_mov_b32 s2, s7
	s_load_dword s7, s[4:5], 0x0
	s_load_dword s10, s[4:5], 0x60
	v_lshl_or_b32 v1, s6, 9, v0
	s_mov_b32 s3, 0
	v_pk_mov_b32 v[2:3], 0, 0
	s_waitcnt lgkmcnt(0)
	v_cmp_gt_i32_e32 vcc, s7, v1
	s_and_saveexec_b64 s[0:1], vcc
	s_cbranch_execz .LBB200_4
; %bb.1:
	s_load_dwordx4 s[16:19], s[4:5], 0x8
	s_load_dword s11, s[4:5], 0x18
	s_lshl_b64 s[8:9], s[2:3], 3
	s_waitcnt lgkmcnt(0)
	s_add_u32 s12, s16, s8
	s_addc_u32 s13, s17, s9
	s_load_dwordx2 s[16:17], s[12:13], 0x0
	s_load_dwordx4 s[20:23], s[4:5], 0x28
	s_load_dword s14, s[4:5], 0x38
	s_lshl_b64 s[12:13], s[18:19], 3
	s_waitcnt lgkmcnt(0)
	s_add_u32 s12, s16, s12
	s_addc_u32 s13, s17, s13
	s_add_u32 s8, s20, s8
	s_addc_u32 s9, s21, s9
	s_load_dwordx2 s[8:9], s[8:9], 0x0
	v_mad_i64_i32 v[2:3], s[16:17], v1, s14, 0
	s_lshl_b64 s[16:17], s[22:23], 3
	v_lshlrev_b64 v[2:3], 3, v[2:3]
	s_waitcnt lgkmcnt(0)
	s_add_u32 s15, s8, s16
	s_addc_u32 s16, s9, s17
	v_mov_b32_e32 v4, s16
	v_add_co_u32_e32 v2, vcc, s15, v2
	v_addc_co_u32_e32 v3, vcc, v4, v3, vcc
	v_mad_i64_i32 v[4:5], s[8:9], v1, s11, 0
	v_lshlrev_b64 v[4:5], 3, v[4:5]
	v_mov_b32_e32 v1, s13
	v_add_co_u32_e32 v4, vcc, s12, v4
	v_addc_co_u32_e32 v5, vcc, v1, v5, vcc
	global_load_dwordx2 v[6:7], v[4:5], off
	global_load_dwordx2 v[8:9], v[2:3], off
	s_add_i32 s8, s6, s10
	v_lshl_or_b32 v1, s8, 9, v0
	v_cmp_gt_i32_e32 vcc, s7, v1
	s_waitcnt vmcnt(0)
	v_fma_f64 v[2:3], v[8:9], v[6:7], 0
	s_and_saveexec_b64 s[8:9], vcc
	s_cbranch_execz .LBB200_3
; %bb.2:
	v_mad_i64_i32 v[4:5], s[18:19], v1, s14, 0
	v_lshlrev_b64 v[4:5], 3, v[4:5]
	v_mov_b32_e32 v6, s16
	v_add_co_u32_e32 v4, vcc, s15, v4
	v_addc_co_u32_e32 v5, vcc, v6, v5, vcc
	v_mad_i64_i32 v[6:7], s[14:15], v1, s11, 0
	v_lshlrev_b64 v[6:7], 3, v[6:7]
	v_mov_b32_e32 v1, s13
	v_add_co_u32_e32 v6, vcc, s12, v6
	v_addc_co_u32_e32 v7, vcc, v1, v7, vcc
	global_load_dwordx2 v[4:5], v[4:5], off
	s_nop 0
	global_load_dwordx2 v[6:7], v[6:7], off
	s_waitcnt vmcnt(0)
	v_fmac_f64_e32 v[2:3], v[4:5], v[6:7]
.LBB200_3:
	s_or_b64 exec, exec, s[8:9]
.LBB200_4:
	s_or_b64 exec, exec, s[0:1]
	v_and_b32_e32 v6, 63, v0
	v_cmp_gt_u32_e32 vcc, 64, v0
	v_lshlrev_b32_e32 v1, 3, v6
	s_and_saveexec_b64 s[0:1], vcc
	s_cbranch_execz .LBB200_6
; %bb.5:
	v_mov_b32_e32 v4, 0
	v_mov_b32_e32 v5, v4
	ds_write_b64 v1, v[4:5]
.LBB200_6:
	s_or_b64 exec, exec, s[0:1]
	v_mbcnt_lo_u32_b32 v4, -1, 0
	v_mbcnt_hi_u32_b32 v9, -1, v4
	v_and_b32_e32 v10, 63, v9
	v_cmp_gt_u32_e64 s[0:1], 32, v10
	v_cndmask_b32_e64 v4, 0, 1, s[0:1]
	v_lshlrev_b32_e32 v4, 5, v4
	v_add_lshl_u32 v5, v4, v9, 2
	ds_bpermute_b32 v4, v5, v2
	ds_bpermute_b32 v5, v5, v3
	v_cmp_gt_u32_e64 s[0:1], 48, v10
	v_cndmask_b32_e64 v7, 0, 1, s[0:1]
	v_cmp_gt_u32_e64 s[0:1], 56, v10
	s_waitcnt lgkmcnt(0)
	v_add_f64 v[2:3], v[2:3], v[4:5]
	v_lshlrev_b32_e32 v4, 4, v7
	v_add_lshl_u32 v5, v4, v9, 2
	ds_bpermute_b32 v4, v5, v2
	ds_bpermute_b32 v5, v5, v3
	s_barrier
	s_waitcnt lgkmcnt(0)
	v_add_f64 v[2:3], v[2:3], v[4:5]
	v_cndmask_b32_e64 v4, 0, 1, s[0:1]
	v_lshlrev_b32_e32 v4, 3, v4
	v_add_lshl_u32 v5, v4, v9, 2
	ds_bpermute_b32 v4, v5, v2
	ds_bpermute_b32 v5, v5, v3
	v_cmp_gt_u32_e64 s[0:1], 60, v10
	s_waitcnt lgkmcnt(0)
	v_add_f64 v[2:3], v[2:3], v[4:5]
	v_cndmask_b32_e64 v4, 0, 1, s[0:1]
	v_lshlrev_b32_e32 v4, 2, v4
	v_add_lshl_u32 v7, v4, v9, 2
	ds_bpermute_b32 v4, v7, v2
	ds_bpermute_b32 v5, v7, v3
	v_cmp_gt_u32_e64 s[0:1], 62, v10
	s_waitcnt lgkmcnt(0)
	v_add_f64 v[2:3], v[2:3], v[4:5]
	v_cndmask_b32_e64 v4, 0, 1, s[0:1]
	v_lshlrev_b32_e32 v4, 1, v4
	v_add_lshl_u32 v8, v4, v9, 2
	ds_bpermute_b32 v4, v8, v2
	ds_bpermute_b32 v5, v8, v3
	v_cmp_ne_u32_e64 s[0:1], 63, v10
	s_waitcnt lgkmcnt(0)
	v_add_f64 v[2:3], v[2:3], v[4:5]
	v_addc_co_u32_e64 v4, s[0:1], 0, v9, s[0:1]
	v_lshlrev_b32_e32 v9, 2, v4
	ds_bpermute_b32 v4, v9, v2
	ds_bpermute_b32 v5, v9, v3
	v_cmp_eq_u32_e64 s[0:1], 0, v6
	s_and_saveexec_b64 s[8:9], s[0:1]
	s_cbranch_execz .LBB200_8
; %bb.7:
	s_waitcnt lgkmcnt(0)
	v_add_f64 v[2:3], v[2:3], v[4:5]
	v_lshrrev_b32_e32 v4, 3, v0
	v_and_b32_e32 v4, 56, v4
	ds_write_b64 v4, v[2:3]
.LBB200_8:
	s_or_b64 exec, exec, s[8:9]
	v_cmp_gt_u32_e64 s[0:1], 8, v0
	v_pk_mov_b32 v[2:3], 0, 0
	s_waitcnt lgkmcnt(0)
	s_barrier
	s_and_saveexec_b64 s[8:9], s[0:1]
	s_cbranch_execnz .LBB200_12
; %bb.9:
	s_or_b64 exec, exec, s[8:9]
	s_and_saveexec_b64 s[0:1], vcc
	s_cbranch_execnz .LBB200_13
.LBB200_10:
	s_or_b64 exec, exec, s[0:1]
	v_cmp_eq_u32_e32 vcc, 0, v0
	s_and_saveexec_b64 s[0:1], vcc
	s_cbranch_execnz .LBB200_14
.LBB200_11:
	s_endpgm
.LBB200_12:
	ds_read_b64 v[2:3], v1
	s_or_b64 exec, exec, s[8:9]
	s_and_saveexec_b64 s[0:1], vcc
	s_cbranch_execz .LBB200_10
.LBB200_13:
	s_waitcnt lgkmcnt(0)
	ds_bpermute_b32 v4, v7, v2
	ds_bpermute_b32 v5, v7, v3
	s_waitcnt lgkmcnt(0)
	v_add_f64 v[2:3], v[2:3], v[4:5]
	ds_bpermute_b32 v4, v8, v2
	ds_bpermute_b32 v5, v8, v3
	s_waitcnt lgkmcnt(0)
	v_add_f64 v[2:3], v[2:3], v[4:5]
	;; [unrolled: 4-line block ×3, first 2 shown]
	s_or_b64 exec, exec, s[0:1]
	v_cmp_eq_u32_e32 vcc, 0, v0
	s_and_saveexec_b64 s[0:1], vcc
	s_cbranch_execz .LBB200_11
.LBB200_14:
	s_cmp_lg_u32 s10, 1
	s_cbranch_scc0 .LBB200_16
; %bb.15:
	s_load_dwordx2 s[0:1], s[4:5], 0x50
	s_mul_hi_u32 s9, s10, s2
	s_mul_i32 s8, s10, s2
	s_lshl_b64 s[8:9], s[8:9], 3
	s_mov_b32 s7, 0
	s_waitcnt lgkmcnt(0)
	s_add_u32 s8, s0, s8
	s_addc_u32 s9, s1, s9
	s_lshl_b64 s[0:1], s[6:7], 3
	s_add_u32 s0, s8, s0
	s_addc_u32 s1, s9, s1
	s_cbranch_execz .LBB200_17
	s_branch .LBB200_18
.LBB200_16:
                                        ; implicit-def: $sgpr0_sgpr1
.LBB200_17:
	s_load_dwordx2 s[0:1], s[4:5], 0x58
	s_lshl_b64 s[2:3], s[2:3], 3
	s_waitcnt lgkmcnt(0)
	s_add_u32 s0, s0, s2
	s_addc_u32 s1, s1, s3
.LBB200_18:
	v_mov_b32_e32 v0, 0
	s_waitcnt lgkmcnt(0)
	global_store_dwordx2 v0, v[2:3], s[0:1]
	s_endpgm
	.section	.rodata,"a",@progbits
	.p2align	6, 0x0
	.amdhsa_kernel _ZL18rocblas_dot_kernelIiLb0ELi512ELi2ELb0EdPKPKddEviT5_lT_lS4_lS5_liPT6_PT4_
		.amdhsa_group_segment_fixed_size 512
		.amdhsa_private_segment_fixed_size 0
		.amdhsa_kernarg_size 352
		.amdhsa_user_sgpr_count 6
		.amdhsa_user_sgpr_private_segment_buffer 1
		.amdhsa_user_sgpr_dispatch_ptr 0
		.amdhsa_user_sgpr_queue_ptr 0
		.amdhsa_user_sgpr_kernarg_segment_ptr 1
		.amdhsa_user_sgpr_dispatch_id 0
		.amdhsa_user_sgpr_flat_scratch_init 0
		.amdhsa_user_sgpr_kernarg_preload_length 0
		.amdhsa_user_sgpr_kernarg_preload_offset 0
		.amdhsa_user_sgpr_private_segment_size 0
		.amdhsa_uses_dynamic_stack 0
		.amdhsa_system_sgpr_private_segment_wavefront_offset 0
		.amdhsa_system_sgpr_workgroup_id_x 1
		.amdhsa_system_sgpr_workgroup_id_y 0
		.amdhsa_system_sgpr_workgroup_id_z 1
		.amdhsa_system_sgpr_workgroup_info 0
		.amdhsa_system_vgpr_workitem_id 0
		.amdhsa_next_free_vgpr 11
		.amdhsa_next_free_sgpr 24
		.amdhsa_accum_offset 12
		.amdhsa_reserve_vcc 1
		.amdhsa_reserve_flat_scratch 0
		.amdhsa_float_round_mode_32 0
		.amdhsa_float_round_mode_16_64 0
		.amdhsa_float_denorm_mode_32 3
		.amdhsa_float_denorm_mode_16_64 3
		.amdhsa_dx10_clamp 1
		.amdhsa_ieee_mode 1
		.amdhsa_fp16_overflow 0
		.amdhsa_tg_split 0
		.amdhsa_exception_fp_ieee_invalid_op 0
		.amdhsa_exception_fp_denorm_src 0
		.amdhsa_exception_fp_ieee_div_zero 0
		.amdhsa_exception_fp_ieee_overflow 0
		.amdhsa_exception_fp_ieee_underflow 0
		.amdhsa_exception_fp_ieee_inexact 0
		.amdhsa_exception_int_div_zero 0
	.end_amdhsa_kernel
	.section	.text._ZL18rocblas_dot_kernelIiLb0ELi512ELi2ELb0EdPKPKddEviT5_lT_lS4_lS5_liPT6_PT4_,"axG",@progbits,_ZL18rocblas_dot_kernelIiLb0ELi512ELi2ELb0EdPKPKddEviT5_lT_lS4_lS5_liPT6_PT4_,comdat
.Lfunc_end200:
	.size	_ZL18rocblas_dot_kernelIiLb0ELi512ELi2ELb0EdPKPKddEviT5_lT_lS4_lS5_liPT6_PT4_, .Lfunc_end200-_ZL18rocblas_dot_kernelIiLb0ELi512ELi2ELb0EdPKPKddEviT5_lT_lS4_lS5_liPT6_PT4_
                                        ; -- End function
	.section	.AMDGPU.csdata,"",@progbits
; Kernel info:
; codeLenInByte = 1084
; NumSgprs: 28
; NumVgprs: 11
; NumAgprs: 0
; TotalNumVgprs: 11
; ScratchSize: 0
; MemoryBound: 0
; FloatMode: 240
; IeeeMode: 1
; LDSByteSize: 512 bytes/workgroup (compile time only)
; SGPRBlocks: 3
; VGPRBlocks: 1
; NumSGPRsForWavesPerEU: 28
; NumVGPRsForWavesPerEU: 11
; AccumOffset: 12
; Occupancy: 8
; WaveLimiterHint : 1
; COMPUTE_PGM_RSRC2:SCRATCH_EN: 0
; COMPUTE_PGM_RSRC2:USER_SGPR: 6
; COMPUTE_PGM_RSRC2:TRAP_HANDLER: 0
; COMPUTE_PGM_RSRC2:TGID_X_EN: 1
; COMPUTE_PGM_RSRC2:TGID_Y_EN: 0
; COMPUTE_PGM_RSRC2:TGID_Z_EN: 1
; COMPUTE_PGM_RSRC2:TIDIG_COMP_CNT: 0
; COMPUTE_PGM_RSRC3_GFX90A:ACCUM_OFFSET: 2
; COMPUTE_PGM_RSRC3_GFX90A:TG_SPLIT: 0
	.section	.text._ZL24rocblas_dot_kernel_magsqIiLb0ELi512ELi2ELb0EdPKPKddEviT5_lT_liPT6_PT4_,"axG",@progbits,_ZL24rocblas_dot_kernel_magsqIiLb0ELi512ELi2ELb0EdPKPKddEviT5_lT_liPT6_PT4_,comdat
	.globl	_ZL24rocblas_dot_kernel_magsqIiLb0ELi512ELi2ELb0EdPKPKddEviT5_lT_liPT6_PT4_ ; -- Begin function _ZL24rocblas_dot_kernel_magsqIiLb0ELi512ELi2ELb0EdPKPKddEviT5_lT_liPT6_PT4_
	.p2align	8
	.type	_ZL24rocblas_dot_kernel_magsqIiLb0ELi512ELi2ELb0EdPKPKddEviT5_lT_liPT6_PT4_,@function
_ZL24rocblas_dot_kernel_magsqIiLb0ELi512ELi2ELb0EdPKPKddEviT5_lT_liPT6_PT4_: ; @_ZL24rocblas_dot_kernel_magsqIiLb0ELi512ELi2ELb0EdPKPKddEviT5_lT_liPT6_PT4_
; %bb.0:
	s_mov_b32 s2, s7
	s_load_dword s7, s[4:5], 0x0
	s_load_dword s10, s[4:5], 0x40
	v_lshl_or_b32 v1, s6, 9, v0
	s_mov_b32 s3, 0
	v_pk_mov_b32 v[2:3], 0, 0
	s_waitcnt lgkmcnt(0)
	v_cmp_gt_i32_e32 vcc, s7, v1
	s_and_saveexec_b64 s[0:1], vcc
	s_cbranch_execz .LBB201_4
; %bb.1:
	s_load_dwordx4 s[12:15], s[4:5], 0x8
	s_load_dword s11, s[4:5], 0x18
	s_lshl_b64 s[8:9], s[2:3], 3
	s_waitcnt lgkmcnt(0)
	s_add_u32 s8, s12, s8
	s_addc_u32 s9, s13, s9
	s_load_dwordx2 s[8:9], s[8:9], 0x0
	v_mad_i64_i32 v[2:3], s[12:13], v1, s11, 0
	s_lshl_b64 s[12:13], s[14:15], 3
	v_lshlrev_b64 v[2:3], 3, v[2:3]
	s_waitcnt lgkmcnt(0)
	s_add_u32 s12, s8, s12
	s_addc_u32 s13, s9, s13
	v_mov_b32_e32 v1, s13
	v_add_co_u32_e32 v2, vcc, s12, v2
	v_addc_co_u32_e32 v3, vcc, v1, v3, vcc
	global_load_dwordx2 v[2:3], v[2:3], off
	s_add_i32 s8, s6, s10
	v_lshl_or_b32 v1, s8, 9, v0
	v_cmp_gt_i32_e32 vcc, s7, v1
	s_waitcnt vmcnt(0)
	v_mul_f64 v[2:3], v[2:3], v[2:3]
	s_and_saveexec_b64 s[8:9], vcc
	s_cbranch_execz .LBB201_3
; %bb.2:
	v_mad_i64_i32 v[4:5], s[14:15], v1, s11, 0
	v_lshlrev_b64 v[4:5], 3, v[4:5]
	v_mov_b32_e32 v1, s13
	v_add_co_u32_e32 v4, vcc, s12, v4
	v_addc_co_u32_e32 v5, vcc, v1, v5, vcc
	global_load_dwordx2 v[4:5], v[4:5], off
	s_waitcnt vmcnt(0)
	v_fmac_f64_e32 v[2:3], v[4:5], v[4:5]
.LBB201_3:
	s_or_b64 exec, exec, s[8:9]
.LBB201_4:
	s_or_b64 exec, exec, s[0:1]
	v_and_b32_e32 v6, 63, v0
	v_cmp_gt_u32_e32 vcc, 64, v0
	v_lshlrev_b32_e32 v1, 3, v6
	s_and_saveexec_b64 s[0:1], vcc
	s_cbranch_execz .LBB201_6
; %bb.5:
	v_mov_b32_e32 v4, 0
	v_mov_b32_e32 v5, v4
	ds_write_b64 v1, v[4:5]
.LBB201_6:
	s_or_b64 exec, exec, s[0:1]
	v_mbcnt_lo_u32_b32 v4, -1, 0
	v_mbcnt_hi_u32_b32 v9, -1, v4
	v_and_b32_e32 v10, 63, v9
	v_cmp_gt_u32_e64 s[0:1], 32, v10
	v_cndmask_b32_e64 v4, 0, 1, s[0:1]
	v_lshlrev_b32_e32 v4, 5, v4
	v_add_lshl_u32 v5, v4, v9, 2
	ds_bpermute_b32 v4, v5, v2
	ds_bpermute_b32 v5, v5, v3
	v_cmp_gt_u32_e64 s[0:1], 48, v10
	v_cndmask_b32_e64 v7, 0, 1, s[0:1]
	v_cmp_gt_u32_e64 s[0:1], 56, v10
	s_waitcnt lgkmcnt(0)
	v_add_f64 v[2:3], v[2:3], v[4:5]
	v_lshlrev_b32_e32 v4, 4, v7
	v_add_lshl_u32 v5, v4, v9, 2
	ds_bpermute_b32 v4, v5, v2
	ds_bpermute_b32 v5, v5, v3
	s_barrier
	s_waitcnt lgkmcnt(0)
	v_add_f64 v[2:3], v[2:3], v[4:5]
	v_cndmask_b32_e64 v4, 0, 1, s[0:1]
	v_lshlrev_b32_e32 v4, 3, v4
	v_add_lshl_u32 v5, v4, v9, 2
	ds_bpermute_b32 v4, v5, v2
	ds_bpermute_b32 v5, v5, v3
	v_cmp_gt_u32_e64 s[0:1], 60, v10
	s_waitcnt lgkmcnt(0)
	v_add_f64 v[2:3], v[2:3], v[4:5]
	v_cndmask_b32_e64 v4, 0, 1, s[0:1]
	v_lshlrev_b32_e32 v4, 2, v4
	v_add_lshl_u32 v7, v4, v9, 2
	ds_bpermute_b32 v4, v7, v2
	ds_bpermute_b32 v5, v7, v3
	v_cmp_gt_u32_e64 s[0:1], 62, v10
	s_waitcnt lgkmcnt(0)
	v_add_f64 v[2:3], v[2:3], v[4:5]
	v_cndmask_b32_e64 v4, 0, 1, s[0:1]
	v_lshlrev_b32_e32 v4, 1, v4
	v_add_lshl_u32 v8, v4, v9, 2
	ds_bpermute_b32 v4, v8, v2
	ds_bpermute_b32 v5, v8, v3
	v_cmp_ne_u32_e64 s[0:1], 63, v10
	s_waitcnt lgkmcnt(0)
	v_add_f64 v[2:3], v[2:3], v[4:5]
	v_addc_co_u32_e64 v4, s[0:1], 0, v9, s[0:1]
	v_lshlrev_b32_e32 v9, 2, v4
	ds_bpermute_b32 v4, v9, v2
	ds_bpermute_b32 v5, v9, v3
	v_cmp_eq_u32_e64 s[0:1], 0, v6
	s_and_saveexec_b64 s[8:9], s[0:1]
	s_cbranch_execz .LBB201_8
; %bb.7:
	s_waitcnt lgkmcnt(0)
	v_add_f64 v[2:3], v[2:3], v[4:5]
	v_lshrrev_b32_e32 v4, 3, v0
	v_and_b32_e32 v4, 56, v4
	ds_write_b64 v4, v[2:3]
.LBB201_8:
	s_or_b64 exec, exec, s[8:9]
	v_cmp_gt_u32_e64 s[0:1], 8, v0
	v_pk_mov_b32 v[2:3], 0, 0
	s_waitcnt lgkmcnt(0)
	s_barrier
	s_and_saveexec_b64 s[8:9], s[0:1]
	s_cbranch_execnz .LBB201_12
; %bb.9:
	s_or_b64 exec, exec, s[8:9]
	s_and_saveexec_b64 s[0:1], vcc
	s_cbranch_execnz .LBB201_13
.LBB201_10:
	s_or_b64 exec, exec, s[0:1]
	v_cmp_eq_u32_e32 vcc, 0, v0
	s_and_saveexec_b64 s[0:1], vcc
	s_cbranch_execnz .LBB201_14
.LBB201_11:
	s_endpgm
.LBB201_12:
	ds_read_b64 v[2:3], v1
	s_or_b64 exec, exec, s[8:9]
	s_and_saveexec_b64 s[0:1], vcc
	s_cbranch_execz .LBB201_10
.LBB201_13:
	s_waitcnt lgkmcnt(0)
	ds_bpermute_b32 v4, v7, v2
	ds_bpermute_b32 v5, v7, v3
	s_waitcnt lgkmcnt(0)
	v_add_f64 v[2:3], v[2:3], v[4:5]
	ds_bpermute_b32 v4, v8, v2
	ds_bpermute_b32 v5, v8, v3
	s_waitcnt lgkmcnt(0)
	v_add_f64 v[2:3], v[2:3], v[4:5]
	;; [unrolled: 4-line block ×3, first 2 shown]
	s_or_b64 exec, exec, s[0:1]
	v_cmp_eq_u32_e32 vcc, 0, v0
	s_and_saveexec_b64 s[0:1], vcc
	s_cbranch_execz .LBB201_11
.LBB201_14:
	s_cmp_lg_u32 s10, 1
	s_cbranch_scc0 .LBB201_16
; %bb.15:
	s_load_dwordx2 s[0:1], s[4:5], 0x30
	s_mul_hi_u32 s9, s10, s2
	s_mul_i32 s8, s10, s2
	s_lshl_b64 s[8:9], s[8:9], 3
	s_mov_b32 s7, 0
	s_waitcnt lgkmcnt(0)
	s_add_u32 s8, s0, s8
	s_addc_u32 s9, s1, s9
	s_lshl_b64 s[0:1], s[6:7], 3
	s_add_u32 s0, s8, s0
	s_addc_u32 s1, s9, s1
	s_cbranch_execz .LBB201_17
	s_branch .LBB201_18
.LBB201_16:
                                        ; implicit-def: $sgpr0_sgpr1
.LBB201_17:
	s_load_dwordx2 s[0:1], s[4:5], 0x38
	s_lshl_b64 s[2:3], s[2:3], 3
	s_waitcnt lgkmcnt(0)
	s_add_u32 s0, s0, s2
	s_addc_u32 s1, s1, s3
.LBB201_18:
	v_mov_b32_e32 v0, 0
	s_waitcnt lgkmcnt(0)
	global_store_dwordx2 v0, v[2:3], s[0:1]
	s_endpgm
	.section	.rodata,"a",@progbits
	.p2align	6, 0x0
	.amdhsa_kernel _ZL24rocblas_dot_kernel_magsqIiLb0ELi512ELi2ELb0EdPKPKddEviT5_lT_liPT6_PT4_
		.amdhsa_group_segment_fixed_size 512
		.amdhsa_private_segment_fixed_size 0
		.amdhsa_kernarg_size 320
		.amdhsa_user_sgpr_count 6
		.amdhsa_user_sgpr_private_segment_buffer 1
		.amdhsa_user_sgpr_dispatch_ptr 0
		.amdhsa_user_sgpr_queue_ptr 0
		.amdhsa_user_sgpr_kernarg_segment_ptr 1
		.amdhsa_user_sgpr_dispatch_id 0
		.amdhsa_user_sgpr_flat_scratch_init 0
		.amdhsa_user_sgpr_kernarg_preload_length 0
		.amdhsa_user_sgpr_kernarg_preload_offset 0
		.amdhsa_user_sgpr_private_segment_size 0
		.amdhsa_uses_dynamic_stack 0
		.amdhsa_system_sgpr_private_segment_wavefront_offset 0
		.amdhsa_system_sgpr_workgroup_id_x 1
		.amdhsa_system_sgpr_workgroup_id_y 0
		.amdhsa_system_sgpr_workgroup_id_z 1
		.amdhsa_system_sgpr_workgroup_info 0
		.amdhsa_system_vgpr_workitem_id 0
		.amdhsa_next_free_vgpr 11
		.amdhsa_next_free_sgpr 16
		.amdhsa_accum_offset 12
		.amdhsa_reserve_vcc 1
		.amdhsa_reserve_flat_scratch 0
		.amdhsa_float_round_mode_32 0
		.amdhsa_float_round_mode_16_64 0
		.amdhsa_float_denorm_mode_32 3
		.amdhsa_float_denorm_mode_16_64 3
		.amdhsa_dx10_clamp 1
		.amdhsa_ieee_mode 1
		.amdhsa_fp16_overflow 0
		.amdhsa_tg_split 0
		.amdhsa_exception_fp_ieee_invalid_op 0
		.amdhsa_exception_fp_denorm_src 0
		.amdhsa_exception_fp_ieee_div_zero 0
		.amdhsa_exception_fp_ieee_overflow 0
		.amdhsa_exception_fp_ieee_underflow 0
		.amdhsa_exception_fp_ieee_inexact 0
		.amdhsa_exception_int_div_zero 0
	.end_amdhsa_kernel
	.section	.text._ZL24rocblas_dot_kernel_magsqIiLb0ELi512ELi2ELb0EdPKPKddEviT5_lT_liPT6_PT4_,"axG",@progbits,_ZL24rocblas_dot_kernel_magsqIiLb0ELi512ELi2ELb0EdPKPKddEviT5_lT_liPT6_PT4_,comdat
.Lfunc_end201:
	.size	_ZL24rocblas_dot_kernel_magsqIiLb0ELi512ELi2ELb0EdPKPKddEviT5_lT_liPT6_PT4_, .Lfunc_end201-_ZL24rocblas_dot_kernel_magsqIiLb0ELi512ELi2ELb0EdPKPKddEviT5_lT_liPT6_PT4_
                                        ; -- End function
	.section	.AMDGPU.csdata,"",@progbits
; Kernel info:
; codeLenInByte = 960
; NumSgprs: 20
; NumVgprs: 11
; NumAgprs: 0
; TotalNumVgprs: 11
; ScratchSize: 0
; MemoryBound: 0
; FloatMode: 240
; IeeeMode: 1
; LDSByteSize: 512 bytes/workgroup (compile time only)
; SGPRBlocks: 2
; VGPRBlocks: 1
; NumSGPRsForWavesPerEU: 20
; NumVGPRsForWavesPerEU: 11
; AccumOffset: 12
; Occupancy: 8
; WaveLimiterHint : 1
; COMPUTE_PGM_RSRC2:SCRATCH_EN: 0
; COMPUTE_PGM_RSRC2:USER_SGPR: 6
; COMPUTE_PGM_RSRC2:TRAP_HANDLER: 0
; COMPUTE_PGM_RSRC2:TGID_X_EN: 1
; COMPUTE_PGM_RSRC2:TGID_Y_EN: 0
; COMPUTE_PGM_RSRC2:TGID_Z_EN: 1
; COMPUTE_PGM_RSRC2:TIDIG_COMP_CNT: 0
; COMPUTE_PGM_RSRC3_GFX90A:ACCUM_OFFSET: 2
; COMPUTE_PGM_RSRC3_GFX90A:TG_SPLIT: 0
	.section	.text._ZL28rocblas_dot_batched_4_kernelIlLi32ELi4ELb0EddPKPKdEviT5_lT_lS4_lS5_liPT4_,"axG",@progbits,_ZL28rocblas_dot_batched_4_kernelIlLi32ELi4ELb0EddPKPKdEviT5_lT_lS4_lS5_liPT4_,comdat
	.globl	_ZL28rocblas_dot_batched_4_kernelIlLi32ELi4ELb0EddPKPKdEviT5_lT_lS4_lS5_liPT4_ ; -- Begin function _ZL28rocblas_dot_batched_4_kernelIlLi32ELi4ELb0EddPKPKdEviT5_lT_lS4_lS5_liPT4_
	.p2align	8
	.type	_ZL28rocblas_dot_batched_4_kernelIlLi32ELi4ELb0EddPKPKdEviT5_lT_lS4_lS5_liPT4_,@function
_ZL28rocblas_dot_batched_4_kernelIlLi32ELi4ELb0EddPKPKdEviT5_lT_lS4_lS5_liPT4_: ; @_ZL28rocblas_dot_batched_4_kernelIlLi32ELi4ELb0EddPKPKdEviT5_lT_lS4_lS5_liPT4_
; %bb.0:
	s_load_dword s0, s[4:5], 0x48
	v_bfe_u32 v1, v0, 10, 10
	v_lshl_add_u32 v4, s6, 2, v1
	s_waitcnt lgkmcnt(0)
	v_cmp_gt_u32_e32 vcc, s0, v4
	s_and_saveexec_b64 s[0:1], vcc
	s_cbranch_execz .LBB202_7
; %bb.1:
	s_load_dword s14, s[4:5], 0x0
	s_load_dwordx2 s[8:9], s[4:5], 0x50
	v_mov_b32_e32 v5, 0
	v_and_b32_e32 v8, 0x3ff, v0
	v_pk_mov_b32 v[2:3], 0, 0
	s_waitcnt lgkmcnt(0)
	v_cmp_gt_i32_e32 vcc, s14, v8
	v_lshlrev_b64 v[0:1], 3, v[4:5]
	s_and_saveexec_b64 s[10:11], vcc
	s_cbranch_execz .LBB202_5
; %bb.2:
	s_load_dwordx2 s[6:7], s[4:5], 0x8
	s_load_dwordx2 s[12:13], s[4:5], 0x28
	s_load_dwordx4 s[0:3], s[4:5], 0x10
	s_waitcnt lgkmcnt(0)
	v_mov_b32_e32 v3, s7
	v_add_co_u32_e32 v2, vcc, s6, v0
	v_addc_co_u32_e32 v3, vcc, v3, v1, vcc
	global_load_dwordx2 v[4:5], v[2:3], off
	v_mov_b32_e32 v3, s13
	v_add_co_u32_e32 v2, vcc, s12, v0
	v_addc_co_u32_e32 v3, vcc, v3, v1, vcc
	global_load_dwordx2 v[6:7], v[2:3], off
	s_load_dwordx4 s[4:7], s[4:5], 0x30
	v_mad_u64_u32 v[12:13], s[16:17], s2, v8, 0
	v_mov_b32_e32 v16, v13
	s_lshl_b64 s[16:17], s[0:1], 3
	s_lshl_b64 s[0:1], s[2:3], 8
	s_waitcnt lgkmcnt(0)
	v_mad_u64_u32 v[14:15], s[18:19], s6, v8, 0
	v_mad_u64_u32 v[16:17], s[2:3], s3, v8, v[16:17]
	v_mov_b32_e32 v18, v15
	v_mov_b32_e32 v13, v16
	v_mad_u64_u32 v[18:19], s[2:3], s7, v8, v[18:19]
	v_lshlrev_b64 v[12:13], 3, v[12:13]
	v_mov_b32_e32 v11, s17
	v_mov_b32_e32 v15, v18
	v_add_co_u32_e32 v12, vcc, s16, v12
	s_lshl_b64 s[18:19], s[4:5], 3
	v_lshlrev_b64 v[14:15], 3, v[14:15]
	v_addc_co_u32_e32 v11, vcc, v13, v11, vcc
	v_mov_b32_e32 v20, s19
	v_add_co_u32_e32 v13, vcc, s18, v14
	v_addc_co_u32_e32 v14, vcc, v15, v20, vcc
	s_lshl_b64 s[4:5], s[6:7], 8
	s_mov_b64 s[12:13], 0
	v_pk_mov_b32 v[2:3], 0, 0
	v_mov_b32_e32 v9, s1
	v_mov_b32_e32 v10, s5
	s_waitcnt vmcnt(1)
	v_add_co_u32_e32 v4, vcc, v4, v12
	v_addc_co_u32_e32 v5, vcc, v5, v11, vcc
	v_mov_b32_e32 v11, v8
	s_waitcnt vmcnt(0)
	v_add_co_u32_e32 v6, vcc, v6, v13
	v_addc_co_u32_e32 v7, vcc, v7, v14, vcc
.LBB202_3:                              ; =>This Inner Loop Header: Depth=1
	global_load_dwordx2 v[12:13], v[4:5], off
	global_load_dwordx2 v[14:15], v[6:7], off
	v_add_co_u32_e32 v4, vcc, s0, v4
	v_addc_co_u32_e32 v5, vcc, v5, v9, vcc
	v_add_co_u32_e32 v6, vcc, s4, v6
	v_add_u32_e32 v11, 32, v11
	v_addc_co_u32_e32 v7, vcc, v7, v10, vcc
	v_cmp_le_i32_e32 vcc, s14, v11
	s_or_b64 s[12:13], vcc, s[12:13]
	s_waitcnt vmcnt(0)
	v_fmac_f64_e32 v[2:3], v[12:13], v[14:15]
	s_andn2_b64 exec, exec, s[12:13]
	s_cbranch_execnz .LBB202_3
; %bb.4:
	s_or_b64 exec, exec, s[12:13]
.LBB202_5:
	s_or_b64 exec, exec, s[10:11]
	v_mbcnt_lo_u32_b32 v4, -1, 0
	v_mbcnt_hi_u32_b32 v6, -1, v4
	v_and_b32_e32 v7, 63, v6
	v_cmp_gt_u32_e32 vcc, 48, v7
	v_cndmask_b32_e64 v4, 0, 1, vcc
	v_lshlrev_b32_e32 v4, 4, v4
	v_add_lshl_u32 v5, v4, v6, 2
	ds_bpermute_b32 v4, v5, v2
	ds_bpermute_b32 v5, v5, v3
	v_cmp_gt_u32_e32 vcc, 56, v7
	v_cndmask_b32_e64 v9, 0, 1, vcc
	v_cmp_gt_u32_e32 vcc, 60, v7
	s_waitcnt lgkmcnt(0)
	v_add_f64 v[2:3], v[2:3], v[4:5]
	v_lshlrev_b32_e32 v4, 3, v9
	v_add_lshl_u32 v5, v4, v6, 2
	ds_bpermute_b32 v4, v5, v2
	ds_bpermute_b32 v5, v5, v3
	s_barrier
	s_waitcnt lgkmcnt(0)
	v_add_f64 v[2:3], v[2:3], v[4:5]
	v_cndmask_b32_e64 v4, 0, 1, vcc
	v_lshlrev_b32_e32 v4, 2, v4
	v_add_lshl_u32 v5, v4, v6, 2
	ds_bpermute_b32 v4, v5, v2
	ds_bpermute_b32 v5, v5, v3
	v_cmp_gt_u32_e32 vcc, 62, v7
	s_waitcnt lgkmcnt(0)
	v_add_f64 v[2:3], v[2:3], v[4:5]
	v_cndmask_b32_e64 v4, 0, 1, vcc
	v_lshlrev_b32_e32 v4, 1, v4
	v_add_lshl_u32 v5, v4, v6, 2
	ds_bpermute_b32 v4, v5, v2
	ds_bpermute_b32 v5, v5, v3
	v_cmp_ne_u32_e32 vcc, 63, v7
	s_waitcnt lgkmcnt(0)
	v_add_f64 v[2:3], v[2:3], v[4:5]
	v_addc_co_u32_e32 v4, vcc, 0, v6, vcc
	v_lshlrev_b32_e32 v5, 2, v4
	ds_bpermute_b32 v4, v5, v2
	ds_bpermute_b32 v5, v5, v3
	v_cmp_eq_u32_e32 vcc, 0, v8
	s_and_b64 exec, exec, vcc
	s_cbranch_execz .LBB202_7
; %bb.6:
	v_mov_b32_e32 v6, s9
	v_add_co_u32_e32 v0, vcc, s8, v0
	v_addc_co_u32_e32 v1, vcc, v6, v1, vcc
	s_waitcnt lgkmcnt(0)
	v_add_f64 v[2:3], v[2:3], v[4:5]
	global_store_dwordx2 v[0:1], v[2:3], off
.LBB202_7:
	s_endpgm
	.section	.rodata,"a",@progbits
	.p2align	6, 0x0
	.amdhsa_kernel _ZL28rocblas_dot_batched_4_kernelIlLi32ELi4ELb0EddPKPKdEviT5_lT_lS4_lS5_liPT4_
		.amdhsa_group_segment_fixed_size 0
		.amdhsa_private_segment_fixed_size 0
		.amdhsa_kernarg_size 88
		.amdhsa_user_sgpr_count 6
		.amdhsa_user_sgpr_private_segment_buffer 1
		.amdhsa_user_sgpr_dispatch_ptr 0
		.amdhsa_user_sgpr_queue_ptr 0
		.amdhsa_user_sgpr_kernarg_segment_ptr 1
		.amdhsa_user_sgpr_dispatch_id 0
		.amdhsa_user_sgpr_flat_scratch_init 0
		.amdhsa_user_sgpr_kernarg_preload_length 0
		.amdhsa_user_sgpr_kernarg_preload_offset 0
		.amdhsa_user_sgpr_private_segment_size 0
		.amdhsa_uses_dynamic_stack 0
		.amdhsa_system_sgpr_private_segment_wavefront_offset 0
		.amdhsa_system_sgpr_workgroup_id_x 1
		.amdhsa_system_sgpr_workgroup_id_y 0
		.amdhsa_system_sgpr_workgroup_id_z 0
		.amdhsa_system_sgpr_workgroup_info 0
		.amdhsa_system_vgpr_workitem_id 1
		.amdhsa_next_free_vgpr 21
		.amdhsa_next_free_sgpr 20
		.amdhsa_accum_offset 24
		.amdhsa_reserve_vcc 1
		.amdhsa_reserve_flat_scratch 0
		.amdhsa_float_round_mode_32 0
		.amdhsa_float_round_mode_16_64 0
		.amdhsa_float_denorm_mode_32 3
		.amdhsa_float_denorm_mode_16_64 3
		.amdhsa_dx10_clamp 1
		.amdhsa_ieee_mode 1
		.amdhsa_fp16_overflow 0
		.amdhsa_tg_split 0
		.amdhsa_exception_fp_ieee_invalid_op 0
		.amdhsa_exception_fp_denorm_src 0
		.amdhsa_exception_fp_ieee_div_zero 0
		.amdhsa_exception_fp_ieee_overflow 0
		.amdhsa_exception_fp_ieee_underflow 0
		.amdhsa_exception_fp_ieee_inexact 0
		.amdhsa_exception_int_div_zero 0
	.end_amdhsa_kernel
	.section	.text._ZL28rocblas_dot_batched_4_kernelIlLi32ELi4ELb0EddPKPKdEviT5_lT_lS4_lS5_liPT4_,"axG",@progbits,_ZL28rocblas_dot_batched_4_kernelIlLi32ELi4ELb0EddPKPKdEviT5_lT_lS4_lS5_liPT4_,comdat
.Lfunc_end202:
	.size	_ZL28rocblas_dot_batched_4_kernelIlLi32ELi4ELb0EddPKPKdEviT5_lT_lS4_lS5_liPT4_, .Lfunc_end202-_ZL28rocblas_dot_batched_4_kernelIlLi32ELi4ELb0EddPKPKdEviT5_lT_lS4_lS5_liPT4_
                                        ; -- End function
	.section	.AMDGPU.csdata,"",@progbits
; Kernel info:
; codeLenInByte = 708
; NumSgprs: 24
; NumVgprs: 21
; NumAgprs: 0
; TotalNumVgprs: 21
; ScratchSize: 0
; MemoryBound: 0
; FloatMode: 240
; IeeeMode: 1
; LDSByteSize: 0 bytes/workgroup (compile time only)
; SGPRBlocks: 2
; VGPRBlocks: 2
; NumSGPRsForWavesPerEU: 24
; NumVGPRsForWavesPerEU: 21
; AccumOffset: 24
; Occupancy: 8
; WaveLimiterHint : 0
; COMPUTE_PGM_RSRC2:SCRATCH_EN: 0
; COMPUTE_PGM_RSRC2:USER_SGPR: 6
; COMPUTE_PGM_RSRC2:TRAP_HANDLER: 0
; COMPUTE_PGM_RSRC2:TGID_X_EN: 1
; COMPUTE_PGM_RSRC2:TGID_Y_EN: 0
; COMPUTE_PGM_RSRC2:TGID_Z_EN: 0
; COMPUTE_PGM_RSRC2:TIDIG_COMP_CNT: 1
; COMPUTE_PGM_RSRC3_GFX90A:ACCUM_OFFSET: 5
; COMPUTE_PGM_RSRC3_GFX90A:TG_SPLIT: 0
	.section	.text._ZL28rocblas_dot_batched_4_kernelIlLi64ELi4ELb0EddPKPKdEviT5_lT_lS4_lS5_liPT4_,"axG",@progbits,_ZL28rocblas_dot_batched_4_kernelIlLi64ELi4ELb0EddPKPKdEviT5_lT_lS4_lS5_liPT4_,comdat
	.globl	_ZL28rocblas_dot_batched_4_kernelIlLi64ELi4ELb0EddPKPKdEviT5_lT_lS4_lS5_liPT4_ ; -- Begin function _ZL28rocblas_dot_batched_4_kernelIlLi64ELi4ELb0EddPKPKdEviT5_lT_lS4_lS5_liPT4_
	.p2align	8
	.type	_ZL28rocblas_dot_batched_4_kernelIlLi64ELi4ELb0EddPKPKdEviT5_lT_lS4_lS5_liPT4_,@function
_ZL28rocblas_dot_batched_4_kernelIlLi64ELi4ELb0EddPKPKdEviT5_lT_lS4_lS5_liPT4_: ; @_ZL28rocblas_dot_batched_4_kernelIlLi64ELi4ELb0EddPKPKdEviT5_lT_lS4_lS5_liPT4_
; %bb.0:
	s_load_dword s0, s[4:5], 0x48
	v_bfe_u32 v1, v0, 10, 10
	v_lshl_add_u32 v4, s6, 2, v1
	s_waitcnt lgkmcnt(0)
	v_cmp_gt_u32_e32 vcc, s0, v4
	s_and_saveexec_b64 s[0:1], vcc
	s_cbranch_execz .LBB203_7
; %bb.1:
	s_load_dword s14, s[4:5], 0x0
	s_load_dwordx2 s[8:9], s[4:5], 0x50
	v_mov_b32_e32 v5, 0
	v_and_b32_e32 v8, 0x3ff, v0
	v_pk_mov_b32 v[2:3], 0, 0
	s_waitcnt lgkmcnt(0)
	v_cmp_gt_i32_e32 vcc, s14, v8
	v_lshlrev_b64 v[0:1], 3, v[4:5]
	s_and_saveexec_b64 s[10:11], vcc
	s_cbranch_execz .LBB203_5
; %bb.2:
	s_load_dwordx2 s[6:7], s[4:5], 0x8
	s_load_dwordx2 s[12:13], s[4:5], 0x28
	s_load_dwordx4 s[0:3], s[4:5], 0x10
	s_waitcnt lgkmcnt(0)
	v_mov_b32_e32 v3, s7
	v_add_co_u32_e32 v2, vcc, s6, v0
	v_addc_co_u32_e32 v3, vcc, v3, v1, vcc
	global_load_dwordx2 v[4:5], v[2:3], off
	v_mov_b32_e32 v3, s13
	v_add_co_u32_e32 v2, vcc, s12, v0
	v_addc_co_u32_e32 v3, vcc, v3, v1, vcc
	global_load_dwordx2 v[6:7], v[2:3], off
	s_load_dwordx4 s[4:7], s[4:5], 0x30
	v_mad_u64_u32 v[12:13], s[16:17], s2, v8, 0
	v_mov_b32_e32 v16, v13
	s_lshl_b64 s[16:17], s[0:1], 3
	s_lshl_b64 s[0:1], s[2:3], 9
	s_waitcnt lgkmcnt(0)
	v_mad_u64_u32 v[14:15], s[18:19], s6, v8, 0
	v_mad_u64_u32 v[16:17], s[2:3], s3, v8, v[16:17]
	v_mov_b32_e32 v18, v15
	v_mov_b32_e32 v13, v16
	v_mad_u64_u32 v[18:19], s[2:3], s7, v8, v[18:19]
	v_lshlrev_b64 v[12:13], 3, v[12:13]
	v_mov_b32_e32 v11, s17
	v_mov_b32_e32 v15, v18
	v_add_co_u32_e32 v12, vcc, s16, v12
	s_lshl_b64 s[18:19], s[4:5], 3
	v_lshlrev_b64 v[14:15], 3, v[14:15]
	v_addc_co_u32_e32 v11, vcc, v13, v11, vcc
	v_mov_b32_e32 v20, s19
	v_add_co_u32_e32 v13, vcc, s18, v14
	v_addc_co_u32_e32 v14, vcc, v15, v20, vcc
	s_lshl_b64 s[4:5], s[6:7], 9
	s_mov_b64 s[12:13], 0
	v_pk_mov_b32 v[2:3], 0, 0
	v_mov_b32_e32 v9, s1
	v_mov_b32_e32 v10, s5
	s_waitcnt vmcnt(1)
	v_add_co_u32_e32 v4, vcc, v4, v12
	v_addc_co_u32_e32 v5, vcc, v5, v11, vcc
	v_mov_b32_e32 v11, v8
	s_waitcnt vmcnt(0)
	v_add_co_u32_e32 v6, vcc, v6, v13
	v_addc_co_u32_e32 v7, vcc, v7, v14, vcc
.LBB203_3:                              ; =>This Inner Loop Header: Depth=1
	global_load_dwordx2 v[12:13], v[4:5], off
	global_load_dwordx2 v[14:15], v[6:7], off
	v_add_co_u32_e32 v4, vcc, s0, v4
	v_addc_co_u32_e32 v5, vcc, v5, v9, vcc
	v_add_co_u32_e32 v6, vcc, s4, v6
	v_add_u32_e32 v11, 64, v11
	v_addc_co_u32_e32 v7, vcc, v7, v10, vcc
	v_cmp_le_i32_e32 vcc, s14, v11
	s_or_b64 s[12:13], vcc, s[12:13]
	s_waitcnt vmcnt(0)
	v_fmac_f64_e32 v[2:3], v[12:13], v[14:15]
	s_andn2_b64 exec, exec, s[12:13]
	s_cbranch_execnz .LBB203_3
; %bb.4:
	s_or_b64 exec, exec, s[12:13]
.LBB203_5:
	s_or_b64 exec, exec, s[10:11]
	v_mbcnt_lo_u32_b32 v4, -1, 0
	v_mbcnt_hi_u32_b32 v6, -1, v4
	v_and_b32_e32 v7, 63, v6
	v_cmp_gt_u32_e32 vcc, 32, v7
	v_cndmask_b32_e64 v4, 0, 1, vcc
	v_lshlrev_b32_e32 v4, 5, v4
	v_add_lshl_u32 v5, v4, v6, 2
	ds_bpermute_b32 v4, v5, v2
	ds_bpermute_b32 v5, v5, v3
	v_cmp_gt_u32_e32 vcc, 48, v7
	v_cndmask_b32_e64 v9, 0, 1, vcc
	v_cmp_gt_u32_e32 vcc, 56, v7
	s_waitcnt lgkmcnt(0)
	v_add_f64 v[2:3], v[2:3], v[4:5]
	v_lshlrev_b32_e32 v4, 4, v9
	v_add_lshl_u32 v5, v4, v6, 2
	ds_bpermute_b32 v4, v5, v2
	ds_bpermute_b32 v5, v5, v3
	s_barrier
	s_waitcnt lgkmcnt(0)
	v_add_f64 v[2:3], v[2:3], v[4:5]
	v_cndmask_b32_e64 v4, 0, 1, vcc
	v_lshlrev_b32_e32 v4, 3, v4
	v_add_lshl_u32 v5, v4, v6, 2
	ds_bpermute_b32 v4, v5, v2
	ds_bpermute_b32 v5, v5, v3
	v_cmp_gt_u32_e32 vcc, 60, v7
	s_waitcnt lgkmcnt(0)
	v_add_f64 v[2:3], v[2:3], v[4:5]
	v_cndmask_b32_e64 v4, 0, 1, vcc
	v_lshlrev_b32_e32 v4, 2, v4
	v_add_lshl_u32 v5, v4, v6, 2
	ds_bpermute_b32 v4, v5, v2
	ds_bpermute_b32 v5, v5, v3
	v_cmp_gt_u32_e32 vcc, 62, v7
	s_waitcnt lgkmcnt(0)
	v_add_f64 v[2:3], v[2:3], v[4:5]
	v_cndmask_b32_e64 v4, 0, 1, vcc
	v_lshlrev_b32_e32 v4, 1, v4
	v_add_lshl_u32 v5, v4, v6, 2
	ds_bpermute_b32 v4, v5, v2
	ds_bpermute_b32 v5, v5, v3
	v_cmp_ne_u32_e32 vcc, 63, v7
	s_waitcnt lgkmcnt(0)
	v_add_f64 v[2:3], v[2:3], v[4:5]
	v_addc_co_u32_e32 v4, vcc, 0, v6, vcc
	v_lshlrev_b32_e32 v5, 2, v4
	ds_bpermute_b32 v4, v5, v2
	ds_bpermute_b32 v5, v5, v3
	v_cmp_eq_u32_e32 vcc, 0, v8
	s_and_b64 exec, exec, vcc
	s_cbranch_execz .LBB203_7
; %bb.6:
	v_mov_b32_e32 v6, s9
	v_add_co_u32_e32 v0, vcc, s8, v0
	v_addc_co_u32_e32 v1, vcc, v6, v1, vcc
	s_waitcnt lgkmcnt(0)
	v_add_f64 v[2:3], v[2:3], v[4:5]
	global_store_dwordx2 v[0:1], v[2:3], off
.LBB203_7:
	s_endpgm
	.section	.rodata,"a",@progbits
	.p2align	6, 0x0
	.amdhsa_kernel _ZL28rocblas_dot_batched_4_kernelIlLi64ELi4ELb0EddPKPKdEviT5_lT_lS4_lS5_liPT4_
		.amdhsa_group_segment_fixed_size 0
		.amdhsa_private_segment_fixed_size 0
		.amdhsa_kernarg_size 88
		.amdhsa_user_sgpr_count 6
		.amdhsa_user_sgpr_private_segment_buffer 1
		.amdhsa_user_sgpr_dispatch_ptr 0
		.amdhsa_user_sgpr_queue_ptr 0
		.amdhsa_user_sgpr_kernarg_segment_ptr 1
		.amdhsa_user_sgpr_dispatch_id 0
		.amdhsa_user_sgpr_flat_scratch_init 0
		.amdhsa_user_sgpr_kernarg_preload_length 0
		.amdhsa_user_sgpr_kernarg_preload_offset 0
		.amdhsa_user_sgpr_private_segment_size 0
		.amdhsa_uses_dynamic_stack 0
		.amdhsa_system_sgpr_private_segment_wavefront_offset 0
		.amdhsa_system_sgpr_workgroup_id_x 1
		.amdhsa_system_sgpr_workgroup_id_y 0
		.amdhsa_system_sgpr_workgroup_id_z 0
		.amdhsa_system_sgpr_workgroup_info 0
		.amdhsa_system_vgpr_workitem_id 1
		.amdhsa_next_free_vgpr 21
		.amdhsa_next_free_sgpr 20
		.amdhsa_accum_offset 24
		.amdhsa_reserve_vcc 1
		.amdhsa_reserve_flat_scratch 0
		.amdhsa_float_round_mode_32 0
		.amdhsa_float_round_mode_16_64 0
		.amdhsa_float_denorm_mode_32 3
		.amdhsa_float_denorm_mode_16_64 3
		.amdhsa_dx10_clamp 1
		.amdhsa_ieee_mode 1
		.amdhsa_fp16_overflow 0
		.amdhsa_tg_split 0
		.amdhsa_exception_fp_ieee_invalid_op 0
		.amdhsa_exception_fp_denorm_src 0
		.amdhsa_exception_fp_ieee_div_zero 0
		.amdhsa_exception_fp_ieee_overflow 0
		.amdhsa_exception_fp_ieee_underflow 0
		.amdhsa_exception_fp_ieee_inexact 0
		.amdhsa_exception_int_div_zero 0
	.end_amdhsa_kernel
	.section	.text._ZL28rocblas_dot_batched_4_kernelIlLi64ELi4ELb0EddPKPKdEviT5_lT_lS4_lS5_liPT4_,"axG",@progbits,_ZL28rocblas_dot_batched_4_kernelIlLi64ELi4ELb0EddPKPKdEviT5_lT_lS4_lS5_liPT4_,comdat
.Lfunc_end203:
	.size	_ZL28rocblas_dot_batched_4_kernelIlLi64ELi4ELb0EddPKPKdEviT5_lT_lS4_lS5_liPT4_, .Lfunc_end203-_ZL28rocblas_dot_batched_4_kernelIlLi64ELi4ELb0EddPKPKdEviT5_lT_lS4_lS5_liPT4_
                                        ; -- End function
	.section	.AMDGPU.csdata,"",@progbits
; Kernel info:
; codeLenInByte = 760
; NumSgprs: 24
; NumVgprs: 21
; NumAgprs: 0
; TotalNumVgprs: 21
; ScratchSize: 0
; MemoryBound: 0
; FloatMode: 240
; IeeeMode: 1
; LDSByteSize: 0 bytes/workgroup (compile time only)
; SGPRBlocks: 2
; VGPRBlocks: 2
; NumSGPRsForWavesPerEU: 24
; NumVGPRsForWavesPerEU: 21
; AccumOffset: 24
; Occupancy: 8
; WaveLimiterHint : 0
; COMPUTE_PGM_RSRC2:SCRATCH_EN: 0
; COMPUTE_PGM_RSRC2:USER_SGPR: 6
; COMPUTE_PGM_RSRC2:TRAP_HANDLER: 0
; COMPUTE_PGM_RSRC2:TGID_X_EN: 1
; COMPUTE_PGM_RSRC2:TGID_Y_EN: 0
; COMPUTE_PGM_RSRC2:TGID_Z_EN: 0
; COMPUTE_PGM_RSRC2:TIDIG_COMP_CNT: 1
; COMPUTE_PGM_RSRC3_GFX90A:ACCUM_OFFSET: 5
; COMPUTE_PGM_RSRC3_GFX90A:TG_SPLIT: 0
	.section	.text._ZL18rocblas_dot_kernelIlLb1ELi1024ELi32ELb0EdPKPKddEviT5_lT_lS4_lS5_liPT6_PT4_,"axG",@progbits,_ZL18rocblas_dot_kernelIlLb1ELi1024ELi32ELb0EdPKPKddEviT5_lT_lS4_lS5_liPT6_PT4_,comdat
	.globl	_ZL18rocblas_dot_kernelIlLb1ELi1024ELi32ELb0EdPKPKddEviT5_lT_lS4_lS5_liPT6_PT4_ ; -- Begin function _ZL18rocblas_dot_kernelIlLb1ELi1024ELi32ELb0EdPKPKddEviT5_lT_lS4_lS5_liPT6_PT4_
	.p2align	8
	.type	_ZL18rocblas_dot_kernelIlLb1ELi1024ELi32ELb0EdPKPKddEviT5_lT_lS4_lS5_liPT6_PT4_,@function
_ZL18rocblas_dot_kernelIlLb1ELi1024ELi32ELb0EdPKPKddEviT5_lT_lS4_lS5_liPT6_PT4_: ; @_ZL18rocblas_dot_kernelIlLb1ELi1024ELi32ELb0EdPKPKddEviT5_lT_lS4_lS5_liPT6_PT4_
; %bb.0:
	s_load_dword s16, s[4:5], 0x0
	s_load_dwordx2 s[12:13], s[4:5], 0x58
	s_mov_b32 s6, s7
	s_mov_b32 s7, 0
	v_pk_mov_b32 v[2:3], 0, 0
	s_waitcnt lgkmcnt(0)
	v_cmp_gt_i32_e32 vcc, s16, v0
	s_and_saveexec_b64 s[14:15], vcc
	s_cbranch_execz .LBB204_4
; %bb.1:
	s_load_dwordx2 s[18:19], s[4:5], 0x8
	s_load_dwordx4 s[8:11], s[4:5], 0x10
	s_load_dwordx2 s[20:21], s[4:5], 0x28
	s_load_dwordx4 s[0:3], s[4:5], 0x30
	s_lshl_b64 s[22:23], s[6:7], 3
	s_waitcnt lgkmcnt(0)
	s_add_u32 s18, s18, s22
	s_addc_u32 s19, s19, s23
	s_load_dword s17, s[4:5], 0x60
	s_load_dwordx2 s[24:25], s[18:19], 0x0
	s_add_u32 s4, s20, s22
	s_addc_u32 s5, s21, s23
	s_load_dwordx2 s[18:19], s[4:5], 0x0
	v_mad_u64_u32 v[2:3], s[4:5], s10, v0, 0
	v_mov_b32_e32 v4, v3
	v_mad_u64_u32 v[4:5], s[4:5], s11, v0, v[4:5]
	s_waitcnt lgkmcnt(0)
	s_lshl_b32 s17, s17, 10
	s_lshl_b64 s[4:5], s[8:9], 3
	v_mov_b32_e32 v3, v4
	s_add_u32 s4, s24, s4
	v_lshlrev_b64 v[2:3], 3, v[2:3]
	s_addc_u32 s5, s25, s5
	s_ashr_i32 s20, s17, 31
	v_mov_b32_e32 v5, s5
	v_add_co_u32_e32 v4, vcc, s4, v2
	s_mul_i32 s4, s10, s20
	s_mul_hi_u32 s5, s10, s17
	v_addc_co_u32_e32 v5, vcc, v5, v3, vcc
	s_add_i32 s4, s5, s4
	s_mul_i32 s5, s11, s17
	v_mad_u64_u32 v[2:3], s[8:9], s2, v0, 0
	s_add_i32 s5, s4, s5
	s_mul_i32 s4, s10, s17
	v_mov_b32_e32 v6, v3
	s_lshl_b64 s[4:5], s[4:5], 3
	v_mad_u64_u32 v[6:7], s[8:9], s3, v0, v[6:7]
	s_lshl_b64 s[0:1], s[0:1], 3
	v_mov_b32_e32 v3, v6
	s_add_u32 s0, s18, s0
	v_lshlrev_b64 v[2:3], 3, v[2:3]
	s_addc_u32 s1, s19, s1
	v_mov_b32_e32 v7, s1
	v_add_co_u32_e32 v6, vcc, s0, v2
	s_mul_i32 s0, s2, s20
	s_mul_hi_u32 s1, s2, s17
	s_add_i32 s0, s1, s0
	s_mul_i32 s1, s3, s17
	s_add_i32 s1, s0, s1
	s_mul_i32 s0, s2, s17
	s_lshl_b64 s[8:9], s[0:1], 3
	v_or_b32_e32 v1, s17, v0
	v_addc_co_u32_e32 v7, vcc, v7, v3, vcc
	s_mov_b64 s[2:3], 0
	v_pk_mov_b32 v[2:3], 0, 0
	v_mov_b32_e32 v8, s5
	v_mov_b32_e32 v9, s9
	s_mov_b32 s5, s7
.LBB204_2:                              ; =>This Inner Loop Header: Depth=1
	global_load_dwordx2 v[10:11], v[6:7], off
	global_load_dwordx2 v[12:13], v[4:5], off
	v_add_co_u32_e64 v4, s[0:1], s4, v4
	v_addc_co_u32_e64 v5, s[0:1], v5, v8, s[0:1]
	s_add_i32 s9, s5, 1
	v_add_co_u32_e64 v6, s[0:1], s8, v6
	v_addc_co_u32_e64 v7, s[0:1], v7, v9, s[0:1]
	s_cmp_gt_u32 s5, 30
	v_cmp_le_i32_e32 vcc, s16, v1
	s_cselect_b64 s[0:1], -1, 0
	s_or_b64 s[0:1], s[0:1], vcc
	s_and_b64 s[0:1], exec, s[0:1]
	v_add_u32_e32 v1, s17, v1
	s_mov_b32 s5, s9
	s_or_b64 s[2:3], s[0:1], s[2:3]
	s_waitcnt vmcnt(0)
	v_fmac_f64_e32 v[2:3], v[10:11], v[12:13]
	s_andn2_b64 exec, exec, s[2:3]
	s_cbranch_execnz .LBB204_2
; %bb.3:
	s_or_b64 exec, exec, s[2:3]
.LBB204_4:
	s_or_b64 exec, exec, s[14:15]
	v_and_b32_e32 v6, 63, v0
	v_cmp_gt_u32_e32 vcc, 64, v0
	v_lshlrev_b32_e32 v1, 3, v6
	s_and_saveexec_b64 s[0:1], vcc
	s_cbranch_execz .LBB204_6
; %bb.5:
	v_mov_b32_e32 v4, 0
	v_mov_b32_e32 v5, v4
	ds_write_b64 v1, v[4:5]
.LBB204_6:
	s_or_b64 exec, exec, s[0:1]
	v_mbcnt_lo_u32_b32 v4, -1, 0
	v_mbcnt_hi_u32_b32 v10, -1, v4
	v_and_b32_e32 v11, 63, v10
	v_cmp_gt_u32_e64 s[0:1], 32, v11
	v_cndmask_b32_e64 v4, 0, 1, s[0:1]
	v_lshlrev_b32_e32 v4, 5, v4
	v_add_lshl_u32 v5, v4, v10, 2
	ds_bpermute_b32 v4, v5, v2
	ds_bpermute_b32 v5, v5, v3
	v_cmp_gt_u32_e64 s[0:1], 48, v11
	v_cndmask_b32_e64 v7, 0, 1, s[0:1]
	v_cmp_gt_u32_e64 s[0:1], 56, v11
	s_waitcnt lgkmcnt(0)
	v_add_f64 v[2:3], v[2:3], v[4:5]
	v_lshlrev_b32_e32 v4, 4, v7
	v_add_lshl_u32 v5, v4, v10, 2
	ds_bpermute_b32 v4, v5, v2
	ds_bpermute_b32 v5, v5, v3
	s_barrier
	s_waitcnt lgkmcnt(0)
	v_add_f64 v[2:3], v[2:3], v[4:5]
	v_cndmask_b32_e64 v4, 0, 1, s[0:1]
	v_lshlrev_b32_e32 v4, 3, v4
	v_add_lshl_u32 v7, v4, v10, 2
	ds_bpermute_b32 v4, v7, v2
	ds_bpermute_b32 v5, v7, v3
	v_cmp_gt_u32_e64 s[0:1], 60, v11
	s_waitcnt lgkmcnt(0)
	v_add_f64 v[2:3], v[2:3], v[4:5]
	v_cndmask_b32_e64 v4, 0, 1, s[0:1]
	v_lshlrev_b32_e32 v4, 2, v4
	v_add_lshl_u32 v8, v4, v10, 2
	ds_bpermute_b32 v4, v8, v2
	ds_bpermute_b32 v5, v8, v3
	v_cmp_gt_u32_e64 s[0:1], 62, v11
	s_waitcnt lgkmcnt(0)
	v_add_f64 v[2:3], v[2:3], v[4:5]
	v_cndmask_b32_e64 v4, 0, 1, s[0:1]
	v_lshlrev_b32_e32 v4, 1, v4
	v_add_lshl_u32 v9, v4, v10, 2
	ds_bpermute_b32 v4, v9, v2
	ds_bpermute_b32 v5, v9, v3
	v_cmp_ne_u32_e64 s[0:1], 63, v11
	s_waitcnt lgkmcnt(0)
	v_add_f64 v[2:3], v[2:3], v[4:5]
	v_addc_co_u32_e64 v4, s[0:1], 0, v10, s[0:1]
	v_lshlrev_b32_e32 v10, 2, v4
	ds_bpermute_b32 v4, v10, v2
	ds_bpermute_b32 v5, v10, v3
	v_cmp_eq_u32_e64 s[0:1], 0, v6
	s_and_saveexec_b64 s[2:3], s[0:1]
	s_cbranch_execz .LBB204_8
; %bb.7:
	s_waitcnt lgkmcnt(0)
	v_add_f64 v[2:3], v[2:3], v[4:5]
	v_lshrrev_b32_e32 v4, 3, v0
	v_and_b32_e32 v4, 0x78, v4
	ds_write_b64 v4, v[2:3]
.LBB204_8:
	s_or_b64 exec, exec, s[2:3]
	v_cmp_gt_u32_e64 s[0:1], 16, v0
	v_pk_mov_b32 v[2:3], 0, 0
	s_waitcnt lgkmcnt(0)
	s_barrier
	s_and_saveexec_b64 s[2:3], s[0:1]
	s_cbranch_execnz .LBB204_12
; %bb.9:
	s_or_b64 exec, exec, s[2:3]
	s_and_saveexec_b64 s[0:1], vcc
	s_cbranch_execnz .LBB204_13
.LBB204_10:
	s_or_b64 exec, exec, s[0:1]
	v_cmp_eq_u32_e32 vcc, 0, v0
	s_and_saveexec_b64 s[0:1], vcc
	s_cbranch_execnz .LBB204_14
.LBB204_11:
	s_endpgm
.LBB204_12:
	ds_read_b64 v[2:3], v1
	s_or_b64 exec, exec, s[2:3]
	s_and_saveexec_b64 s[0:1], vcc
	s_cbranch_execz .LBB204_10
.LBB204_13:
	s_waitcnt lgkmcnt(0)
	ds_bpermute_b32 v4, v7, v2
	ds_bpermute_b32 v5, v7, v3
	s_waitcnt lgkmcnt(0)
	v_add_f64 v[2:3], v[2:3], v[4:5]
	ds_bpermute_b32 v4, v8, v2
	ds_bpermute_b32 v5, v8, v3
	s_waitcnt lgkmcnt(0)
	v_add_f64 v[2:3], v[2:3], v[4:5]
	;; [unrolled: 4-line block ×4, first 2 shown]
	s_or_b64 exec, exec, s[0:1]
	v_cmp_eq_u32_e32 vcc, 0, v0
	s_and_saveexec_b64 s[0:1], vcc
	s_cbranch_execz .LBB204_11
.LBB204_14:
	s_lshl_b64 s[0:1], s[6:7], 3
	s_add_u32 s0, s12, s0
	s_addc_u32 s1, s13, s1
	v_mov_b32_e32 v0, 0
	s_waitcnt lgkmcnt(0)
	global_store_dwordx2 v0, v[2:3], s[0:1]
	s_endpgm
	.section	.rodata,"a",@progbits
	.p2align	6, 0x0
	.amdhsa_kernel _ZL18rocblas_dot_kernelIlLb1ELi1024ELi32ELb0EdPKPKddEviT5_lT_lS4_lS5_liPT6_PT4_
		.amdhsa_group_segment_fixed_size 512
		.amdhsa_private_segment_fixed_size 0
		.amdhsa_kernarg_size 352
		.amdhsa_user_sgpr_count 6
		.amdhsa_user_sgpr_private_segment_buffer 1
		.amdhsa_user_sgpr_dispatch_ptr 0
		.amdhsa_user_sgpr_queue_ptr 0
		.amdhsa_user_sgpr_kernarg_segment_ptr 1
		.amdhsa_user_sgpr_dispatch_id 0
		.amdhsa_user_sgpr_flat_scratch_init 0
		.amdhsa_user_sgpr_kernarg_preload_length 0
		.amdhsa_user_sgpr_kernarg_preload_offset 0
		.amdhsa_user_sgpr_private_segment_size 0
		.amdhsa_uses_dynamic_stack 0
		.amdhsa_system_sgpr_private_segment_wavefront_offset 0
		.amdhsa_system_sgpr_workgroup_id_x 1
		.amdhsa_system_sgpr_workgroup_id_y 0
		.amdhsa_system_sgpr_workgroup_id_z 1
		.amdhsa_system_sgpr_workgroup_info 0
		.amdhsa_system_vgpr_workitem_id 0
		.amdhsa_next_free_vgpr 14
		.amdhsa_next_free_sgpr 26
		.amdhsa_accum_offset 16
		.amdhsa_reserve_vcc 1
		.amdhsa_reserve_flat_scratch 0
		.amdhsa_float_round_mode_32 0
		.amdhsa_float_round_mode_16_64 0
		.amdhsa_float_denorm_mode_32 3
		.amdhsa_float_denorm_mode_16_64 3
		.amdhsa_dx10_clamp 1
		.amdhsa_ieee_mode 1
		.amdhsa_fp16_overflow 0
		.amdhsa_tg_split 0
		.amdhsa_exception_fp_ieee_invalid_op 0
		.amdhsa_exception_fp_denorm_src 0
		.amdhsa_exception_fp_ieee_div_zero 0
		.amdhsa_exception_fp_ieee_overflow 0
		.amdhsa_exception_fp_ieee_underflow 0
		.amdhsa_exception_fp_ieee_inexact 0
		.amdhsa_exception_int_div_zero 0
	.end_amdhsa_kernel
	.section	.text._ZL18rocblas_dot_kernelIlLb1ELi1024ELi32ELb0EdPKPKddEviT5_lT_lS4_lS5_liPT6_PT4_,"axG",@progbits,_ZL18rocblas_dot_kernelIlLb1ELi1024ELi32ELb0EdPKPKddEviT5_lT_lS4_lS5_liPT6_PT4_,comdat
.Lfunc_end204:
	.size	_ZL18rocblas_dot_kernelIlLb1ELi1024ELi32ELb0EdPKPKddEviT5_lT_lS4_lS5_liPT6_PT4_, .Lfunc_end204-_ZL18rocblas_dot_kernelIlLb1ELi1024ELi32ELb0EdPKPKddEviT5_lT_lS4_lS5_liPT6_PT4_
                                        ; -- End function
	.section	.AMDGPU.csdata,"",@progbits
; Kernel info:
; codeLenInByte = 1124
; NumSgprs: 30
; NumVgprs: 14
; NumAgprs: 0
; TotalNumVgprs: 14
; ScratchSize: 0
; MemoryBound: 0
; FloatMode: 240
; IeeeMode: 1
; LDSByteSize: 512 bytes/workgroup (compile time only)
; SGPRBlocks: 3
; VGPRBlocks: 1
; NumSGPRsForWavesPerEU: 30
; NumVGPRsForWavesPerEU: 14
; AccumOffset: 16
; Occupancy: 8
; WaveLimiterHint : 0
; COMPUTE_PGM_RSRC2:SCRATCH_EN: 0
; COMPUTE_PGM_RSRC2:USER_SGPR: 6
; COMPUTE_PGM_RSRC2:TRAP_HANDLER: 0
; COMPUTE_PGM_RSRC2:TGID_X_EN: 1
; COMPUTE_PGM_RSRC2:TGID_Y_EN: 0
; COMPUTE_PGM_RSRC2:TGID_Z_EN: 1
; COMPUTE_PGM_RSRC2:TIDIG_COMP_CNT: 0
; COMPUTE_PGM_RSRC3_GFX90A:ACCUM_OFFSET: 3
; COMPUTE_PGM_RSRC3_GFX90A:TG_SPLIT: 0
	.section	.text._ZL24rocblas_dot_kernel_magsqIlLb1ELi1024ELi32ELb0EdPKPKddEviT5_lT_liPT6_PT4_,"axG",@progbits,_ZL24rocblas_dot_kernel_magsqIlLb1ELi1024ELi32ELb0EdPKPKddEviT5_lT_liPT6_PT4_,comdat
	.globl	_ZL24rocblas_dot_kernel_magsqIlLb1ELi1024ELi32ELb0EdPKPKddEviT5_lT_liPT6_PT4_ ; -- Begin function _ZL24rocblas_dot_kernel_magsqIlLb1ELi1024ELi32ELb0EdPKPKddEviT5_lT_liPT6_PT4_
	.p2align	8
	.type	_ZL24rocblas_dot_kernel_magsqIlLb1ELi1024ELi32ELb0EdPKPKddEviT5_lT_liPT6_PT4_,@function
_ZL24rocblas_dot_kernel_magsqIlLb1ELi1024ELi32ELb0EdPKPKddEviT5_lT_liPT6_PT4_: ; @_ZL24rocblas_dot_kernel_magsqIlLb1ELi1024ELi32ELb0EdPKPKddEviT5_lT_liPT6_PT4_
; %bb.0:
	s_mov_b32 s2, s7
	s_load_dword s12, s[4:5], 0x0
	s_load_dwordx2 s[6:7], s[4:5], 0x38
	s_mov_b32 s3, 0
	v_pk_mov_b32 v[2:3], 0, 0
	s_waitcnt lgkmcnt(0)
	v_cmp_gt_i32_e32 vcc, s12, v0
	s_and_saveexec_b64 s[8:9], vcc
	s_cbranch_execz .LBB205_4
; %bb.1:
	s_load_dwordx2 s[0:1], s[4:5], 0x8
	s_load_dword s10, s[4:5], 0x40
	s_load_dwordx4 s[16:19], s[4:5], 0x10
	s_lshl_b64 s[4:5], s[2:3], 3
	s_waitcnt lgkmcnt(0)
	s_add_u32 s0, s0, s4
	s_addc_u32 s1, s1, s5
	s_load_dwordx2 s[0:1], s[0:1], 0x0
	v_mad_u64_u32 v[2:3], s[4:5], s18, v0, 0
	v_mov_b32_e32 v4, v3
	v_mad_u64_u32 v[4:5], s[4:5], s19, v0, v[4:5]
	s_lshl_b32 s13, s10, 10
	v_mov_b32_e32 v3, v4
	s_lshl_b64 s[4:5], s[16:17], 3
	v_lshlrev_b64 v[2:3], 3, v[2:3]
	s_waitcnt lgkmcnt(0)
	s_add_u32 s0, s0, s4
	s_addc_u32 s1, s1, s5
	v_add_co_u32_e32 v4, vcc, s0, v2
	s_ashr_i32 s0, s13, 31
	v_mov_b32_e32 v5, s1
	s_mul_i32 s0, s18, s0
	s_mul_hi_u32 s1, s18, s13
	s_add_i32 s0, s1, s0
	s_mul_i32 s1, s19, s13
	s_add_i32 s1, s0, s1
	s_mul_i32 s0, s18, s13
	s_lshl_b64 s[10:11], s[0:1], 3
	v_or_b32_e32 v1, s13, v0
	v_addc_co_u32_e32 v5, vcc, v5, v3, vcc
	s_mov_b64 s[4:5], 0
	v_pk_mov_b32 v[2:3], 0, 0
	v_mov_b32_e32 v6, s11
	s_mov_b32 s11, s3
.LBB205_2:                              ; =>This Inner Loop Header: Depth=1
	global_load_dwordx2 v[8:9], v[4:5], off
	s_add_i32 s14, s11, 1
	v_add_co_u32_e64 v4, s[0:1], s10, v4
	v_addc_co_u32_e64 v5, s[0:1], v5, v6, s[0:1]
	s_cmp_gt_u32 s11, 30
	v_cmp_le_i32_e32 vcc, s12, v1
	s_cselect_b64 s[0:1], -1, 0
	s_or_b64 s[0:1], s[0:1], vcc
	s_and_b64 s[0:1], exec, s[0:1]
	v_add_u32_e32 v1, s13, v1
	s_mov_b32 s11, s14
	s_or_b64 s[4:5], s[0:1], s[4:5]
	s_waitcnt vmcnt(0)
	v_fmac_f64_e32 v[2:3], v[8:9], v[8:9]
	s_andn2_b64 exec, exec, s[4:5]
	s_cbranch_execnz .LBB205_2
; %bb.3:
	s_or_b64 exec, exec, s[4:5]
.LBB205_4:
	s_or_b64 exec, exec, s[8:9]
	v_and_b32_e32 v6, 63, v0
	v_cmp_gt_u32_e32 vcc, 64, v0
	v_lshlrev_b32_e32 v1, 3, v6
	s_and_saveexec_b64 s[0:1], vcc
	s_cbranch_execz .LBB205_6
; %bb.5:
	v_mov_b32_e32 v4, 0
	v_mov_b32_e32 v5, v4
	ds_write_b64 v1, v[4:5]
.LBB205_6:
	s_or_b64 exec, exec, s[0:1]
	v_mbcnt_lo_u32_b32 v4, -1, 0
	v_mbcnt_hi_u32_b32 v10, -1, v4
	v_and_b32_e32 v11, 63, v10
	v_cmp_gt_u32_e64 s[0:1], 32, v11
	v_cndmask_b32_e64 v4, 0, 1, s[0:1]
	v_lshlrev_b32_e32 v4, 5, v4
	v_add_lshl_u32 v5, v4, v10, 2
	ds_bpermute_b32 v4, v5, v2
	ds_bpermute_b32 v5, v5, v3
	v_cmp_gt_u32_e64 s[0:1], 48, v11
	v_cndmask_b32_e64 v7, 0, 1, s[0:1]
	v_cmp_gt_u32_e64 s[0:1], 56, v11
	s_waitcnt lgkmcnt(0)
	v_add_f64 v[2:3], v[2:3], v[4:5]
	v_lshlrev_b32_e32 v4, 4, v7
	v_add_lshl_u32 v5, v4, v10, 2
	ds_bpermute_b32 v4, v5, v2
	ds_bpermute_b32 v5, v5, v3
	s_barrier
	s_waitcnt lgkmcnt(0)
	v_add_f64 v[2:3], v[2:3], v[4:5]
	v_cndmask_b32_e64 v4, 0, 1, s[0:1]
	v_lshlrev_b32_e32 v4, 3, v4
	v_add_lshl_u32 v7, v4, v10, 2
	ds_bpermute_b32 v4, v7, v2
	ds_bpermute_b32 v5, v7, v3
	v_cmp_gt_u32_e64 s[0:1], 60, v11
	s_waitcnt lgkmcnt(0)
	v_add_f64 v[2:3], v[2:3], v[4:5]
	v_cndmask_b32_e64 v4, 0, 1, s[0:1]
	v_lshlrev_b32_e32 v4, 2, v4
	v_add_lshl_u32 v8, v4, v10, 2
	ds_bpermute_b32 v4, v8, v2
	ds_bpermute_b32 v5, v8, v3
	v_cmp_gt_u32_e64 s[0:1], 62, v11
	s_waitcnt lgkmcnt(0)
	v_add_f64 v[2:3], v[2:3], v[4:5]
	v_cndmask_b32_e64 v4, 0, 1, s[0:1]
	v_lshlrev_b32_e32 v4, 1, v4
	v_add_lshl_u32 v9, v4, v10, 2
	ds_bpermute_b32 v4, v9, v2
	ds_bpermute_b32 v5, v9, v3
	v_cmp_ne_u32_e64 s[0:1], 63, v11
	s_waitcnt lgkmcnt(0)
	v_add_f64 v[2:3], v[2:3], v[4:5]
	v_addc_co_u32_e64 v4, s[0:1], 0, v10, s[0:1]
	v_lshlrev_b32_e32 v10, 2, v4
	ds_bpermute_b32 v4, v10, v2
	ds_bpermute_b32 v5, v10, v3
	v_cmp_eq_u32_e64 s[0:1], 0, v6
	s_and_saveexec_b64 s[4:5], s[0:1]
	s_cbranch_execz .LBB205_8
; %bb.7:
	s_waitcnt lgkmcnt(0)
	v_add_f64 v[2:3], v[2:3], v[4:5]
	v_lshrrev_b32_e32 v4, 3, v0
	v_and_b32_e32 v4, 0x78, v4
	ds_write_b64 v4, v[2:3]
.LBB205_8:
	s_or_b64 exec, exec, s[4:5]
	v_cmp_gt_u32_e64 s[0:1], 16, v0
	v_pk_mov_b32 v[2:3], 0, 0
	s_waitcnt lgkmcnt(0)
	s_barrier
	s_and_saveexec_b64 s[4:5], s[0:1]
	s_cbranch_execnz .LBB205_12
; %bb.9:
	s_or_b64 exec, exec, s[4:5]
	s_and_saveexec_b64 s[0:1], vcc
	s_cbranch_execnz .LBB205_13
.LBB205_10:
	s_or_b64 exec, exec, s[0:1]
	v_cmp_eq_u32_e32 vcc, 0, v0
	s_and_saveexec_b64 s[0:1], vcc
	s_cbranch_execnz .LBB205_14
.LBB205_11:
	s_endpgm
.LBB205_12:
	ds_read_b64 v[2:3], v1
	s_or_b64 exec, exec, s[4:5]
	s_and_saveexec_b64 s[0:1], vcc
	s_cbranch_execz .LBB205_10
.LBB205_13:
	s_waitcnt lgkmcnt(0)
	ds_bpermute_b32 v4, v7, v2
	ds_bpermute_b32 v5, v7, v3
	s_waitcnt lgkmcnt(0)
	v_add_f64 v[2:3], v[2:3], v[4:5]
	ds_bpermute_b32 v4, v8, v2
	ds_bpermute_b32 v5, v8, v3
	s_waitcnt lgkmcnt(0)
	v_add_f64 v[2:3], v[2:3], v[4:5]
	;; [unrolled: 4-line block ×4, first 2 shown]
	s_or_b64 exec, exec, s[0:1]
	v_cmp_eq_u32_e32 vcc, 0, v0
	s_and_saveexec_b64 s[0:1], vcc
	s_cbranch_execz .LBB205_11
.LBB205_14:
	s_lshl_b64 s[0:1], s[2:3], 3
	s_add_u32 s0, s6, s0
	s_addc_u32 s1, s7, s1
	v_mov_b32_e32 v0, 0
	s_waitcnt lgkmcnt(0)
	global_store_dwordx2 v0, v[2:3], s[0:1]
	s_endpgm
	.section	.rodata,"a",@progbits
	.p2align	6, 0x0
	.amdhsa_kernel _ZL24rocblas_dot_kernel_magsqIlLb1ELi1024ELi32ELb0EdPKPKddEviT5_lT_liPT6_PT4_
		.amdhsa_group_segment_fixed_size 512
		.amdhsa_private_segment_fixed_size 0
		.amdhsa_kernarg_size 320
		.amdhsa_user_sgpr_count 6
		.amdhsa_user_sgpr_private_segment_buffer 1
		.amdhsa_user_sgpr_dispatch_ptr 0
		.amdhsa_user_sgpr_queue_ptr 0
		.amdhsa_user_sgpr_kernarg_segment_ptr 1
		.amdhsa_user_sgpr_dispatch_id 0
		.amdhsa_user_sgpr_flat_scratch_init 0
		.amdhsa_user_sgpr_kernarg_preload_length 0
		.amdhsa_user_sgpr_kernarg_preload_offset 0
		.amdhsa_user_sgpr_private_segment_size 0
		.amdhsa_uses_dynamic_stack 0
		.amdhsa_system_sgpr_private_segment_wavefront_offset 0
		.amdhsa_system_sgpr_workgroup_id_x 1
		.amdhsa_system_sgpr_workgroup_id_y 0
		.amdhsa_system_sgpr_workgroup_id_z 1
		.amdhsa_system_sgpr_workgroup_info 0
		.amdhsa_system_vgpr_workitem_id 0
		.amdhsa_next_free_vgpr 12
		.amdhsa_next_free_sgpr 20
		.amdhsa_accum_offset 12
		.amdhsa_reserve_vcc 1
		.amdhsa_reserve_flat_scratch 0
		.amdhsa_float_round_mode_32 0
		.amdhsa_float_round_mode_16_64 0
		.amdhsa_float_denorm_mode_32 3
		.amdhsa_float_denorm_mode_16_64 3
		.amdhsa_dx10_clamp 1
		.amdhsa_ieee_mode 1
		.amdhsa_fp16_overflow 0
		.amdhsa_tg_split 0
		.amdhsa_exception_fp_ieee_invalid_op 0
		.amdhsa_exception_fp_denorm_src 0
		.amdhsa_exception_fp_ieee_div_zero 0
		.amdhsa_exception_fp_ieee_overflow 0
		.amdhsa_exception_fp_ieee_underflow 0
		.amdhsa_exception_fp_ieee_inexact 0
		.amdhsa_exception_int_div_zero 0
	.end_amdhsa_kernel
	.section	.text._ZL24rocblas_dot_kernel_magsqIlLb1ELi1024ELi32ELb0EdPKPKddEviT5_lT_liPT6_PT4_,"axG",@progbits,_ZL24rocblas_dot_kernel_magsqIlLb1ELi1024ELi32ELb0EdPKPKddEviT5_lT_liPT6_PT4_,comdat
.Lfunc_end205:
	.size	_ZL24rocblas_dot_kernel_magsqIlLb1ELi1024ELi32ELb0EdPKPKddEviT5_lT_liPT6_PT4_, .Lfunc_end205-_ZL24rocblas_dot_kernel_magsqIlLb1ELi1024ELi32ELb0EdPKPKddEviT5_lT_liPT6_PT4_
                                        ; -- End function
	.section	.AMDGPU.csdata,"",@progbits
; Kernel info:
; codeLenInByte = 980
; NumSgprs: 24
; NumVgprs: 12
; NumAgprs: 0
; TotalNumVgprs: 12
; ScratchSize: 0
; MemoryBound: 0
; FloatMode: 240
; IeeeMode: 1
; LDSByteSize: 512 bytes/workgroup (compile time only)
; SGPRBlocks: 2
; VGPRBlocks: 1
; NumSGPRsForWavesPerEU: 24
; NumVGPRsForWavesPerEU: 12
; AccumOffset: 12
; Occupancy: 8
; WaveLimiterHint : 0
; COMPUTE_PGM_RSRC2:SCRATCH_EN: 0
; COMPUTE_PGM_RSRC2:USER_SGPR: 6
; COMPUTE_PGM_RSRC2:TRAP_HANDLER: 0
; COMPUTE_PGM_RSRC2:TGID_X_EN: 1
; COMPUTE_PGM_RSRC2:TGID_Y_EN: 0
; COMPUTE_PGM_RSRC2:TGID_Z_EN: 1
; COMPUTE_PGM_RSRC2:TIDIG_COMP_CNT: 0
; COMPUTE_PGM_RSRC3_GFX90A:ACCUM_OFFSET: 2
; COMPUTE_PGM_RSRC3_GFX90A:TG_SPLIT: 0
	.section	.text._ZL38rocblas_dot_kernel_gfx942_float_doubleIlLi1024EdPKPKddEviT2_lT_lS4_lS5_lPT3_PT1_,"axG",@progbits,_ZL38rocblas_dot_kernel_gfx942_float_doubleIlLi1024EdPKPKddEviT2_lT_lS4_lS5_lPT3_PT1_,comdat
	.globl	_ZL38rocblas_dot_kernel_gfx942_float_doubleIlLi1024EdPKPKddEviT2_lT_lS4_lS5_lPT3_PT1_ ; -- Begin function _ZL38rocblas_dot_kernel_gfx942_float_doubleIlLi1024EdPKPKddEviT2_lT_lS4_lS5_lPT3_PT1_
	.p2align	8
	.type	_ZL38rocblas_dot_kernel_gfx942_float_doubleIlLi1024EdPKPKddEviT2_lT_lS4_lS5_lPT3_PT1_,@function
_ZL38rocblas_dot_kernel_gfx942_float_doubleIlLi1024EdPKPKddEviT2_lT_lS4_lS5_lPT3_PT1_: ; @_ZL38rocblas_dot_kernel_gfx942_float_doubleIlLi1024EdPKPKddEviT2_lT_lS4_lS5_lPT3_PT1_
; %bb.0:
	s_endpgm
	.section	.rodata,"a",@progbits
	.p2align	6, 0x0
	.amdhsa_kernel _ZL38rocblas_dot_kernel_gfx942_float_doubleIlLi1024EdPKPKddEviT2_lT_lS4_lS5_lPT3_PT1_
		.amdhsa_group_segment_fixed_size 0
		.amdhsa_private_segment_fixed_size 0
		.amdhsa_kernarg_size 88
		.amdhsa_user_sgpr_count 6
		.amdhsa_user_sgpr_private_segment_buffer 1
		.amdhsa_user_sgpr_dispatch_ptr 0
		.amdhsa_user_sgpr_queue_ptr 0
		.amdhsa_user_sgpr_kernarg_segment_ptr 1
		.amdhsa_user_sgpr_dispatch_id 0
		.amdhsa_user_sgpr_flat_scratch_init 0
		.amdhsa_user_sgpr_kernarg_preload_length 0
		.amdhsa_user_sgpr_kernarg_preload_offset 0
		.amdhsa_user_sgpr_private_segment_size 0
		.amdhsa_uses_dynamic_stack 0
		.amdhsa_system_sgpr_private_segment_wavefront_offset 0
		.amdhsa_system_sgpr_workgroup_id_x 1
		.amdhsa_system_sgpr_workgroup_id_y 0
		.amdhsa_system_sgpr_workgroup_id_z 0
		.amdhsa_system_sgpr_workgroup_info 0
		.amdhsa_system_vgpr_workitem_id 0
		.amdhsa_next_free_vgpr 1
		.amdhsa_next_free_sgpr 0
		.amdhsa_accum_offset 4
		.amdhsa_reserve_vcc 0
		.amdhsa_reserve_flat_scratch 0
		.amdhsa_float_round_mode_32 0
		.amdhsa_float_round_mode_16_64 0
		.amdhsa_float_denorm_mode_32 3
		.amdhsa_float_denorm_mode_16_64 3
		.amdhsa_dx10_clamp 1
		.amdhsa_ieee_mode 1
		.amdhsa_fp16_overflow 0
		.amdhsa_tg_split 0
		.amdhsa_exception_fp_ieee_invalid_op 0
		.amdhsa_exception_fp_denorm_src 0
		.amdhsa_exception_fp_ieee_div_zero 0
		.amdhsa_exception_fp_ieee_overflow 0
		.amdhsa_exception_fp_ieee_underflow 0
		.amdhsa_exception_fp_ieee_inexact 0
		.amdhsa_exception_int_div_zero 0
	.end_amdhsa_kernel
	.section	.text._ZL38rocblas_dot_kernel_gfx942_float_doubleIlLi1024EdPKPKddEviT2_lT_lS4_lS5_lPT3_PT1_,"axG",@progbits,_ZL38rocblas_dot_kernel_gfx942_float_doubleIlLi1024EdPKPKddEviT2_lT_lS4_lS5_lPT3_PT1_,comdat
.Lfunc_end206:
	.size	_ZL38rocblas_dot_kernel_gfx942_float_doubleIlLi1024EdPKPKddEviT2_lT_lS4_lS5_lPT3_PT1_, .Lfunc_end206-_ZL38rocblas_dot_kernel_gfx942_float_doubleIlLi1024EdPKPKddEviT2_lT_lS4_lS5_lPT3_PT1_
                                        ; -- End function
	.section	.AMDGPU.csdata,"",@progbits
; Kernel info:
; codeLenInByte = 4
; NumSgprs: 4
; NumVgprs: 0
; NumAgprs: 0
; TotalNumVgprs: 0
; ScratchSize: 0
; MemoryBound: 0
; FloatMode: 240
; IeeeMode: 1
; LDSByteSize: 0 bytes/workgroup (compile time only)
; SGPRBlocks: 0
; VGPRBlocks: 0
; NumSGPRsForWavesPerEU: 4
; NumVGPRsForWavesPerEU: 1
; AccumOffset: 4
; Occupancy: 8
; WaveLimiterHint : 0
; COMPUTE_PGM_RSRC2:SCRATCH_EN: 0
; COMPUTE_PGM_RSRC2:USER_SGPR: 6
; COMPUTE_PGM_RSRC2:TRAP_HANDLER: 0
; COMPUTE_PGM_RSRC2:TGID_X_EN: 1
; COMPUTE_PGM_RSRC2:TGID_Y_EN: 0
; COMPUTE_PGM_RSRC2:TGID_Z_EN: 0
; COMPUTE_PGM_RSRC2:TIDIG_COMP_CNT: 0
; COMPUTE_PGM_RSRC3_GFX90A:ACCUM_OFFSET: 0
; COMPUTE_PGM_RSRC3_GFX90A:TG_SPLIT: 0
	.section	.text._ZL18rocblas_dot_kernelIlLb0ELi512ELi2ELb0EdPKPKddEviT5_lT_lS4_lS5_liPT6_PT4_,"axG",@progbits,_ZL18rocblas_dot_kernelIlLb0ELi512ELi2ELb0EdPKPKddEviT5_lT_lS4_lS5_liPT6_PT4_,comdat
	.globl	_ZL18rocblas_dot_kernelIlLb0ELi512ELi2ELb0EdPKPKddEviT5_lT_lS4_lS5_liPT6_PT4_ ; -- Begin function _ZL18rocblas_dot_kernelIlLb0ELi512ELi2ELb0EdPKPKddEviT5_lT_lS4_lS5_liPT6_PT4_
	.p2align	8
	.type	_ZL18rocblas_dot_kernelIlLb0ELi512ELi2ELb0EdPKPKddEviT5_lT_lS4_lS5_liPT6_PT4_,@function
_ZL18rocblas_dot_kernelIlLb0ELi512ELi2ELb0EdPKPKddEviT5_lT_lS4_lS5_liPT6_PT4_: ; @_ZL18rocblas_dot_kernelIlLb0ELi512ELi2ELb0EdPKPKddEviT5_lT_lS4_lS5_liPT6_PT4_
; %bb.0:
	s_mov_b32 s12, s7
	s_load_dword s7, s[4:5], 0x0
	s_load_dword s16, s[4:5], 0x60
	v_lshl_or_b32 v1, s6, 9, v0
	s_mov_b32 s13, 0
	v_pk_mov_b32 v[2:3], 0, 0
	s_waitcnt lgkmcnt(0)
	v_cmp_gt_i32_e32 vcc, s7, v1
	s_and_saveexec_b64 s[14:15], vcc
	s_cbranch_execz .LBB207_4
; %bb.1:
	s_load_dwordx2 s[18:19], s[4:5], 0x8
	s_load_dwordx4 s[0:3], s[4:5], 0x10
	s_load_dwordx2 s[20:21], s[4:5], 0x28
	s_load_dwordx4 s[8:11], s[4:5], 0x30
	s_lshl_b64 s[22:23], s[12:13], 3
	s_waitcnt lgkmcnt(0)
	s_add_u32 s18, s18, s22
	s_addc_u32 s19, s19, s23
	s_load_dwordx2 s[18:19], s[18:19], 0x0
	s_lshl_b64 s[0:1], s[0:1], 3
	v_ashrrev_i32_e32 v4, 31, v1
	v_mul_lo_u32 v5, v1, s11
	v_mul_lo_u32 v6, v4, s10
	s_waitcnt lgkmcnt(0)
	s_add_u32 s17, s18, s0
	s_addc_u32 s18, s19, s1
	s_add_u32 s0, s20, s22
	s_addc_u32 s1, s21, s23
	s_load_dwordx2 s[0:1], s[0:1], 0x0
	v_mad_u64_u32 v[2:3], s[20:21], v1, s10, 0
	s_lshl_b64 s[8:9], s[8:9], 3
	v_add3_u32 v3, v3, v5, v6
	s_waitcnt lgkmcnt(0)
	s_add_u32 s8, s0, s8
	s_addc_u32 s9, s1, s9
	v_lshlrev_b64 v[2:3], 3, v[2:3]
	v_mov_b32_e32 v5, s9
	v_add_co_u32_e32 v2, vcc, s8, v2
	v_addc_co_u32_e32 v3, vcc, v5, v3, vcc
	v_mul_lo_u32 v6, v1, s3
	v_mul_lo_u32 v7, v4, s2
	v_mad_u64_u32 v[4:5], s[0:1], v1, s2, 0
	v_add3_u32 v5, v5, v6, v7
	v_lshlrev_b64 v[4:5], 3, v[4:5]
	v_mov_b32_e32 v1, s18
	v_add_co_u32_e32 v4, vcc, s17, v4
	v_addc_co_u32_e32 v5, vcc, v1, v5, vcc
	global_load_dwordx2 v[6:7], v[4:5], off
	global_load_dwordx2 v[8:9], v[2:3], off
	s_add_i32 s0, s6, s16
	v_lshl_or_b32 v1, s0, 9, v0
	v_cmp_gt_i32_e32 vcc, s7, v1
	s_waitcnt vmcnt(0)
	v_fma_f64 v[2:3], v[8:9], v[6:7], 0
	s_and_saveexec_b64 s[0:1], vcc
	s_cbranch_execz .LBB207_3
; %bb.2:
	v_ashrrev_i32_e32 v6, 31, v1
	v_mul_lo_u32 v7, v1, s11
	v_mul_lo_u32 v8, v6, s10
	v_mad_u64_u32 v[4:5], s[10:11], v1, s10, 0
	v_add3_u32 v5, v5, v7, v8
	v_lshlrev_b64 v[4:5], 3, v[4:5]
	v_mov_b32_e32 v7, s9
	v_add_co_u32_e32 v4, vcc, s8, v4
	v_addc_co_u32_e32 v5, vcc, v7, v5, vcc
	v_mul_lo_u32 v8, v1, s3
	v_mul_lo_u32 v9, v6, s2
	v_mad_u64_u32 v[6:7], s[2:3], v1, s2, 0
	v_add3_u32 v7, v7, v8, v9
	v_lshlrev_b64 v[6:7], 3, v[6:7]
	v_mov_b32_e32 v1, s18
	v_add_co_u32_e32 v6, vcc, s17, v6
	v_addc_co_u32_e32 v7, vcc, v1, v7, vcc
	global_load_dwordx2 v[4:5], v[4:5], off
	s_nop 0
	global_load_dwordx2 v[6:7], v[6:7], off
	s_waitcnt vmcnt(0)
	v_fmac_f64_e32 v[2:3], v[4:5], v[6:7]
.LBB207_3:
	s_or_b64 exec, exec, s[0:1]
.LBB207_4:
	s_or_b64 exec, exec, s[14:15]
	v_and_b32_e32 v6, 63, v0
	v_cmp_gt_u32_e32 vcc, 64, v0
	v_lshlrev_b32_e32 v1, 3, v6
	s_and_saveexec_b64 s[0:1], vcc
	s_cbranch_execz .LBB207_6
; %bb.5:
	v_mov_b32_e32 v4, 0
	v_mov_b32_e32 v5, v4
	ds_write_b64 v1, v[4:5]
.LBB207_6:
	s_or_b64 exec, exec, s[0:1]
	v_mbcnt_lo_u32_b32 v4, -1, 0
	v_mbcnt_hi_u32_b32 v9, -1, v4
	v_and_b32_e32 v10, 63, v9
	v_cmp_gt_u32_e64 s[0:1], 32, v10
	v_cndmask_b32_e64 v4, 0, 1, s[0:1]
	v_lshlrev_b32_e32 v4, 5, v4
	v_add_lshl_u32 v5, v4, v9, 2
	ds_bpermute_b32 v4, v5, v2
	ds_bpermute_b32 v5, v5, v3
	v_cmp_gt_u32_e64 s[0:1], 48, v10
	v_cndmask_b32_e64 v7, 0, 1, s[0:1]
	v_cmp_gt_u32_e64 s[0:1], 56, v10
	s_waitcnt lgkmcnt(0)
	v_add_f64 v[2:3], v[2:3], v[4:5]
	v_lshlrev_b32_e32 v4, 4, v7
	v_add_lshl_u32 v5, v4, v9, 2
	ds_bpermute_b32 v4, v5, v2
	ds_bpermute_b32 v5, v5, v3
	s_barrier
	s_waitcnt lgkmcnt(0)
	v_add_f64 v[2:3], v[2:3], v[4:5]
	v_cndmask_b32_e64 v4, 0, 1, s[0:1]
	v_lshlrev_b32_e32 v4, 3, v4
	v_add_lshl_u32 v5, v4, v9, 2
	ds_bpermute_b32 v4, v5, v2
	ds_bpermute_b32 v5, v5, v3
	v_cmp_gt_u32_e64 s[0:1], 60, v10
	s_waitcnt lgkmcnt(0)
	v_add_f64 v[2:3], v[2:3], v[4:5]
	v_cndmask_b32_e64 v4, 0, 1, s[0:1]
	v_lshlrev_b32_e32 v4, 2, v4
	v_add_lshl_u32 v7, v4, v9, 2
	ds_bpermute_b32 v4, v7, v2
	ds_bpermute_b32 v5, v7, v3
	v_cmp_gt_u32_e64 s[0:1], 62, v10
	s_waitcnt lgkmcnt(0)
	v_add_f64 v[2:3], v[2:3], v[4:5]
	v_cndmask_b32_e64 v4, 0, 1, s[0:1]
	v_lshlrev_b32_e32 v4, 1, v4
	v_add_lshl_u32 v8, v4, v9, 2
	ds_bpermute_b32 v4, v8, v2
	ds_bpermute_b32 v5, v8, v3
	v_cmp_ne_u32_e64 s[0:1], 63, v10
	s_waitcnt lgkmcnt(0)
	v_add_f64 v[2:3], v[2:3], v[4:5]
	v_addc_co_u32_e64 v4, s[0:1], 0, v9, s[0:1]
	v_lshlrev_b32_e32 v9, 2, v4
	ds_bpermute_b32 v4, v9, v2
	ds_bpermute_b32 v5, v9, v3
	v_cmp_eq_u32_e64 s[0:1], 0, v6
	s_and_saveexec_b64 s[2:3], s[0:1]
	s_cbranch_execz .LBB207_8
; %bb.7:
	s_waitcnt lgkmcnt(0)
	v_add_f64 v[2:3], v[2:3], v[4:5]
	v_lshrrev_b32_e32 v4, 3, v0
	v_and_b32_e32 v4, 56, v4
	ds_write_b64 v4, v[2:3]
.LBB207_8:
	s_or_b64 exec, exec, s[2:3]
	v_cmp_gt_u32_e64 s[0:1], 8, v0
	v_pk_mov_b32 v[2:3], 0, 0
	s_waitcnt lgkmcnt(0)
	s_barrier
	s_and_saveexec_b64 s[2:3], s[0:1]
	s_cbranch_execnz .LBB207_12
; %bb.9:
	s_or_b64 exec, exec, s[2:3]
	s_and_saveexec_b64 s[0:1], vcc
	s_cbranch_execnz .LBB207_13
.LBB207_10:
	s_or_b64 exec, exec, s[0:1]
	v_cmp_eq_u32_e32 vcc, 0, v0
	s_and_saveexec_b64 s[0:1], vcc
	s_cbranch_execnz .LBB207_14
.LBB207_11:
	s_endpgm
.LBB207_12:
	ds_read_b64 v[2:3], v1
	s_or_b64 exec, exec, s[2:3]
	s_and_saveexec_b64 s[0:1], vcc
	s_cbranch_execz .LBB207_10
.LBB207_13:
	s_waitcnt lgkmcnt(0)
	ds_bpermute_b32 v4, v7, v2
	ds_bpermute_b32 v5, v7, v3
	s_waitcnt lgkmcnt(0)
	v_add_f64 v[2:3], v[2:3], v[4:5]
	ds_bpermute_b32 v4, v8, v2
	ds_bpermute_b32 v5, v8, v3
	s_waitcnt lgkmcnt(0)
	v_add_f64 v[2:3], v[2:3], v[4:5]
	;; [unrolled: 4-line block ×3, first 2 shown]
	s_or_b64 exec, exec, s[0:1]
	v_cmp_eq_u32_e32 vcc, 0, v0
	s_and_saveexec_b64 s[0:1], vcc
	s_cbranch_execz .LBB207_11
.LBB207_14:
	s_cmp_lg_u32 s16, 1
	s_cbranch_scc0 .LBB207_16
; %bb.15:
	s_load_dwordx2 s[0:1], s[4:5], 0x50
	s_mul_hi_u32 s3, s16, s12
	s_mul_i32 s2, s16, s12
	s_lshl_b64 s[2:3], s[2:3], 3
	s_mov_b32 s7, 0
	s_waitcnt lgkmcnt(0)
	s_add_u32 s2, s0, s2
	s_addc_u32 s3, s1, s3
	s_lshl_b64 s[0:1], s[6:7], 3
	s_add_u32 s0, s2, s0
	s_addc_u32 s1, s3, s1
	s_cbranch_execz .LBB207_17
	s_branch .LBB207_18
.LBB207_16:
                                        ; implicit-def: $sgpr0_sgpr1
.LBB207_17:
	s_load_dwordx2 s[0:1], s[4:5], 0x58
	s_lshl_b64 s[2:3], s[12:13], 3
	s_waitcnt lgkmcnt(0)
	s_add_u32 s0, s0, s2
	s_addc_u32 s1, s1, s3
.LBB207_18:
	v_mov_b32_e32 v0, 0
	s_waitcnt lgkmcnt(0)
	global_store_dwordx2 v0, v[2:3], s[0:1]
	s_endpgm
	.section	.rodata,"a",@progbits
	.p2align	6, 0x0
	.amdhsa_kernel _ZL18rocblas_dot_kernelIlLb0ELi512ELi2ELb0EdPKPKddEviT5_lT_lS4_lS5_liPT6_PT4_
		.amdhsa_group_segment_fixed_size 512
		.amdhsa_private_segment_fixed_size 0
		.amdhsa_kernarg_size 352
		.amdhsa_user_sgpr_count 6
		.amdhsa_user_sgpr_private_segment_buffer 1
		.amdhsa_user_sgpr_dispatch_ptr 0
		.amdhsa_user_sgpr_queue_ptr 0
		.amdhsa_user_sgpr_kernarg_segment_ptr 1
		.amdhsa_user_sgpr_dispatch_id 0
		.amdhsa_user_sgpr_flat_scratch_init 0
		.amdhsa_user_sgpr_kernarg_preload_length 0
		.amdhsa_user_sgpr_kernarg_preload_offset 0
		.amdhsa_user_sgpr_private_segment_size 0
		.amdhsa_uses_dynamic_stack 0
		.amdhsa_system_sgpr_private_segment_wavefront_offset 0
		.amdhsa_system_sgpr_workgroup_id_x 1
		.amdhsa_system_sgpr_workgroup_id_y 0
		.amdhsa_system_sgpr_workgroup_id_z 1
		.amdhsa_system_sgpr_workgroup_info 0
		.amdhsa_system_vgpr_workitem_id 0
		.amdhsa_next_free_vgpr 11
		.amdhsa_next_free_sgpr 24
		.amdhsa_accum_offset 12
		.amdhsa_reserve_vcc 1
		.amdhsa_reserve_flat_scratch 0
		.amdhsa_float_round_mode_32 0
		.amdhsa_float_round_mode_16_64 0
		.amdhsa_float_denorm_mode_32 3
		.amdhsa_float_denorm_mode_16_64 3
		.amdhsa_dx10_clamp 1
		.amdhsa_ieee_mode 1
		.amdhsa_fp16_overflow 0
		.amdhsa_tg_split 0
		.amdhsa_exception_fp_ieee_invalid_op 0
		.amdhsa_exception_fp_denorm_src 0
		.amdhsa_exception_fp_ieee_div_zero 0
		.amdhsa_exception_fp_ieee_overflow 0
		.amdhsa_exception_fp_ieee_underflow 0
		.amdhsa_exception_fp_ieee_inexact 0
		.amdhsa_exception_int_div_zero 0
	.end_amdhsa_kernel
	.section	.text._ZL18rocblas_dot_kernelIlLb0ELi512ELi2ELb0EdPKPKddEviT5_lT_lS4_lS5_liPT6_PT4_,"axG",@progbits,_ZL18rocblas_dot_kernelIlLb0ELi512ELi2ELb0EdPKPKddEviT5_lT_lS4_lS5_liPT6_PT4_,comdat
.Lfunc_end207:
	.size	_ZL18rocblas_dot_kernelIlLb0ELi512ELi2ELb0EdPKPKddEviT5_lT_lS4_lS5_liPT6_PT4_, .Lfunc_end207-_ZL18rocblas_dot_kernelIlLb0ELi512ELi2ELb0EdPKPKddEviT5_lT_lS4_lS5_liPT6_PT4_
                                        ; -- End function
	.section	.AMDGPU.csdata,"",@progbits
; Kernel info:
; codeLenInByte = 1188
; NumSgprs: 28
; NumVgprs: 11
; NumAgprs: 0
; TotalNumVgprs: 11
; ScratchSize: 0
; MemoryBound: 0
; FloatMode: 240
; IeeeMode: 1
; LDSByteSize: 512 bytes/workgroup (compile time only)
; SGPRBlocks: 3
; VGPRBlocks: 1
; NumSGPRsForWavesPerEU: 28
; NumVGPRsForWavesPerEU: 11
; AccumOffset: 12
; Occupancy: 8
; WaveLimiterHint : 1
; COMPUTE_PGM_RSRC2:SCRATCH_EN: 0
; COMPUTE_PGM_RSRC2:USER_SGPR: 6
; COMPUTE_PGM_RSRC2:TRAP_HANDLER: 0
; COMPUTE_PGM_RSRC2:TGID_X_EN: 1
; COMPUTE_PGM_RSRC2:TGID_Y_EN: 0
; COMPUTE_PGM_RSRC2:TGID_Z_EN: 1
; COMPUTE_PGM_RSRC2:TIDIG_COMP_CNT: 0
; COMPUTE_PGM_RSRC3_GFX90A:ACCUM_OFFSET: 2
; COMPUTE_PGM_RSRC3_GFX90A:TG_SPLIT: 0
	.section	.text._ZL24rocblas_dot_kernel_magsqIlLb0ELi512ELi2ELb0EdPKPKddEviT5_lT_liPT6_PT4_,"axG",@progbits,_ZL24rocblas_dot_kernel_magsqIlLb0ELi512ELi2ELb0EdPKPKddEviT5_lT_liPT6_PT4_,comdat
	.globl	_ZL24rocblas_dot_kernel_magsqIlLb0ELi512ELi2ELb0EdPKPKddEviT5_lT_liPT6_PT4_ ; -- Begin function _ZL24rocblas_dot_kernel_magsqIlLb0ELi512ELi2ELb0EdPKPKddEviT5_lT_liPT6_PT4_
	.p2align	8
	.type	_ZL24rocblas_dot_kernel_magsqIlLb0ELi512ELi2ELb0EdPKPKddEviT5_lT_liPT6_PT4_,@function
_ZL24rocblas_dot_kernel_magsqIlLb0ELi512ELi2ELb0EdPKPKddEviT5_lT_liPT6_PT4_: ; @_ZL24rocblas_dot_kernel_magsqIlLb0ELi512ELi2ELb0EdPKPKddEviT5_lT_liPT6_PT4_
; %bb.0:
	s_mov_b32 s8, s7
	s_load_dword s7, s[4:5], 0x0
	s_load_dword s12, s[4:5], 0x40
	v_lshl_or_b32 v1, s6, 9, v0
	s_mov_b32 s9, 0
	v_pk_mov_b32 v[2:3], 0, 0
	s_waitcnt lgkmcnt(0)
	v_cmp_gt_i32_e32 vcc, s7, v1
	s_and_saveexec_b64 s[10:11], vcc
	s_cbranch_execz .LBB208_4
; %bb.1:
	s_load_dwordx2 s[14:15], s[4:5], 0x8
	s_load_dwordx4 s[0:3], s[4:5], 0x10
	s_lshl_b64 s[16:17], s[8:9], 3
	v_ashrrev_i32_e32 v2, 31, v1
	s_waitcnt lgkmcnt(0)
	s_add_u32 s14, s14, s16
	s_addc_u32 s15, s15, s17
	s_load_dwordx2 s[14:15], s[14:15], 0x0
	v_mul_lo_u32 v4, v1, s3
	v_mul_lo_u32 v5, v2, s2
	v_mad_u64_u32 v[2:3], s[16:17], v1, s2, 0
	s_lshl_b64 s[0:1], s[0:1], 3
	s_waitcnt lgkmcnt(0)
	s_add_u32 s13, s14, s0
	v_add3_u32 v3, v3, v4, v5
	s_addc_u32 s14, s15, s1
	v_lshlrev_b64 v[2:3], 3, v[2:3]
	v_mov_b32_e32 v1, s14
	v_add_co_u32_e32 v2, vcc, s13, v2
	v_addc_co_u32_e32 v3, vcc, v1, v3, vcc
	global_load_dwordx2 v[2:3], v[2:3], off
	s_add_i32 s0, s6, s12
	v_lshl_or_b32 v1, s0, 9, v0
	v_cmp_gt_i32_e32 vcc, s7, v1
	s_waitcnt vmcnt(0)
	v_mul_f64 v[2:3], v[2:3], v[2:3]
	s_and_saveexec_b64 s[0:1], vcc
	s_cbranch_execz .LBB208_3
; %bb.2:
	v_ashrrev_i32_e32 v4, 31, v1
	v_mul_lo_u32 v6, v1, s3
	v_mul_lo_u32 v7, v4, s2
	v_mad_u64_u32 v[4:5], s[2:3], v1, s2, 0
	v_add3_u32 v5, v5, v6, v7
	v_lshlrev_b64 v[4:5], 3, v[4:5]
	v_mov_b32_e32 v1, s14
	v_add_co_u32_e32 v4, vcc, s13, v4
	v_addc_co_u32_e32 v5, vcc, v1, v5, vcc
	global_load_dwordx2 v[4:5], v[4:5], off
	s_waitcnt vmcnt(0)
	v_fmac_f64_e32 v[2:3], v[4:5], v[4:5]
.LBB208_3:
	s_or_b64 exec, exec, s[0:1]
.LBB208_4:
	s_or_b64 exec, exec, s[10:11]
	v_and_b32_e32 v6, 63, v0
	v_cmp_gt_u32_e32 vcc, 64, v0
	v_lshlrev_b32_e32 v1, 3, v6
	s_and_saveexec_b64 s[0:1], vcc
	s_cbranch_execz .LBB208_6
; %bb.5:
	v_mov_b32_e32 v4, 0
	v_mov_b32_e32 v5, v4
	ds_write_b64 v1, v[4:5]
.LBB208_6:
	s_or_b64 exec, exec, s[0:1]
	v_mbcnt_lo_u32_b32 v4, -1, 0
	v_mbcnt_hi_u32_b32 v9, -1, v4
	v_and_b32_e32 v10, 63, v9
	v_cmp_gt_u32_e64 s[0:1], 32, v10
	v_cndmask_b32_e64 v4, 0, 1, s[0:1]
	v_lshlrev_b32_e32 v4, 5, v4
	v_add_lshl_u32 v5, v4, v9, 2
	ds_bpermute_b32 v4, v5, v2
	ds_bpermute_b32 v5, v5, v3
	v_cmp_gt_u32_e64 s[0:1], 48, v10
	v_cndmask_b32_e64 v7, 0, 1, s[0:1]
	v_cmp_gt_u32_e64 s[0:1], 56, v10
	s_waitcnt lgkmcnt(0)
	v_add_f64 v[2:3], v[2:3], v[4:5]
	v_lshlrev_b32_e32 v4, 4, v7
	v_add_lshl_u32 v5, v4, v9, 2
	ds_bpermute_b32 v4, v5, v2
	ds_bpermute_b32 v5, v5, v3
	s_barrier
	s_waitcnt lgkmcnt(0)
	v_add_f64 v[2:3], v[2:3], v[4:5]
	v_cndmask_b32_e64 v4, 0, 1, s[0:1]
	v_lshlrev_b32_e32 v4, 3, v4
	v_add_lshl_u32 v5, v4, v9, 2
	ds_bpermute_b32 v4, v5, v2
	ds_bpermute_b32 v5, v5, v3
	v_cmp_gt_u32_e64 s[0:1], 60, v10
	s_waitcnt lgkmcnt(0)
	v_add_f64 v[2:3], v[2:3], v[4:5]
	v_cndmask_b32_e64 v4, 0, 1, s[0:1]
	v_lshlrev_b32_e32 v4, 2, v4
	v_add_lshl_u32 v7, v4, v9, 2
	ds_bpermute_b32 v4, v7, v2
	ds_bpermute_b32 v5, v7, v3
	v_cmp_gt_u32_e64 s[0:1], 62, v10
	s_waitcnt lgkmcnt(0)
	v_add_f64 v[2:3], v[2:3], v[4:5]
	v_cndmask_b32_e64 v4, 0, 1, s[0:1]
	v_lshlrev_b32_e32 v4, 1, v4
	v_add_lshl_u32 v8, v4, v9, 2
	ds_bpermute_b32 v4, v8, v2
	ds_bpermute_b32 v5, v8, v3
	v_cmp_ne_u32_e64 s[0:1], 63, v10
	s_waitcnt lgkmcnt(0)
	v_add_f64 v[2:3], v[2:3], v[4:5]
	v_addc_co_u32_e64 v4, s[0:1], 0, v9, s[0:1]
	v_lshlrev_b32_e32 v9, 2, v4
	ds_bpermute_b32 v4, v9, v2
	ds_bpermute_b32 v5, v9, v3
	v_cmp_eq_u32_e64 s[0:1], 0, v6
	s_and_saveexec_b64 s[2:3], s[0:1]
	s_cbranch_execz .LBB208_8
; %bb.7:
	s_waitcnt lgkmcnt(0)
	v_add_f64 v[2:3], v[2:3], v[4:5]
	v_lshrrev_b32_e32 v4, 3, v0
	v_and_b32_e32 v4, 56, v4
	ds_write_b64 v4, v[2:3]
.LBB208_8:
	s_or_b64 exec, exec, s[2:3]
	v_cmp_gt_u32_e64 s[0:1], 8, v0
	v_pk_mov_b32 v[2:3], 0, 0
	s_waitcnt lgkmcnt(0)
	s_barrier
	s_and_saveexec_b64 s[2:3], s[0:1]
	s_cbranch_execnz .LBB208_12
; %bb.9:
	s_or_b64 exec, exec, s[2:3]
	s_and_saveexec_b64 s[0:1], vcc
	s_cbranch_execnz .LBB208_13
.LBB208_10:
	s_or_b64 exec, exec, s[0:1]
	v_cmp_eq_u32_e32 vcc, 0, v0
	s_and_saveexec_b64 s[0:1], vcc
	s_cbranch_execnz .LBB208_14
.LBB208_11:
	s_endpgm
.LBB208_12:
	ds_read_b64 v[2:3], v1
	s_or_b64 exec, exec, s[2:3]
	s_and_saveexec_b64 s[0:1], vcc
	s_cbranch_execz .LBB208_10
.LBB208_13:
	s_waitcnt lgkmcnt(0)
	ds_bpermute_b32 v4, v7, v2
	ds_bpermute_b32 v5, v7, v3
	s_waitcnt lgkmcnt(0)
	v_add_f64 v[2:3], v[2:3], v[4:5]
	ds_bpermute_b32 v4, v8, v2
	ds_bpermute_b32 v5, v8, v3
	s_waitcnt lgkmcnt(0)
	v_add_f64 v[2:3], v[2:3], v[4:5]
	;; [unrolled: 4-line block ×3, first 2 shown]
	s_or_b64 exec, exec, s[0:1]
	v_cmp_eq_u32_e32 vcc, 0, v0
	s_and_saveexec_b64 s[0:1], vcc
	s_cbranch_execz .LBB208_11
.LBB208_14:
	s_cmp_lg_u32 s12, 1
	s_cbranch_scc0 .LBB208_16
; %bb.15:
	s_load_dwordx2 s[0:1], s[4:5], 0x30
	s_mul_hi_u32 s3, s12, s8
	s_mul_i32 s2, s12, s8
	s_lshl_b64 s[2:3], s[2:3], 3
	s_mov_b32 s7, 0
	s_waitcnt lgkmcnt(0)
	s_add_u32 s2, s0, s2
	s_addc_u32 s3, s1, s3
	s_lshl_b64 s[0:1], s[6:7], 3
	s_add_u32 s0, s2, s0
	s_addc_u32 s1, s3, s1
	s_cbranch_execz .LBB208_17
	s_branch .LBB208_18
.LBB208_16:
                                        ; implicit-def: $sgpr0_sgpr1
.LBB208_17:
	s_load_dwordx2 s[0:1], s[4:5], 0x38
	s_lshl_b64 s[2:3], s[8:9], 3
	s_waitcnt lgkmcnt(0)
	s_add_u32 s0, s0, s2
	s_addc_u32 s1, s1, s3
.LBB208_18:
	v_mov_b32_e32 v0, 0
	s_waitcnt lgkmcnt(0)
	global_store_dwordx2 v0, v[2:3], s[0:1]
	s_endpgm
	.section	.rodata,"a",@progbits
	.p2align	6, 0x0
	.amdhsa_kernel _ZL24rocblas_dot_kernel_magsqIlLb0ELi512ELi2ELb0EdPKPKddEviT5_lT_liPT6_PT4_
		.amdhsa_group_segment_fixed_size 512
		.amdhsa_private_segment_fixed_size 0
		.amdhsa_kernarg_size 320
		.amdhsa_user_sgpr_count 6
		.amdhsa_user_sgpr_private_segment_buffer 1
		.amdhsa_user_sgpr_dispatch_ptr 0
		.amdhsa_user_sgpr_queue_ptr 0
		.amdhsa_user_sgpr_kernarg_segment_ptr 1
		.amdhsa_user_sgpr_dispatch_id 0
		.amdhsa_user_sgpr_flat_scratch_init 0
		.amdhsa_user_sgpr_kernarg_preload_length 0
		.amdhsa_user_sgpr_kernarg_preload_offset 0
		.amdhsa_user_sgpr_private_segment_size 0
		.amdhsa_uses_dynamic_stack 0
		.amdhsa_system_sgpr_private_segment_wavefront_offset 0
		.amdhsa_system_sgpr_workgroup_id_x 1
		.amdhsa_system_sgpr_workgroup_id_y 0
		.amdhsa_system_sgpr_workgroup_id_z 1
		.amdhsa_system_sgpr_workgroup_info 0
		.amdhsa_system_vgpr_workitem_id 0
		.amdhsa_next_free_vgpr 11
		.amdhsa_next_free_sgpr 18
		.amdhsa_accum_offset 12
		.amdhsa_reserve_vcc 1
		.amdhsa_reserve_flat_scratch 0
		.amdhsa_float_round_mode_32 0
		.amdhsa_float_round_mode_16_64 0
		.amdhsa_float_denorm_mode_32 3
		.amdhsa_float_denorm_mode_16_64 3
		.amdhsa_dx10_clamp 1
		.amdhsa_ieee_mode 1
		.amdhsa_fp16_overflow 0
		.amdhsa_tg_split 0
		.amdhsa_exception_fp_ieee_invalid_op 0
		.amdhsa_exception_fp_denorm_src 0
		.amdhsa_exception_fp_ieee_div_zero 0
		.amdhsa_exception_fp_ieee_overflow 0
		.amdhsa_exception_fp_ieee_underflow 0
		.amdhsa_exception_fp_ieee_inexact 0
		.amdhsa_exception_int_div_zero 0
	.end_amdhsa_kernel
	.section	.text._ZL24rocblas_dot_kernel_magsqIlLb0ELi512ELi2ELb0EdPKPKddEviT5_lT_liPT6_PT4_,"axG",@progbits,_ZL24rocblas_dot_kernel_magsqIlLb0ELi512ELi2ELb0EdPKPKddEviT5_lT_liPT6_PT4_,comdat
.Lfunc_end208:
	.size	_ZL24rocblas_dot_kernel_magsqIlLb0ELi512ELi2ELb0EdPKPKddEviT5_lT_liPT6_PT4_, .Lfunc_end208-_ZL24rocblas_dot_kernel_magsqIlLb0ELi512ELi2ELb0EdPKPKddEviT5_lT_liPT6_PT4_
                                        ; -- End function
	.section	.AMDGPU.csdata,"",@progbits
; Kernel info:
; codeLenInByte = 1016
; NumSgprs: 22
; NumVgprs: 11
; NumAgprs: 0
; TotalNumVgprs: 11
; ScratchSize: 0
; MemoryBound: 0
; FloatMode: 240
; IeeeMode: 1
; LDSByteSize: 512 bytes/workgroup (compile time only)
; SGPRBlocks: 2
; VGPRBlocks: 1
; NumSGPRsForWavesPerEU: 22
; NumVGPRsForWavesPerEU: 11
; AccumOffset: 12
; Occupancy: 8
; WaveLimiterHint : 1
; COMPUTE_PGM_RSRC2:SCRATCH_EN: 0
; COMPUTE_PGM_RSRC2:USER_SGPR: 6
; COMPUTE_PGM_RSRC2:TRAP_HANDLER: 0
; COMPUTE_PGM_RSRC2:TGID_X_EN: 1
; COMPUTE_PGM_RSRC2:TGID_Y_EN: 0
; COMPUTE_PGM_RSRC2:TGID_Z_EN: 1
; COMPUTE_PGM_RSRC2:TIDIG_COMP_CNT: 0
; COMPUTE_PGM_RSRC3_GFX90A:ACCUM_OFFSET: 2
; COMPUTE_PGM_RSRC3_GFX90A:TG_SPLIT: 0
	.section	.text._ZL28rocblas_dot_batched_4_kernelIiLi32ELi4ELb0E19rocblas_complex_numIfES1_PKPKS1_EviT5_lT_lS6_lS7_liPT4_,"axG",@progbits,_ZL28rocblas_dot_batched_4_kernelIiLi32ELi4ELb0E19rocblas_complex_numIfES1_PKPKS1_EviT5_lT_lS6_lS7_liPT4_,comdat
	.globl	_ZL28rocblas_dot_batched_4_kernelIiLi32ELi4ELb0E19rocblas_complex_numIfES1_PKPKS1_EviT5_lT_lS6_lS7_liPT4_ ; -- Begin function _ZL28rocblas_dot_batched_4_kernelIiLi32ELi4ELb0E19rocblas_complex_numIfES1_PKPKS1_EviT5_lT_lS6_lS7_liPT4_
	.p2align	8
	.type	_ZL28rocblas_dot_batched_4_kernelIiLi32ELi4ELb0E19rocblas_complex_numIfES1_PKPKS1_EviT5_lT_lS6_lS7_liPT4_,@function
_ZL28rocblas_dot_batched_4_kernelIiLi32ELi4ELb0E19rocblas_complex_numIfES1_PKPKS1_EviT5_lT_lS6_lS7_liPT4_: ; @_ZL28rocblas_dot_batched_4_kernelIiLi32ELi4ELb0E19rocblas_complex_numIfES1_PKPKS1_EviT5_lT_lS6_lS7_liPT4_
; %bb.0:
	s_load_dword s0, s[4:5], 0x48
	v_bfe_u32 v1, v0, 10, 10
	v_lshl_add_u32 v2, s6, 2, v1
	s_waitcnt lgkmcnt(0)
	v_cmp_gt_u32_e32 vcc, s0, v2
	s_and_saveexec_b64 s[0:1], vcc
	s_cbranch_execz .LBB209_7
; %bb.1:
	s_load_dword s14, s[4:5], 0x0
	s_load_dwordx2 s[6:7], s[4:5], 0x50
	v_mov_b32_e32 v3, 0
	v_and_b32_e32 v8, 0x3ff, v0
	v_lshlrev_b64 v[0:1], 3, v[2:3]
	s_waitcnt lgkmcnt(0)
	v_cmp_gt_i32_e32 vcc, s14, v8
	v_mov_b32_e32 v2, v3
	s_and_saveexec_b64 s[12:13], vcc
	s_cbranch_execz .LBB209_5
; %bb.2:
	s_load_dwordx4 s[0:3], s[4:5], 0x8
	s_load_dwordx4 s[8:11], s[4:5], 0x28
	s_load_dword s16, s[4:5], 0x18
	v_mov_b32_e32 v9, v8
	s_load_dword s4, s[4:5], 0x38
	s_waitcnt lgkmcnt(0)
	v_mov_b32_e32 v3, s1
	v_add_co_u32_e32 v2, vcc, s0, v0
	v_addc_co_u32_e32 v3, vcc, v3, v1, vcc
	global_load_dwordx2 v[4:5], v[2:3], off
	v_mov_b32_e32 v3, s9
	v_add_co_u32_e32 v2, vcc, s8, v0
	v_addc_co_u32_e32 v3, vcc, v3, v1, vcc
	global_load_dwordx2 v[6:7], v[2:3], off
	v_mad_i64_i32 v[10:11], s[8:9], s16, v8, 0
	s_lshl_b64 s[8:9], s[2:3], 3
	v_lshlrev_b64 v[10:11], 3, v[10:11]
	v_mad_i64_i32 v[12:13], s[2:3], s4, v8, 0
	v_mov_b32_e32 v3, s9
	v_add_co_u32_e32 v15, vcc, s8, v10
	s_lshl_b64 s[10:11], s[10:11], 3
	v_lshlrev_b64 v[12:13], 3, v[12:13]
	v_addc_co_u32_e32 v3, vcc, v11, v3, vcc
	v_mov_b32_e32 v14, s11
	v_add_co_u32_e32 v12, vcc, s10, v12
	v_addc_co_u32_e32 v13, vcc, v13, v14, vcc
	s_ashr_i32 s17, s16, 31
	s_ashr_i32 s5, s4, 31
	v_mov_b32_e32 v2, 0
	s_lshl_b64 s[2:3], s[16:17], 8
	s_lshl_b64 s[4:5], s[4:5], 8
	s_mov_b64 s[0:1], 0
	v_mov_b32_e32 v10, s3
	v_mov_b32_e32 v11, s5
	s_waitcnt vmcnt(1)
	v_add_co_u32_e32 v4, vcc, v4, v15
	v_addc_co_u32_e32 v5, vcc, v5, v3, vcc
	s_waitcnt vmcnt(0)
	v_add_co_u32_e32 v3, vcc, v12, v6
	v_addc_co_u32_e32 v7, vcc, v13, v7, vcc
	v_add_co_u32_e32 v6, vcc, 4, v3
	v_addc_co_u32_e32 v7, vcc, 0, v7, vcc
	v_mov_b32_e32 v3, v2
.LBB209_3:                              ; =>This Inner Loop Header: Depth=1
	global_load_dwordx2 v[12:13], v[6:7], off offset:-4
	global_load_dwordx2 v[14:15], v[4:5], off
	v_add_co_u32_e32 v4, vcc, s2, v4
	v_addc_co_u32_e32 v5, vcc, v5, v10, vcc
	v_add_co_u32_e32 v6, vcc, s4, v6
	v_add_u32_e32 v9, 32, v9
	v_addc_co_u32_e32 v7, vcc, v7, v11, vcc
	v_cmp_le_i32_e32 vcc, s14, v9
	s_or_b64 s[0:1], vcc, s[0:1]
	s_waitcnt vmcnt(0)
	v_pk_mul_f32 v[16:17], v[14:15], v[12:13] op_sel:[0,1]
	v_pk_fma_f32 v[18:19], v[14:15], v[12:13], v[16:17] op_sel:[0,0,1] op_sel_hi:[1,1,0] neg_lo:[0,0,1] neg_hi:[0,0,1]
	v_pk_fma_f32 v[12:13], v[14:15], v[12:13], v[16:17] op_sel:[0,0,1] op_sel_hi:[1,0,0]
	v_mov_b32_e32 v19, v13
	v_pk_add_f32 v[2:3], v[2:3], v[18:19]
	s_andn2_b64 exec, exec, s[0:1]
	s_cbranch_execnz .LBB209_3
; %bb.4:
	s_or_b64 exec, exec, s[0:1]
.LBB209_5:
	s_or_b64 exec, exec, s[12:13]
	v_mbcnt_lo_u32_b32 v4, -1, 0
	v_mbcnt_hi_u32_b32 v6, -1, v4
	v_and_b32_e32 v7, 63, v6
	v_cmp_gt_u32_e32 vcc, 48, v7
	v_cndmask_b32_e64 v4, 0, 1, vcc
	v_lshlrev_b32_e32 v4, 4, v4
	v_add_lshl_u32 v5, v4, v6, 2
	ds_bpermute_b32 v4, v5, v2
	ds_bpermute_b32 v5, v5, v3
	v_cmp_gt_u32_e32 vcc, 56, v7
	v_cndmask_b32_e64 v9, 0, 1, vcc
	v_lshlrev_b32_e32 v9, 3, v9
	v_add_lshl_u32 v9, v9, v6, 2
	s_waitcnt lgkmcnt(0)
	v_pk_add_f32 v[2:3], v[2:3], v[4:5]
	ds_bpermute_b32 v4, v9, v2
	ds_bpermute_b32 v5, v9, v3
	v_cmp_gt_u32_e32 vcc, 60, v7
	v_cndmask_b32_e64 v9, 0, 1, vcc
	v_lshlrev_b32_e32 v9, 2, v9
	v_add_lshl_u32 v9, v9, v6, 2
	s_waitcnt lgkmcnt(0)
	v_pk_add_f32 v[2:3], v[2:3], v[4:5]
	;; [unrolled: 8-line block ×3, first 2 shown]
	ds_bpermute_b32 v4, v9, v2
	ds_bpermute_b32 v5, v9, v3
	v_cmp_ne_u32_e32 vcc, 63, v7
	s_waitcnt lgkmcnt(0)
	s_barrier
	v_pk_add_f32 v[2:3], v[2:3], v[4:5]
	v_addc_co_u32_e32 v4, vcc, 0, v6, vcc
	v_lshlrev_b32_e32 v5, 2, v4
	ds_bpermute_b32 v4, v5, v2
	ds_bpermute_b32 v5, v5, v3
	v_cmp_eq_u32_e32 vcc, 0, v8
	s_and_b64 exec, exec, vcc
	s_cbranch_execz .LBB209_7
; %bb.6:
	v_mov_b32_e32 v6, s7
	v_add_co_u32_e32 v0, vcc, s6, v0
	v_addc_co_u32_e32 v1, vcc, v6, v1, vcc
	s_waitcnt lgkmcnt(0)
	v_pk_add_f32 v[2:3], v[2:3], v[4:5]
	global_store_dwordx2 v[0:1], v[2:3], off
.LBB209_7:
	s_endpgm
	.section	.rodata,"a",@progbits
	.p2align	6, 0x0
	.amdhsa_kernel _ZL28rocblas_dot_batched_4_kernelIiLi32ELi4ELb0E19rocblas_complex_numIfES1_PKPKS1_EviT5_lT_lS6_lS7_liPT4_
		.amdhsa_group_segment_fixed_size 0
		.amdhsa_private_segment_fixed_size 0
		.amdhsa_kernarg_size 88
		.amdhsa_user_sgpr_count 6
		.amdhsa_user_sgpr_private_segment_buffer 1
		.amdhsa_user_sgpr_dispatch_ptr 0
		.amdhsa_user_sgpr_queue_ptr 0
		.amdhsa_user_sgpr_kernarg_segment_ptr 1
		.amdhsa_user_sgpr_dispatch_id 0
		.amdhsa_user_sgpr_flat_scratch_init 0
		.amdhsa_user_sgpr_kernarg_preload_length 0
		.amdhsa_user_sgpr_kernarg_preload_offset 0
		.amdhsa_user_sgpr_private_segment_size 0
		.amdhsa_uses_dynamic_stack 0
		.amdhsa_system_sgpr_private_segment_wavefront_offset 0
		.amdhsa_system_sgpr_workgroup_id_x 1
		.amdhsa_system_sgpr_workgroup_id_y 0
		.amdhsa_system_sgpr_workgroup_id_z 0
		.amdhsa_system_sgpr_workgroup_info 0
		.amdhsa_system_vgpr_workitem_id 1
		.amdhsa_next_free_vgpr 20
		.amdhsa_next_free_sgpr 18
		.amdhsa_accum_offset 20
		.amdhsa_reserve_vcc 1
		.amdhsa_reserve_flat_scratch 0
		.amdhsa_float_round_mode_32 0
		.amdhsa_float_round_mode_16_64 0
		.amdhsa_float_denorm_mode_32 3
		.amdhsa_float_denorm_mode_16_64 3
		.amdhsa_dx10_clamp 1
		.amdhsa_ieee_mode 1
		.amdhsa_fp16_overflow 0
		.amdhsa_tg_split 0
		.amdhsa_exception_fp_ieee_invalid_op 0
		.amdhsa_exception_fp_denorm_src 0
		.amdhsa_exception_fp_ieee_div_zero 0
		.amdhsa_exception_fp_ieee_overflow 0
		.amdhsa_exception_fp_ieee_underflow 0
		.amdhsa_exception_fp_ieee_inexact 0
		.amdhsa_exception_int_div_zero 0
	.end_amdhsa_kernel
	.section	.text._ZL28rocblas_dot_batched_4_kernelIiLi32ELi4ELb0E19rocblas_complex_numIfES1_PKPKS1_EviT5_lT_lS6_lS7_liPT4_,"axG",@progbits,_ZL28rocblas_dot_batched_4_kernelIiLi32ELi4ELb0E19rocblas_complex_numIfES1_PKPKS1_EviT5_lT_lS6_lS7_liPT4_,comdat
.Lfunc_end209:
	.size	_ZL28rocblas_dot_batched_4_kernelIiLi32ELi4ELb0E19rocblas_complex_numIfES1_PKPKS1_EviT5_lT_lS6_lS7_liPT4_, .Lfunc_end209-_ZL28rocblas_dot_batched_4_kernelIiLi32ELi4ELb0E19rocblas_complex_numIfES1_PKPKS1_EviT5_lT_lS6_lS7_liPT4_
                                        ; -- End function
	.section	.AMDGPU.csdata,"",@progbits
; Kernel info:
; codeLenInByte = 716
; NumSgprs: 22
; NumVgprs: 20
; NumAgprs: 0
; TotalNumVgprs: 20
; ScratchSize: 0
; MemoryBound: 0
; FloatMode: 240
; IeeeMode: 1
; LDSByteSize: 0 bytes/workgroup (compile time only)
; SGPRBlocks: 2
; VGPRBlocks: 2
; NumSGPRsForWavesPerEU: 22
; NumVGPRsForWavesPerEU: 20
; AccumOffset: 20
; Occupancy: 8
; WaveLimiterHint : 0
; COMPUTE_PGM_RSRC2:SCRATCH_EN: 0
; COMPUTE_PGM_RSRC2:USER_SGPR: 6
; COMPUTE_PGM_RSRC2:TRAP_HANDLER: 0
; COMPUTE_PGM_RSRC2:TGID_X_EN: 1
; COMPUTE_PGM_RSRC2:TGID_Y_EN: 0
; COMPUTE_PGM_RSRC2:TGID_Z_EN: 0
; COMPUTE_PGM_RSRC2:TIDIG_COMP_CNT: 1
; COMPUTE_PGM_RSRC3_GFX90A:ACCUM_OFFSET: 4
; COMPUTE_PGM_RSRC3_GFX90A:TG_SPLIT: 0
	.section	.text._ZL28rocblas_dot_batched_4_kernelIiLi64ELi4ELb0E19rocblas_complex_numIfES1_PKPKS1_EviT5_lT_lS6_lS7_liPT4_,"axG",@progbits,_ZL28rocblas_dot_batched_4_kernelIiLi64ELi4ELb0E19rocblas_complex_numIfES1_PKPKS1_EviT5_lT_lS6_lS7_liPT4_,comdat
	.globl	_ZL28rocblas_dot_batched_4_kernelIiLi64ELi4ELb0E19rocblas_complex_numIfES1_PKPKS1_EviT5_lT_lS6_lS7_liPT4_ ; -- Begin function _ZL28rocblas_dot_batched_4_kernelIiLi64ELi4ELb0E19rocblas_complex_numIfES1_PKPKS1_EviT5_lT_lS6_lS7_liPT4_
	.p2align	8
	.type	_ZL28rocblas_dot_batched_4_kernelIiLi64ELi4ELb0E19rocblas_complex_numIfES1_PKPKS1_EviT5_lT_lS6_lS7_liPT4_,@function
_ZL28rocblas_dot_batched_4_kernelIiLi64ELi4ELb0E19rocblas_complex_numIfES1_PKPKS1_EviT5_lT_lS6_lS7_liPT4_: ; @_ZL28rocblas_dot_batched_4_kernelIiLi64ELi4ELb0E19rocblas_complex_numIfES1_PKPKS1_EviT5_lT_lS6_lS7_liPT4_
; %bb.0:
	s_load_dword s0, s[4:5], 0x48
	v_bfe_u32 v1, v0, 10, 10
	v_lshl_add_u32 v2, s6, 2, v1
	s_waitcnt lgkmcnt(0)
	v_cmp_gt_u32_e32 vcc, s0, v2
	s_and_saveexec_b64 s[0:1], vcc
	s_cbranch_execz .LBB210_7
; %bb.1:
	s_load_dword s14, s[4:5], 0x0
	s_load_dwordx2 s[6:7], s[4:5], 0x50
	v_mov_b32_e32 v3, 0
	v_and_b32_e32 v8, 0x3ff, v0
	v_lshlrev_b64 v[0:1], 3, v[2:3]
	s_waitcnt lgkmcnt(0)
	v_cmp_gt_i32_e32 vcc, s14, v8
	v_mov_b32_e32 v2, v3
	s_and_saveexec_b64 s[12:13], vcc
	s_cbranch_execz .LBB210_5
; %bb.2:
	s_load_dwordx4 s[0:3], s[4:5], 0x8
	s_load_dwordx4 s[8:11], s[4:5], 0x28
	s_load_dword s16, s[4:5], 0x18
	v_mov_b32_e32 v9, v8
	s_load_dword s4, s[4:5], 0x38
	s_waitcnt lgkmcnt(0)
	v_mov_b32_e32 v3, s1
	v_add_co_u32_e32 v2, vcc, s0, v0
	v_addc_co_u32_e32 v3, vcc, v3, v1, vcc
	global_load_dwordx2 v[4:5], v[2:3], off
	v_mov_b32_e32 v3, s9
	v_add_co_u32_e32 v2, vcc, s8, v0
	v_addc_co_u32_e32 v3, vcc, v3, v1, vcc
	global_load_dwordx2 v[6:7], v[2:3], off
	v_mad_i64_i32 v[10:11], s[8:9], s16, v8, 0
	s_lshl_b64 s[8:9], s[2:3], 3
	v_lshlrev_b64 v[10:11], 3, v[10:11]
	v_mad_i64_i32 v[12:13], s[2:3], s4, v8, 0
	v_mov_b32_e32 v3, s9
	v_add_co_u32_e32 v15, vcc, s8, v10
	s_lshl_b64 s[10:11], s[10:11], 3
	v_lshlrev_b64 v[12:13], 3, v[12:13]
	v_addc_co_u32_e32 v3, vcc, v11, v3, vcc
	v_mov_b32_e32 v14, s11
	v_add_co_u32_e32 v12, vcc, s10, v12
	v_addc_co_u32_e32 v13, vcc, v13, v14, vcc
	s_ashr_i32 s17, s16, 31
	s_ashr_i32 s5, s4, 31
	v_mov_b32_e32 v2, 0
	s_lshl_b64 s[2:3], s[16:17], 9
	s_lshl_b64 s[4:5], s[4:5], 9
	s_mov_b64 s[0:1], 0
	v_mov_b32_e32 v10, s3
	v_mov_b32_e32 v11, s5
	s_waitcnt vmcnt(1)
	v_add_co_u32_e32 v4, vcc, v4, v15
	v_addc_co_u32_e32 v5, vcc, v5, v3, vcc
	s_waitcnt vmcnt(0)
	v_add_co_u32_e32 v3, vcc, v12, v6
	v_addc_co_u32_e32 v7, vcc, v13, v7, vcc
	v_add_co_u32_e32 v6, vcc, 4, v3
	v_addc_co_u32_e32 v7, vcc, 0, v7, vcc
	v_mov_b32_e32 v3, v2
.LBB210_3:                              ; =>This Inner Loop Header: Depth=1
	global_load_dwordx2 v[12:13], v[6:7], off offset:-4
	global_load_dwordx2 v[14:15], v[4:5], off
	v_add_co_u32_e32 v4, vcc, s2, v4
	v_addc_co_u32_e32 v5, vcc, v5, v10, vcc
	v_add_co_u32_e32 v6, vcc, s4, v6
	v_add_u32_e32 v9, 64, v9
	v_addc_co_u32_e32 v7, vcc, v7, v11, vcc
	v_cmp_le_i32_e32 vcc, s14, v9
	s_or_b64 s[0:1], vcc, s[0:1]
	s_waitcnt vmcnt(0)
	v_pk_mul_f32 v[16:17], v[14:15], v[12:13] op_sel:[0,1]
	v_pk_fma_f32 v[18:19], v[14:15], v[12:13], v[16:17] op_sel:[0,0,1] op_sel_hi:[1,1,0] neg_lo:[0,0,1] neg_hi:[0,0,1]
	v_pk_fma_f32 v[12:13], v[14:15], v[12:13], v[16:17] op_sel:[0,0,1] op_sel_hi:[1,0,0]
	v_mov_b32_e32 v19, v13
	v_pk_add_f32 v[2:3], v[2:3], v[18:19]
	s_andn2_b64 exec, exec, s[0:1]
	s_cbranch_execnz .LBB210_3
; %bb.4:
	s_or_b64 exec, exec, s[0:1]
.LBB210_5:
	s_or_b64 exec, exec, s[12:13]
	v_mbcnt_lo_u32_b32 v4, -1, 0
	v_mbcnt_hi_u32_b32 v6, -1, v4
	v_and_b32_e32 v7, 63, v6
	v_cmp_gt_u32_e32 vcc, 32, v7
	v_cndmask_b32_e64 v4, 0, 1, vcc
	v_lshlrev_b32_e32 v4, 5, v4
	v_add_lshl_u32 v5, v4, v6, 2
	ds_bpermute_b32 v4, v5, v2
	ds_bpermute_b32 v5, v5, v3
	v_cmp_gt_u32_e32 vcc, 48, v7
	v_cndmask_b32_e64 v9, 0, 1, vcc
	v_lshlrev_b32_e32 v9, 4, v9
	v_add_lshl_u32 v9, v9, v6, 2
	s_waitcnt lgkmcnt(0)
	v_pk_add_f32 v[2:3], v[2:3], v[4:5]
	ds_bpermute_b32 v4, v9, v2
	ds_bpermute_b32 v5, v9, v3
	v_cmp_gt_u32_e32 vcc, 56, v7
	v_cndmask_b32_e64 v9, 0, 1, vcc
	v_lshlrev_b32_e32 v9, 3, v9
	v_add_lshl_u32 v9, v9, v6, 2
	s_waitcnt lgkmcnt(0)
	v_pk_add_f32 v[2:3], v[2:3], v[4:5]
	;; [unrolled: 8-line block ×4, first 2 shown]
	ds_bpermute_b32 v4, v9, v2
	ds_bpermute_b32 v5, v9, v3
	v_cmp_ne_u32_e32 vcc, 63, v7
	s_waitcnt lgkmcnt(0)
	s_barrier
	v_pk_add_f32 v[2:3], v[2:3], v[4:5]
	v_addc_co_u32_e32 v4, vcc, 0, v6, vcc
	v_lshlrev_b32_e32 v5, 2, v4
	ds_bpermute_b32 v4, v5, v2
	ds_bpermute_b32 v5, v5, v3
	v_cmp_eq_u32_e32 vcc, 0, v8
	s_and_b64 exec, exec, vcc
	s_cbranch_execz .LBB210_7
; %bb.6:
	v_mov_b32_e32 v6, s7
	v_add_co_u32_e32 v0, vcc, s6, v0
	v_addc_co_u32_e32 v1, vcc, v6, v1, vcc
	s_waitcnt lgkmcnt(0)
	v_pk_add_f32 v[2:3], v[2:3], v[4:5]
	global_store_dwordx2 v[0:1], v[2:3], off
.LBB210_7:
	s_endpgm
	.section	.rodata,"a",@progbits
	.p2align	6, 0x0
	.amdhsa_kernel _ZL28rocblas_dot_batched_4_kernelIiLi64ELi4ELb0E19rocblas_complex_numIfES1_PKPKS1_EviT5_lT_lS6_lS7_liPT4_
		.amdhsa_group_segment_fixed_size 0
		.amdhsa_private_segment_fixed_size 0
		.amdhsa_kernarg_size 88
		.amdhsa_user_sgpr_count 6
		.amdhsa_user_sgpr_private_segment_buffer 1
		.amdhsa_user_sgpr_dispatch_ptr 0
		.amdhsa_user_sgpr_queue_ptr 0
		.amdhsa_user_sgpr_kernarg_segment_ptr 1
		.amdhsa_user_sgpr_dispatch_id 0
		.amdhsa_user_sgpr_flat_scratch_init 0
		.amdhsa_user_sgpr_kernarg_preload_length 0
		.amdhsa_user_sgpr_kernarg_preload_offset 0
		.amdhsa_user_sgpr_private_segment_size 0
		.amdhsa_uses_dynamic_stack 0
		.amdhsa_system_sgpr_private_segment_wavefront_offset 0
		.amdhsa_system_sgpr_workgroup_id_x 1
		.amdhsa_system_sgpr_workgroup_id_y 0
		.amdhsa_system_sgpr_workgroup_id_z 0
		.amdhsa_system_sgpr_workgroup_info 0
		.amdhsa_system_vgpr_workitem_id 1
		.amdhsa_next_free_vgpr 20
		.amdhsa_next_free_sgpr 18
		.amdhsa_accum_offset 20
		.amdhsa_reserve_vcc 1
		.amdhsa_reserve_flat_scratch 0
		.amdhsa_float_round_mode_32 0
		.amdhsa_float_round_mode_16_64 0
		.amdhsa_float_denorm_mode_32 3
		.amdhsa_float_denorm_mode_16_64 3
		.amdhsa_dx10_clamp 1
		.amdhsa_ieee_mode 1
		.amdhsa_fp16_overflow 0
		.amdhsa_tg_split 0
		.amdhsa_exception_fp_ieee_invalid_op 0
		.amdhsa_exception_fp_denorm_src 0
		.amdhsa_exception_fp_ieee_div_zero 0
		.amdhsa_exception_fp_ieee_overflow 0
		.amdhsa_exception_fp_ieee_underflow 0
		.amdhsa_exception_fp_ieee_inexact 0
		.amdhsa_exception_int_div_zero 0
	.end_amdhsa_kernel
	.section	.text._ZL28rocblas_dot_batched_4_kernelIiLi64ELi4ELb0E19rocblas_complex_numIfES1_PKPKS1_EviT5_lT_lS6_lS7_liPT4_,"axG",@progbits,_ZL28rocblas_dot_batched_4_kernelIiLi64ELi4ELb0E19rocblas_complex_numIfES1_PKPKS1_EviT5_lT_lS6_lS7_liPT4_,comdat
.Lfunc_end210:
	.size	_ZL28rocblas_dot_batched_4_kernelIiLi64ELi4ELb0E19rocblas_complex_numIfES1_PKPKS1_EviT5_lT_lS6_lS7_liPT4_, .Lfunc_end210-_ZL28rocblas_dot_batched_4_kernelIiLi64ELi4ELb0E19rocblas_complex_numIfES1_PKPKS1_EviT5_lT_lS6_lS7_liPT4_
                                        ; -- End function
	.section	.AMDGPU.csdata,"",@progbits
; Kernel info:
; codeLenInByte = 768
; NumSgprs: 22
; NumVgprs: 20
; NumAgprs: 0
; TotalNumVgprs: 20
; ScratchSize: 0
; MemoryBound: 0
; FloatMode: 240
; IeeeMode: 1
; LDSByteSize: 0 bytes/workgroup (compile time only)
; SGPRBlocks: 2
; VGPRBlocks: 2
; NumSGPRsForWavesPerEU: 22
; NumVGPRsForWavesPerEU: 20
; AccumOffset: 20
; Occupancy: 8
; WaveLimiterHint : 0
; COMPUTE_PGM_RSRC2:SCRATCH_EN: 0
; COMPUTE_PGM_RSRC2:USER_SGPR: 6
; COMPUTE_PGM_RSRC2:TRAP_HANDLER: 0
; COMPUTE_PGM_RSRC2:TGID_X_EN: 1
; COMPUTE_PGM_RSRC2:TGID_Y_EN: 0
; COMPUTE_PGM_RSRC2:TGID_Z_EN: 0
; COMPUTE_PGM_RSRC2:TIDIG_COMP_CNT: 1
; COMPUTE_PGM_RSRC3_GFX90A:ACCUM_OFFSET: 4
; COMPUTE_PGM_RSRC3_GFX90A:TG_SPLIT: 0
	.section	.text._ZL26rocblas_dot_kernel_inc1by2ILb1ELi1024ELi32ELb0E19rocblas_complex_numIfEPKPKS1_S1_EviT4_llS6_lliPT5_PT3_,"axG",@progbits,_ZL26rocblas_dot_kernel_inc1by2ILb1ELi1024ELi32ELb0E19rocblas_complex_numIfEPKPKS1_S1_EviT4_llS6_lliPT5_PT3_,comdat
	.globl	_ZL26rocblas_dot_kernel_inc1by2ILb1ELi1024ELi32ELb0E19rocblas_complex_numIfEPKPKS1_S1_EviT4_llS6_lliPT5_PT3_ ; -- Begin function _ZL26rocblas_dot_kernel_inc1by2ILb1ELi1024ELi32ELb0E19rocblas_complex_numIfEPKPKS1_S1_EviT4_llS6_lliPT5_PT3_
	.p2align	8
	.type	_ZL26rocblas_dot_kernel_inc1by2ILb1ELi1024ELi32ELb0E19rocblas_complex_numIfEPKPKS1_S1_EviT4_llS6_lliPT5_PT3_,@function
_ZL26rocblas_dot_kernel_inc1by2ILb1ELi1024ELi32ELb0E19rocblas_complex_numIfEPKPKS1_S1_EviT4_llS6_lliPT5_PT3_: ; @_ZL26rocblas_dot_kernel_inc1by2ILb1ELi1024ELi32ELb0E19rocblas_complex_numIfEPKPKS1_S1_EviT4_llS6_lliPT5_PT3_
; %bb.0:
	s_mov_b32 s2, s7
	s_load_dword s10, s[4:5], 0x0
	s_load_dwordx2 s[6:7], s[4:5], 0x48
	v_mov_b32_e32 v3, 0
	s_mov_b32 s3, 0
	v_mov_b32_e32 v2, v3
	s_waitcnt lgkmcnt(0)
	v_cmp_gt_i32_e32 vcc, s10, v0
	s_and_saveexec_b64 s[8:9], vcc
	s_cbranch_execz .LBB211_4
; %bb.1:
	s_load_dwordx4 s[12:15], s[4:5], 0x8
	s_load_dwordx4 s[16:19], s[4:5], 0x20
	s_lshl_b64 s[0:1], s[2:3], 3
	v_lshlrev_b32_e32 v2, 3, v0
	v_or_b32_e32 v1, 0x400, v0
	s_waitcnt lgkmcnt(0)
	s_add_u32 s4, s12, s0
	s_addc_u32 s5, s13, s1
	s_add_u32 s0, s16, s0
	s_addc_u32 s1, s17, s1
	s_load_dwordx2 s[0:1], s[0:1], 0x0
	s_lshl_b64 s[12:13], s[18:19], 3
	s_load_dwordx2 s[4:5], s[4:5], 0x0
	s_mov_b32 s11, s3
	s_waitcnt lgkmcnt(0)
	s_add_u32 s0, s0, s12
	s_addc_u32 s1, s1, s13
	v_mov_b32_e32 v3, s1
	v_add_co_u32_e32 v4, vcc, s0, v2
	s_lshl_b64 s[0:1], s[14:15], 3
	s_add_u32 s0, s4, s0
	v_addc_co_u32_e32 v5, vcc, 0, v3, vcc
	s_addc_u32 s1, s5, s1
	v_mov_b32_e32 v3, s1
	v_add_co_u32_e32 v6, vcc, s0, v2
	v_mov_b32_e32 v2, 0
	v_addc_co_u32_e32 v7, vcc, 0, v3, vcc
	s_mov_b64 s[4:5], 0
	v_mov_b32_e32 v3, v2
.LBB211_2:                              ; =>This Inner Loop Header: Depth=1
	global_load_dwordx2 v[8:9], v[4:5], off
	global_load_dwordx2 v[10:11], v[6:7], off
	s_add_i32 s12, s11, 1
	s_cmp_gt_u32 s11, 30
	v_cmp_le_i32_e64 s[0:1], s10, v1
	v_add_co_u32_e32 v4, vcc, 0x2000, v4
	s_mov_b32 s11, s12
	s_cselect_b64 s[12:13], -1, 0
	v_addc_co_u32_e32 v5, vcc, 0, v5, vcc
	s_or_b64 s[0:1], s[12:13], s[0:1]
	v_add_co_u32_e32 v6, vcc, 0x2000, v6
	s_and_b64 s[0:1], exec, s[0:1]
	v_add_u32_e32 v1, 0x400, v1
	v_addc_co_u32_e32 v7, vcc, 0, v7, vcc
	s_or_b64 s[4:5], s[0:1], s[4:5]
	s_waitcnt vmcnt(0)
	v_pk_mul_f32 v[12:13], v[10:11], v[8:9] op_sel:[0,1]
	v_pk_fma_f32 v[14:15], v[10:11], v[8:9], v[12:13] op_sel:[0,0,1] op_sel_hi:[1,1,0] neg_lo:[0,0,1] neg_hi:[0,0,1]
	v_pk_fma_f32 v[8:9], v[10:11], v[8:9], v[12:13] op_sel:[0,0,1] op_sel_hi:[1,0,0]
	v_mov_b32_e32 v15, v9
	v_pk_add_f32 v[2:3], v[2:3], v[14:15]
	s_andn2_b64 exec, exec, s[4:5]
	s_cbranch_execnz .LBB211_2
; %bb.3:
	s_or_b64 exec, exec, s[4:5]
.LBB211_4:
	s_or_b64 exec, exec, s[8:9]
	v_and_b32_e32 v6, 63, v0
	v_cmp_gt_u32_e32 vcc, 64, v0
	v_lshlrev_b32_e32 v1, 3, v6
	s_and_saveexec_b64 s[0:1], vcc
	s_cbranch_execz .LBB211_6
; %bb.5:
	v_mov_b32_e32 v4, 0
	v_mov_b32_e32 v5, v4
	ds_write_b64 v1, v[4:5]
.LBB211_6:
	s_or_b64 exec, exec, s[0:1]
	v_mbcnt_lo_u32_b32 v4, -1, 0
	v_mbcnt_hi_u32_b32 v10, -1, v4
	v_and_b32_e32 v11, 63, v10
	v_cmp_gt_u32_e64 s[0:1], 32, v11
	v_cndmask_b32_e64 v4, 0, 1, s[0:1]
	v_lshlrev_b32_e32 v4, 5, v4
	v_add_lshl_u32 v5, v4, v10, 2
	ds_bpermute_b32 v4, v5, v2
	ds_bpermute_b32 v5, v5, v3
	v_cmp_gt_u32_e64 s[0:1], 48, v11
	v_cndmask_b32_e64 v7, 0, 1, s[0:1]
	v_lshlrev_b32_e32 v7, 4, v7
	v_add_lshl_u32 v7, v7, v10, 2
	s_waitcnt lgkmcnt(0)
	v_pk_add_f32 v[2:3], v[2:3], v[4:5]
	ds_bpermute_b32 v4, v7, v2
	ds_bpermute_b32 v5, v7, v3
	v_cmp_gt_u32_e64 s[0:1], 56, v11
	v_cndmask_b32_e64 v7, 0, 1, s[0:1]
	v_lshlrev_b32_e32 v7, 3, v7
	v_add_lshl_u32 v7, v7, v10, 2
	s_waitcnt lgkmcnt(0)
	v_pk_add_f32 v[2:3], v[2:3], v[4:5]
	;; [unrolled: 8-line block ×4, first 2 shown]
	ds_bpermute_b32 v4, v9, v2
	ds_bpermute_b32 v5, v9, v3
	v_cmp_ne_u32_e64 s[0:1], 63, v11
	s_waitcnt lgkmcnt(0)
	s_barrier
	v_pk_add_f32 v[2:3], v[2:3], v[4:5]
	v_addc_co_u32_e64 v4, s[0:1], 0, v10, s[0:1]
	v_lshlrev_b32_e32 v10, 2, v4
	ds_bpermute_b32 v4, v10, v2
	ds_bpermute_b32 v5, v10, v3
	v_cmp_eq_u32_e64 s[0:1], 0, v6
	s_and_saveexec_b64 s[4:5], s[0:1]
	s_cbranch_execz .LBB211_8
; %bb.7:
	v_lshrrev_b32_e32 v6, 3, v0
	v_and_b32_e32 v6, 0x78, v6
	s_waitcnt lgkmcnt(0)
	v_pk_add_f32 v[2:3], v[2:3], v[4:5]
	ds_write_b64 v6, v[2:3]
.LBB211_8:
	s_or_b64 exec, exec, s[4:5]
	v_cmp_gt_u32_e64 s[0:1], 16, v0
	v_mov_b32_e32 v2, 0
	v_mov_b32_e32 v3, 0
	s_waitcnt lgkmcnt(0)
	s_barrier
	s_and_saveexec_b64 s[4:5], s[0:1]
	s_cbranch_execnz .LBB211_12
; %bb.9:
	s_or_b64 exec, exec, s[4:5]
	s_and_saveexec_b64 s[0:1], vcc
	s_cbranch_execnz .LBB211_13
.LBB211_10:
	s_or_b64 exec, exec, s[0:1]
	v_cmp_eq_u32_e32 vcc, 0, v0
	s_and_saveexec_b64 s[0:1], vcc
	s_cbranch_execnz .LBB211_14
.LBB211_11:
	s_endpgm
.LBB211_12:
	ds_read_b64 v[2:3], v1
	s_or_b64 exec, exec, s[4:5]
	s_and_saveexec_b64 s[0:1], vcc
	s_cbranch_execz .LBB211_10
.LBB211_13:
	s_waitcnt lgkmcnt(0)
	ds_bpermute_b32 v4, v7, v2
	ds_bpermute_b32 v5, v7, v3
	s_waitcnt lgkmcnt(0)
	v_pk_add_f32 v[2:3], v[2:3], v[4:5]
	ds_bpermute_b32 v4, v8, v2
	ds_bpermute_b32 v5, v8, v3
	s_waitcnt lgkmcnt(0)
	v_pk_add_f32 v[2:3], v[2:3], v[4:5]
	;; [unrolled: 4-line block ×4, first 2 shown]
	s_or_b64 exec, exec, s[0:1]
	v_cmp_eq_u32_e32 vcc, 0, v0
	s_and_saveexec_b64 s[0:1], vcc
	s_cbranch_execz .LBB211_11
.LBB211_14:
	s_lshl_b64 s[0:1], s[2:3], 3
	s_add_u32 s0, s6, s0
	s_addc_u32 s1, s7, s1
	v_mov_b32_e32 v0, 0
	s_waitcnt lgkmcnt(0)
	global_store_dwordx2 v0, v[2:3], s[0:1]
	s_endpgm
	.section	.rodata,"a",@progbits
	.p2align	6, 0x0
	.amdhsa_kernel _ZL26rocblas_dot_kernel_inc1by2ILb1ELi1024ELi32ELb0E19rocblas_complex_numIfEPKPKS1_S1_EviT4_llS6_lliPT5_PT3_
		.amdhsa_group_segment_fixed_size 512
		.amdhsa_private_segment_fixed_size 0
		.amdhsa_kernarg_size 80
		.amdhsa_user_sgpr_count 6
		.amdhsa_user_sgpr_private_segment_buffer 1
		.amdhsa_user_sgpr_dispatch_ptr 0
		.amdhsa_user_sgpr_queue_ptr 0
		.amdhsa_user_sgpr_kernarg_segment_ptr 1
		.amdhsa_user_sgpr_dispatch_id 0
		.amdhsa_user_sgpr_flat_scratch_init 0
		.amdhsa_user_sgpr_kernarg_preload_length 0
		.amdhsa_user_sgpr_kernarg_preload_offset 0
		.amdhsa_user_sgpr_private_segment_size 0
		.amdhsa_uses_dynamic_stack 0
		.amdhsa_system_sgpr_private_segment_wavefront_offset 0
		.amdhsa_system_sgpr_workgroup_id_x 1
		.amdhsa_system_sgpr_workgroup_id_y 0
		.amdhsa_system_sgpr_workgroup_id_z 1
		.amdhsa_system_sgpr_workgroup_info 0
		.amdhsa_system_vgpr_workitem_id 0
		.amdhsa_next_free_vgpr 16
		.amdhsa_next_free_sgpr 20
		.amdhsa_accum_offset 16
		.amdhsa_reserve_vcc 1
		.amdhsa_reserve_flat_scratch 0
		.amdhsa_float_round_mode_32 0
		.amdhsa_float_round_mode_16_64 0
		.amdhsa_float_denorm_mode_32 3
		.amdhsa_float_denorm_mode_16_64 3
		.amdhsa_dx10_clamp 1
		.amdhsa_ieee_mode 1
		.amdhsa_fp16_overflow 0
		.amdhsa_tg_split 0
		.amdhsa_exception_fp_ieee_invalid_op 0
		.amdhsa_exception_fp_denorm_src 0
		.amdhsa_exception_fp_ieee_div_zero 0
		.amdhsa_exception_fp_ieee_overflow 0
		.amdhsa_exception_fp_ieee_underflow 0
		.amdhsa_exception_fp_ieee_inexact 0
		.amdhsa_exception_int_div_zero 0
	.end_amdhsa_kernel
	.section	.text._ZL26rocblas_dot_kernel_inc1by2ILb1ELi1024ELi32ELb0E19rocblas_complex_numIfEPKPKS1_S1_EviT4_llS6_lliPT5_PT3_,"axG",@progbits,_ZL26rocblas_dot_kernel_inc1by2ILb1ELi1024ELi32ELb0E19rocblas_complex_numIfEPKPKS1_S1_EviT4_llS6_lliPT5_PT3_,comdat
.Lfunc_end211:
	.size	_ZL26rocblas_dot_kernel_inc1by2ILb1ELi1024ELi32ELb0E19rocblas_complex_numIfEPKPKS1_S1_EviT4_llS6_lliPT5_PT3_, .Lfunc_end211-_ZL26rocblas_dot_kernel_inc1by2ILb1ELi1024ELi32ELb0E19rocblas_complex_numIfEPKPKS1_S1_EviT4_llS6_lliPT5_PT3_
                                        ; -- End function
	.section	.AMDGPU.csdata,"",@progbits
; Kernel info:
; codeLenInByte = 1004
; NumSgprs: 24
; NumVgprs: 16
; NumAgprs: 0
; TotalNumVgprs: 16
; ScratchSize: 0
; MemoryBound: 0
; FloatMode: 240
; IeeeMode: 1
; LDSByteSize: 512 bytes/workgroup (compile time only)
; SGPRBlocks: 2
; VGPRBlocks: 1
; NumSGPRsForWavesPerEU: 24
; NumVGPRsForWavesPerEU: 16
; AccumOffset: 16
; Occupancy: 8
; WaveLimiterHint : 0
; COMPUTE_PGM_RSRC2:SCRATCH_EN: 0
; COMPUTE_PGM_RSRC2:USER_SGPR: 6
; COMPUTE_PGM_RSRC2:TRAP_HANDLER: 0
; COMPUTE_PGM_RSRC2:TGID_X_EN: 1
; COMPUTE_PGM_RSRC2:TGID_Y_EN: 0
; COMPUTE_PGM_RSRC2:TGID_Z_EN: 1
; COMPUTE_PGM_RSRC2:TIDIG_COMP_CNT: 0
; COMPUTE_PGM_RSRC3_GFX90A:ACCUM_OFFSET: 3
; COMPUTE_PGM_RSRC3_GFX90A:TG_SPLIT: 0
	.section	.text._ZL18rocblas_dot_kernelIiLb1ELi1024ELi32ELb0E19rocblas_complex_numIfEPKPKS1_S1_EviT5_lT_lS6_lS7_liPT6_PT4_,"axG",@progbits,_ZL18rocblas_dot_kernelIiLb1ELi1024ELi32ELb0E19rocblas_complex_numIfEPKPKS1_S1_EviT5_lT_lS6_lS7_liPT6_PT4_,comdat
	.globl	_ZL18rocblas_dot_kernelIiLb1ELi1024ELi32ELb0E19rocblas_complex_numIfEPKPKS1_S1_EviT5_lT_lS6_lS7_liPT6_PT4_ ; -- Begin function _ZL18rocblas_dot_kernelIiLb1ELi1024ELi32ELb0E19rocblas_complex_numIfEPKPKS1_S1_EviT5_lT_lS6_lS7_liPT6_PT4_
	.p2align	8
	.type	_ZL18rocblas_dot_kernelIiLb1ELi1024ELi32ELb0E19rocblas_complex_numIfEPKPKS1_S1_EviT5_lT_lS6_lS7_liPT6_PT4_,@function
_ZL18rocblas_dot_kernelIiLb1ELi1024ELi32ELb0E19rocblas_complex_numIfEPKPKS1_S1_EviT5_lT_lS6_lS7_liPT6_PT4_: ; @_ZL18rocblas_dot_kernelIiLb1ELi1024ELi32ELb0E19rocblas_complex_numIfEPKPKS1_S1_EviT5_lT_lS6_lS7_liPT6_PT4_
; %bb.0:
	s_mov_b32 s2, s7
	s_load_dword s14, s[4:5], 0x0
	s_load_dwordx2 s[6:7], s[4:5], 0x58
	v_mov_b32_e32 v3, 0
	s_mov_b32 s3, 0
	v_mov_b32_e32 v2, v3
	s_waitcnt lgkmcnt(0)
	v_cmp_gt_i32_e32 vcc, s14, v0
	s_and_saveexec_b64 s[8:9], vcc
	s_cbranch_execz .LBB212_4
; %bb.1:
	s_load_dwordx4 s[16:19], s[4:5], 0x8
	s_load_dword s24, s[4:5], 0x18
	s_lshl_b64 s[0:1], s[2:3], 3
	s_load_dwordx4 s[20:23], s[4:5], 0x28
	s_waitcnt lgkmcnt(0)
	s_add_u32 s10, s16, s0
	s_addc_u32 s11, s17, s1
	s_load_dword s16, s[4:5], 0x38
	s_load_dword s15, s[4:5], 0x60
	s_load_dwordx2 s[12:13], s[10:11], 0x0
	s_add_u32 s0, s20, s0
	v_mad_i64_i32 v[2:3], s[4:5], s24, v0, 0
	s_addc_u32 s1, s21, s1
	s_waitcnt lgkmcnt(0)
	s_lshl_b32 s15, s15, 10
	s_lshl_b64 s[4:5], s[18:19], 3
	s_load_dwordx2 s[0:1], s[0:1], 0x0
	s_add_u32 s4, s12, s4
	v_lshlrev_b64 v[2:3], 3, v[2:3]
	s_addc_u32 s5, s13, s5
	v_mov_b32_e32 v5, s5
	v_add_co_u32_e32 v4, vcc, s4, v2
	v_addc_co_u32_e32 v5, vcc, v5, v3, vcc
	s_mul_hi_i32 s5, s24, s15
	s_mul_i32 s4, s24, s15
	v_mad_i64_i32 v[2:3], s[10:11], s16, v0, 0
	s_lshl_b64 s[4:5], s[4:5], 3
	s_lshl_b64 s[10:11], s[22:23], 3
	s_waitcnt lgkmcnt(0)
	s_add_u32 s0, s0, s10
	v_lshlrev_b64 v[2:3], 3, v[2:3]
	s_addc_u32 s1, s1, s11
	v_mov_b32_e32 v7, s1
	v_add_co_u32_e32 v6, vcc, s0, v2
	s_mul_hi_i32 s1, s16, s15
	s_mul_i32 s0, s16, s15
	s_lshl_b64 s[12:13], s[0:1], 3
	v_mov_b32_e32 v2, 0
	v_or_b32_e32 v1, s15, v0
	v_addc_co_u32_e32 v7, vcc, v7, v3, vcc
	s_mov_b64 s[10:11], 0
	v_mov_b32_e32 v8, s5
	v_mov_b32_e32 v9, s13
	s_mov_b32 s5, s3
	v_mov_b32_e32 v3, v2
.LBB212_2:                              ; =>This Inner Loop Header: Depth=1
	global_load_dwordx2 v[10:11], v[6:7], off
	global_load_dwordx2 v[12:13], v[4:5], off
	v_add_co_u32_e64 v4, s[0:1], s4, v4
	v_addc_co_u32_e64 v5, s[0:1], v5, v8, s[0:1]
	s_add_i32 s13, s5, 1
	v_add_co_u32_e64 v6, s[0:1], s12, v6
	v_addc_co_u32_e64 v7, s[0:1], v7, v9, s[0:1]
	s_cmp_gt_u32 s5, 30
	v_cmp_le_i32_e32 vcc, s14, v1
	s_cselect_b64 s[0:1], -1, 0
	s_or_b64 s[0:1], s[0:1], vcc
	s_and_b64 s[0:1], exec, s[0:1]
	v_add_u32_e32 v1, s15, v1
	s_mov_b32 s5, s13
	s_or_b64 s[10:11], s[0:1], s[10:11]
	s_waitcnt vmcnt(0)
	v_pk_mul_f32 v[14:15], v[12:13], v[10:11] op_sel:[0,1]
	v_pk_fma_f32 v[16:17], v[12:13], v[10:11], v[14:15] op_sel:[0,0,1] op_sel_hi:[1,1,0] neg_lo:[0,0,1] neg_hi:[0,0,1]
	v_pk_fma_f32 v[10:11], v[12:13], v[10:11], v[14:15] op_sel:[0,0,1] op_sel_hi:[1,0,0]
	v_mov_b32_e32 v17, v11
	v_pk_add_f32 v[2:3], v[2:3], v[16:17]
	s_andn2_b64 exec, exec, s[10:11]
	s_cbranch_execnz .LBB212_2
; %bb.3:
	s_or_b64 exec, exec, s[10:11]
.LBB212_4:
	s_or_b64 exec, exec, s[8:9]
	v_and_b32_e32 v6, 63, v0
	v_cmp_gt_u32_e32 vcc, 64, v0
	v_lshlrev_b32_e32 v1, 3, v6
	s_and_saveexec_b64 s[0:1], vcc
	s_cbranch_execz .LBB212_6
; %bb.5:
	v_mov_b32_e32 v4, 0
	v_mov_b32_e32 v5, v4
	ds_write_b64 v1, v[4:5]
.LBB212_6:
	s_or_b64 exec, exec, s[0:1]
	v_mbcnt_lo_u32_b32 v4, -1, 0
	v_mbcnt_hi_u32_b32 v10, -1, v4
	v_and_b32_e32 v11, 63, v10
	v_cmp_gt_u32_e64 s[0:1], 32, v11
	v_cndmask_b32_e64 v4, 0, 1, s[0:1]
	v_lshlrev_b32_e32 v4, 5, v4
	v_add_lshl_u32 v5, v4, v10, 2
	ds_bpermute_b32 v4, v5, v2
	ds_bpermute_b32 v5, v5, v3
	v_cmp_gt_u32_e64 s[0:1], 48, v11
	v_cndmask_b32_e64 v7, 0, 1, s[0:1]
	v_lshlrev_b32_e32 v7, 4, v7
	v_add_lshl_u32 v7, v7, v10, 2
	s_waitcnt lgkmcnt(0)
	v_pk_add_f32 v[2:3], v[2:3], v[4:5]
	ds_bpermute_b32 v4, v7, v2
	ds_bpermute_b32 v5, v7, v3
	v_cmp_gt_u32_e64 s[0:1], 56, v11
	v_cndmask_b32_e64 v7, 0, 1, s[0:1]
	v_lshlrev_b32_e32 v7, 3, v7
	v_add_lshl_u32 v7, v7, v10, 2
	s_waitcnt lgkmcnt(0)
	v_pk_add_f32 v[2:3], v[2:3], v[4:5]
	ds_bpermute_b32 v4, v7, v2
	ds_bpermute_b32 v5, v7, v3
	v_cmp_gt_u32_e64 s[0:1], 60, v11
	v_cndmask_b32_e64 v8, 0, 1, s[0:1]
	v_lshlrev_b32_e32 v8, 2, v8
	v_add_lshl_u32 v8, v8, v10, 2
	s_waitcnt lgkmcnt(0)
	v_pk_add_f32 v[2:3], v[2:3], v[4:5]
	ds_bpermute_b32 v4, v8, v2
	ds_bpermute_b32 v5, v8, v3
	v_cmp_gt_u32_e64 s[0:1], 62, v11
	v_cndmask_b32_e64 v9, 0, 1, s[0:1]
	v_lshlrev_b32_e32 v9, 1, v9
	v_add_lshl_u32 v9, v9, v10, 2
	s_waitcnt lgkmcnt(0)
	v_pk_add_f32 v[2:3], v[2:3], v[4:5]
	ds_bpermute_b32 v4, v9, v2
	ds_bpermute_b32 v5, v9, v3
	v_cmp_ne_u32_e64 s[0:1], 63, v11
	s_waitcnt lgkmcnt(0)
	s_barrier
	v_pk_add_f32 v[2:3], v[2:3], v[4:5]
	v_addc_co_u32_e64 v4, s[0:1], 0, v10, s[0:1]
	v_lshlrev_b32_e32 v10, 2, v4
	ds_bpermute_b32 v4, v10, v2
	ds_bpermute_b32 v5, v10, v3
	v_cmp_eq_u32_e64 s[0:1], 0, v6
	s_and_saveexec_b64 s[4:5], s[0:1]
	s_cbranch_execz .LBB212_8
; %bb.7:
	v_lshrrev_b32_e32 v6, 3, v0
	v_and_b32_e32 v6, 0x78, v6
	s_waitcnt lgkmcnt(0)
	v_pk_add_f32 v[2:3], v[2:3], v[4:5]
	ds_write_b64 v6, v[2:3]
.LBB212_8:
	s_or_b64 exec, exec, s[4:5]
	v_cmp_gt_u32_e64 s[0:1], 16, v0
	v_mov_b32_e32 v2, 0
	v_mov_b32_e32 v3, 0
	s_waitcnt lgkmcnt(0)
	s_barrier
	s_and_saveexec_b64 s[4:5], s[0:1]
	s_cbranch_execnz .LBB212_12
; %bb.9:
	s_or_b64 exec, exec, s[4:5]
	s_and_saveexec_b64 s[0:1], vcc
	s_cbranch_execnz .LBB212_13
.LBB212_10:
	s_or_b64 exec, exec, s[0:1]
	v_cmp_eq_u32_e32 vcc, 0, v0
	s_and_saveexec_b64 s[0:1], vcc
	s_cbranch_execnz .LBB212_14
.LBB212_11:
	s_endpgm
.LBB212_12:
	ds_read_b64 v[2:3], v1
	s_or_b64 exec, exec, s[4:5]
	s_and_saveexec_b64 s[0:1], vcc
	s_cbranch_execz .LBB212_10
.LBB212_13:
	s_waitcnt lgkmcnt(0)
	ds_bpermute_b32 v4, v7, v2
	ds_bpermute_b32 v5, v7, v3
	s_waitcnt lgkmcnt(0)
	v_pk_add_f32 v[2:3], v[2:3], v[4:5]
	ds_bpermute_b32 v4, v8, v2
	ds_bpermute_b32 v5, v8, v3
	s_waitcnt lgkmcnt(0)
	v_pk_add_f32 v[2:3], v[2:3], v[4:5]
	;; [unrolled: 4-line block ×4, first 2 shown]
	s_or_b64 exec, exec, s[0:1]
	v_cmp_eq_u32_e32 vcc, 0, v0
	s_and_saveexec_b64 s[0:1], vcc
	s_cbranch_execz .LBB212_11
.LBB212_14:
	s_lshl_b64 s[0:1], s[2:3], 3
	s_add_u32 s0, s6, s0
	s_addc_u32 s1, s7, s1
	v_mov_b32_e32 v0, 0
	s_waitcnt lgkmcnt(0)
	global_store_dwordx2 v0, v[2:3], s[0:1]
	s_endpgm
	.section	.rodata,"a",@progbits
	.p2align	6, 0x0
	.amdhsa_kernel _ZL18rocblas_dot_kernelIiLb1ELi1024ELi32ELb0E19rocblas_complex_numIfEPKPKS1_S1_EviT5_lT_lS6_lS7_liPT6_PT4_
		.amdhsa_group_segment_fixed_size 512
		.amdhsa_private_segment_fixed_size 0
		.amdhsa_kernarg_size 352
		.amdhsa_user_sgpr_count 6
		.amdhsa_user_sgpr_private_segment_buffer 1
		.amdhsa_user_sgpr_dispatch_ptr 0
		.amdhsa_user_sgpr_queue_ptr 0
		.amdhsa_user_sgpr_kernarg_segment_ptr 1
		.amdhsa_user_sgpr_dispatch_id 0
		.amdhsa_user_sgpr_flat_scratch_init 0
		.amdhsa_user_sgpr_kernarg_preload_length 0
		.amdhsa_user_sgpr_kernarg_preload_offset 0
		.amdhsa_user_sgpr_private_segment_size 0
		.amdhsa_uses_dynamic_stack 0
		.amdhsa_system_sgpr_private_segment_wavefront_offset 0
		.amdhsa_system_sgpr_workgroup_id_x 1
		.amdhsa_system_sgpr_workgroup_id_y 0
		.amdhsa_system_sgpr_workgroup_id_z 1
		.amdhsa_system_sgpr_workgroup_info 0
		.amdhsa_system_vgpr_workitem_id 0
		.amdhsa_next_free_vgpr 18
		.amdhsa_next_free_sgpr 25
		.amdhsa_accum_offset 20
		.amdhsa_reserve_vcc 1
		.amdhsa_reserve_flat_scratch 0
		.amdhsa_float_round_mode_32 0
		.amdhsa_float_round_mode_16_64 0
		.amdhsa_float_denorm_mode_32 3
		.amdhsa_float_denorm_mode_16_64 3
		.amdhsa_dx10_clamp 1
		.amdhsa_ieee_mode 1
		.amdhsa_fp16_overflow 0
		.amdhsa_tg_split 0
		.amdhsa_exception_fp_ieee_invalid_op 0
		.amdhsa_exception_fp_denorm_src 0
		.amdhsa_exception_fp_ieee_div_zero 0
		.amdhsa_exception_fp_ieee_overflow 0
		.amdhsa_exception_fp_ieee_underflow 0
		.amdhsa_exception_fp_ieee_inexact 0
		.amdhsa_exception_int_div_zero 0
	.end_amdhsa_kernel
	.section	.text._ZL18rocblas_dot_kernelIiLb1ELi1024ELi32ELb0E19rocblas_complex_numIfEPKPKS1_S1_EviT5_lT_lS6_lS7_liPT6_PT4_,"axG",@progbits,_ZL18rocblas_dot_kernelIiLb1ELi1024ELi32ELb0E19rocblas_complex_numIfEPKPKS1_S1_EviT5_lT_lS6_lS7_liPT6_PT4_,comdat
.Lfunc_end212:
	.size	_ZL18rocblas_dot_kernelIiLb1ELi1024ELi32ELb0E19rocblas_complex_numIfEPKPKS1_S1_EviT5_lT_lS6_lS7_liPT6_PT4_, .Lfunc_end212-_ZL18rocblas_dot_kernelIiLb1ELi1024ELi32ELb0E19rocblas_complex_numIfEPKPKS1_S1_EviT5_lT_lS6_lS7_liPT6_PT4_
                                        ; -- End function
	.section	.AMDGPU.csdata,"",@progbits
; Kernel info:
; codeLenInByte = 1092
; NumSgprs: 29
; NumVgprs: 18
; NumAgprs: 0
; TotalNumVgprs: 18
; ScratchSize: 0
; MemoryBound: 0
; FloatMode: 240
; IeeeMode: 1
; LDSByteSize: 512 bytes/workgroup (compile time only)
; SGPRBlocks: 3
; VGPRBlocks: 2
; NumSGPRsForWavesPerEU: 29
; NumVGPRsForWavesPerEU: 18
; AccumOffset: 20
; Occupancy: 8
; WaveLimiterHint : 0
; COMPUTE_PGM_RSRC2:SCRATCH_EN: 0
; COMPUTE_PGM_RSRC2:USER_SGPR: 6
; COMPUTE_PGM_RSRC2:TRAP_HANDLER: 0
; COMPUTE_PGM_RSRC2:TGID_X_EN: 1
; COMPUTE_PGM_RSRC2:TGID_Y_EN: 0
; COMPUTE_PGM_RSRC2:TGID_Z_EN: 1
; COMPUTE_PGM_RSRC2:TIDIG_COMP_CNT: 0
; COMPUTE_PGM_RSRC3_GFX90A:ACCUM_OFFSET: 4
; COMPUTE_PGM_RSRC3_GFX90A:TG_SPLIT: 0
	.section	.text._ZL24rocblas_dot_kernel_magsqIiLb1ELi1024ELi32ELb0E19rocblas_complex_numIfEPKPKS1_S1_EviT5_lT_liPT6_PT4_,"axG",@progbits,_ZL24rocblas_dot_kernel_magsqIiLb1ELi1024ELi32ELb0E19rocblas_complex_numIfEPKPKS1_S1_EviT5_lT_liPT6_PT4_,comdat
	.globl	_ZL24rocblas_dot_kernel_magsqIiLb1ELi1024ELi32ELb0E19rocblas_complex_numIfEPKPKS1_S1_EviT5_lT_liPT6_PT4_ ; -- Begin function _ZL24rocblas_dot_kernel_magsqIiLb1ELi1024ELi32ELb0E19rocblas_complex_numIfEPKPKS1_S1_EviT5_lT_liPT6_PT4_
	.p2align	8
	.type	_ZL24rocblas_dot_kernel_magsqIiLb1ELi1024ELi32ELb0E19rocblas_complex_numIfEPKPKS1_S1_EviT5_lT_liPT6_PT4_,@function
_ZL24rocblas_dot_kernel_magsqIiLb1ELi1024ELi32ELb0E19rocblas_complex_numIfEPKPKS1_S1_EviT5_lT_liPT6_PT4_: ; @_ZL24rocblas_dot_kernel_magsqIiLb1ELi1024ELi32ELb0E19rocblas_complex_numIfEPKPKS1_S1_EviT5_lT_liPT6_PT4_
; %bb.0:
	s_mov_b32 s2, s7
	s_load_dword s12, s[4:5], 0x0
	s_load_dwordx2 s[6:7], s[4:5], 0x38
	v_mov_b32_e32 v3, 0
	s_mov_b32 s3, 0
	v_mov_b32_e32 v2, v3
	s_waitcnt lgkmcnt(0)
	v_cmp_gt_i32_e32 vcc, s12, v0
	s_and_saveexec_b64 s[8:9], vcc
	s_cbranch_execz .LBB213_4
; %bb.1:
	s_load_dwordx4 s[16:19], s[4:5], 0x8
	s_load_dword s10, s[4:5], 0x40
	s_load_dword s11, s[4:5], 0x18
	s_lshl_b64 s[0:1], s[2:3], 3
	s_waitcnt lgkmcnt(0)
	s_add_u32 s0, s16, s0
	s_addc_u32 s1, s17, s1
	s_load_dwordx2 s[0:1], s[0:1], 0x0
	v_mad_i64_i32 v[2:3], s[4:5], s11, v0, 0
	s_lshl_b32 s13, s10, 10
	s_lshl_b64 s[4:5], s[18:19], 3
	s_waitcnt lgkmcnt(0)
	s_add_u32 s0, s0, s4
	v_lshlrev_b64 v[2:3], 3, v[2:3]
	s_addc_u32 s1, s1, s5
	v_mov_b32_e32 v5, s1
	v_add_co_u32_e32 v4, vcc, s0, v2
	s_mul_hi_i32 s1, s11, s13
	s_mul_i32 s0, s11, s13
	s_lshl_b64 s[10:11], s[0:1], 3
	v_mov_b32_e32 v2, 0
	v_or_b32_e32 v1, s13, v0
	v_addc_co_u32_e32 v5, vcc, v5, v3, vcc
	s_mov_b64 s[4:5], 0
	v_mov_b32_e32 v6, s11
	s_mov_b32 s11, s3
	v_mov_b32_e32 v3, v2
.LBB213_2:                              ; =>This Inner Loop Header: Depth=1
	global_load_dwordx2 v[8:9], v[4:5], off
	s_add_i32 s14, s11, 1
	v_add_co_u32_e64 v4, s[0:1], s10, v4
	v_addc_co_u32_e64 v5, s[0:1], v5, v6, s[0:1]
	s_cmp_gt_u32 s11, 30
	v_cmp_le_i32_e32 vcc, s12, v1
	s_cselect_b64 s[0:1], -1, 0
	s_or_b64 s[0:1], s[0:1], vcc
	s_and_b64 s[0:1], exec, s[0:1]
	v_add_u32_e32 v1, s13, v1
	s_mov_b32 s11, s14
	s_or_b64 s[4:5], s[0:1], s[4:5]
	s_waitcnt vmcnt(0)
	v_pk_mul_f32 v[10:11], v[8:9], v[8:9]
	v_pk_mul_f32 v[12:13], v[8:9], v[8:9] op_sel_hi:[0,1]
	v_mov_b32_e32 v10, v11
	v_mov_b32_e32 v11, v13
	v_pk_add_f32 v[12:13], v[12:13], v[12:13]
	v_pk_fma_f32 v[8:9], v[8:9], v[8:9], v[10:11] op_sel_hi:[0,1,1] neg_lo:[0,0,1] neg_hi:[0,0,1]
	v_mov_b32_e32 v9, v13
	v_pk_add_f32 v[2:3], v[2:3], v[8:9]
	s_andn2_b64 exec, exec, s[4:5]
	s_cbranch_execnz .LBB213_2
; %bb.3:
	s_or_b64 exec, exec, s[4:5]
.LBB213_4:
	s_or_b64 exec, exec, s[8:9]
	v_and_b32_e32 v6, 63, v0
	v_cmp_gt_u32_e32 vcc, 64, v0
	v_lshlrev_b32_e32 v1, 3, v6
	s_and_saveexec_b64 s[0:1], vcc
	s_cbranch_execz .LBB213_6
; %bb.5:
	v_mov_b32_e32 v4, 0
	v_mov_b32_e32 v5, v4
	ds_write_b64 v1, v[4:5]
.LBB213_6:
	s_or_b64 exec, exec, s[0:1]
	v_mbcnt_lo_u32_b32 v4, -1, 0
	v_mbcnt_hi_u32_b32 v10, -1, v4
	v_and_b32_e32 v11, 63, v10
	v_cmp_gt_u32_e64 s[0:1], 32, v11
	v_cndmask_b32_e64 v4, 0, 1, s[0:1]
	v_lshlrev_b32_e32 v4, 5, v4
	v_add_lshl_u32 v5, v4, v10, 2
	ds_bpermute_b32 v4, v5, v2
	ds_bpermute_b32 v5, v5, v3
	v_cmp_gt_u32_e64 s[0:1], 48, v11
	v_cndmask_b32_e64 v7, 0, 1, s[0:1]
	v_lshlrev_b32_e32 v7, 4, v7
	v_add_lshl_u32 v7, v7, v10, 2
	s_waitcnt lgkmcnt(0)
	v_pk_add_f32 v[2:3], v[2:3], v[4:5]
	ds_bpermute_b32 v4, v7, v2
	ds_bpermute_b32 v5, v7, v3
	v_cmp_gt_u32_e64 s[0:1], 56, v11
	v_cndmask_b32_e64 v7, 0, 1, s[0:1]
	v_lshlrev_b32_e32 v7, 3, v7
	v_add_lshl_u32 v7, v7, v10, 2
	s_waitcnt lgkmcnt(0)
	v_pk_add_f32 v[2:3], v[2:3], v[4:5]
	;; [unrolled: 8-line block ×4, first 2 shown]
	ds_bpermute_b32 v4, v9, v2
	ds_bpermute_b32 v5, v9, v3
	v_cmp_ne_u32_e64 s[0:1], 63, v11
	s_waitcnt lgkmcnt(0)
	s_barrier
	v_pk_add_f32 v[2:3], v[2:3], v[4:5]
	v_addc_co_u32_e64 v4, s[0:1], 0, v10, s[0:1]
	v_lshlrev_b32_e32 v10, 2, v4
	ds_bpermute_b32 v4, v10, v2
	ds_bpermute_b32 v5, v10, v3
	v_cmp_eq_u32_e64 s[0:1], 0, v6
	s_and_saveexec_b64 s[4:5], s[0:1]
	s_cbranch_execz .LBB213_8
; %bb.7:
	v_lshrrev_b32_e32 v6, 3, v0
	v_and_b32_e32 v6, 0x78, v6
	s_waitcnt lgkmcnt(0)
	v_pk_add_f32 v[2:3], v[2:3], v[4:5]
	ds_write_b64 v6, v[2:3]
.LBB213_8:
	s_or_b64 exec, exec, s[4:5]
	v_cmp_gt_u32_e64 s[0:1], 16, v0
	v_mov_b32_e32 v2, 0
	v_mov_b32_e32 v3, 0
	s_waitcnt lgkmcnt(0)
	s_barrier
	s_and_saveexec_b64 s[4:5], s[0:1]
	s_cbranch_execnz .LBB213_12
; %bb.9:
	s_or_b64 exec, exec, s[4:5]
	s_and_saveexec_b64 s[0:1], vcc
	s_cbranch_execnz .LBB213_13
.LBB213_10:
	s_or_b64 exec, exec, s[0:1]
	v_cmp_eq_u32_e32 vcc, 0, v0
	s_and_saveexec_b64 s[0:1], vcc
	s_cbranch_execnz .LBB213_14
.LBB213_11:
	s_endpgm
.LBB213_12:
	ds_read_b64 v[2:3], v1
	s_or_b64 exec, exec, s[4:5]
	s_and_saveexec_b64 s[0:1], vcc
	s_cbranch_execz .LBB213_10
.LBB213_13:
	s_waitcnt lgkmcnt(0)
	ds_bpermute_b32 v4, v7, v2
	ds_bpermute_b32 v5, v7, v3
	s_waitcnt lgkmcnt(0)
	v_pk_add_f32 v[2:3], v[2:3], v[4:5]
	ds_bpermute_b32 v4, v8, v2
	ds_bpermute_b32 v5, v8, v3
	s_waitcnt lgkmcnt(0)
	v_pk_add_f32 v[2:3], v[2:3], v[4:5]
	;; [unrolled: 4-line block ×4, first 2 shown]
	s_or_b64 exec, exec, s[0:1]
	v_cmp_eq_u32_e32 vcc, 0, v0
	s_and_saveexec_b64 s[0:1], vcc
	s_cbranch_execz .LBB213_11
.LBB213_14:
	s_lshl_b64 s[0:1], s[2:3], 3
	s_add_u32 s0, s6, s0
	s_addc_u32 s1, s7, s1
	v_mov_b32_e32 v0, 0
	s_waitcnt lgkmcnt(0)
	global_store_dwordx2 v0, v[2:3], s[0:1]
	s_endpgm
	.section	.rodata,"a",@progbits
	.p2align	6, 0x0
	.amdhsa_kernel _ZL24rocblas_dot_kernel_magsqIiLb1ELi1024ELi32ELb0E19rocblas_complex_numIfEPKPKS1_S1_EviT5_lT_liPT6_PT4_
		.amdhsa_group_segment_fixed_size 512
		.amdhsa_private_segment_fixed_size 0
		.amdhsa_kernarg_size 320
		.amdhsa_user_sgpr_count 6
		.amdhsa_user_sgpr_private_segment_buffer 1
		.amdhsa_user_sgpr_dispatch_ptr 0
		.amdhsa_user_sgpr_queue_ptr 0
		.amdhsa_user_sgpr_kernarg_segment_ptr 1
		.amdhsa_user_sgpr_dispatch_id 0
		.amdhsa_user_sgpr_flat_scratch_init 0
		.amdhsa_user_sgpr_kernarg_preload_length 0
		.amdhsa_user_sgpr_kernarg_preload_offset 0
		.amdhsa_user_sgpr_private_segment_size 0
		.amdhsa_uses_dynamic_stack 0
		.amdhsa_system_sgpr_private_segment_wavefront_offset 0
		.amdhsa_system_sgpr_workgroup_id_x 1
		.amdhsa_system_sgpr_workgroup_id_y 0
		.amdhsa_system_sgpr_workgroup_id_z 1
		.amdhsa_system_sgpr_workgroup_info 0
		.amdhsa_system_vgpr_workitem_id 0
		.amdhsa_next_free_vgpr 14
		.amdhsa_next_free_sgpr 20
		.amdhsa_accum_offset 16
		.amdhsa_reserve_vcc 1
		.amdhsa_reserve_flat_scratch 0
		.amdhsa_float_round_mode_32 0
		.amdhsa_float_round_mode_16_64 0
		.amdhsa_float_denorm_mode_32 3
		.amdhsa_float_denorm_mode_16_64 3
		.amdhsa_dx10_clamp 1
		.amdhsa_ieee_mode 1
		.amdhsa_fp16_overflow 0
		.amdhsa_tg_split 0
		.amdhsa_exception_fp_ieee_invalid_op 0
		.amdhsa_exception_fp_denorm_src 0
		.amdhsa_exception_fp_ieee_div_zero 0
		.amdhsa_exception_fp_ieee_overflow 0
		.amdhsa_exception_fp_ieee_underflow 0
		.amdhsa_exception_fp_ieee_inexact 0
		.amdhsa_exception_int_div_zero 0
	.end_amdhsa_kernel
	.section	.text._ZL24rocblas_dot_kernel_magsqIiLb1ELi1024ELi32ELb0E19rocblas_complex_numIfEPKPKS1_S1_EviT5_lT_liPT6_PT4_,"axG",@progbits,_ZL24rocblas_dot_kernel_magsqIiLb1ELi1024ELi32ELb0E19rocblas_complex_numIfEPKPKS1_S1_EviT5_lT_liPT6_PT4_,comdat
.Lfunc_end213:
	.size	_ZL24rocblas_dot_kernel_magsqIiLb1ELi1024ELi32ELb0E19rocblas_complex_numIfEPKPKS1_S1_EviT5_lT_liPT6_PT4_, .Lfunc_end213-_ZL24rocblas_dot_kernel_magsqIiLb1ELi1024ELi32ELb0E19rocblas_complex_numIfEPKPKS1_S1_EviT5_lT_liPT6_PT4_
                                        ; -- End function
	.section	.AMDGPU.csdata,"",@progbits
; Kernel info:
; codeLenInByte = 992
; NumSgprs: 24
; NumVgprs: 14
; NumAgprs: 0
; TotalNumVgprs: 14
; ScratchSize: 0
; MemoryBound: 0
; FloatMode: 240
; IeeeMode: 1
; LDSByteSize: 512 bytes/workgroup (compile time only)
; SGPRBlocks: 2
; VGPRBlocks: 1
; NumSGPRsForWavesPerEU: 24
; NumVGPRsForWavesPerEU: 14
; AccumOffset: 16
; Occupancy: 8
; WaveLimiterHint : 0
; COMPUTE_PGM_RSRC2:SCRATCH_EN: 0
; COMPUTE_PGM_RSRC2:USER_SGPR: 6
; COMPUTE_PGM_RSRC2:TRAP_HANDLER: 0
; COMPUTE_PGM_RSRC2:TGID_X_EN: 1
; COMPUTE_PGM_RSRC2:TGID_Y_EN: 0
; COMPUTE_PGM_RSRC2:TGID_Z_EN: 1
; COMPUTE_PGM_RSRC2:TIDIG_COMP_CNT: 0
; COMPUTE_PGM_RSRC3_GFX90A:ACCUM_OFFSET: 3
; COMPUTE_PGM_RSRC3_GFX90A:TG_SPLIT: 0
	.section	.text._ZL38rocblas_dot_kernel_gfx942_float_doubleIiLi1024E19rocblas_complex_numIfEPKPKS1_S1_EviT2_lT_lS6_lS7_lPT3_PT1_,"axG",@progbits,_ZL38rocblas_dot_kernel_gfx942_float_doubleIiLi1024E19rocblas_complex_numIfEPKPKS1_S1_EviT2_lT_lS6_lS7_lPT3_PT1_,comdat
	.globl	_ZL38rocblas_dot_kernel_gfx942_float_doubleIiLi1024E19rocblas_complex_numIfEPKPKS1_S1_EviT2_lT_lS6_lS7_lPT3_PT1_ ; -- Begin function _ZL38rocblas_dot_kernel_gfx942_float_doubleIiLi1024E19rocblas_complex_numIfEPKPKS1_S1_EviT2_lT_lS6_lS7_lPT3_PT1_
	.p2align	8
	.type	_ZL38rocblas_dot_kernel_gfx942_float_doubleIiLi1024E19rocblas_complex_numIfEPKPKS1_S1_EviT2_lT_lS6_lS7_lPT3_PT1_,@function
_ZL38rocblas_dot_kernel_gfx942_float_doubleIiLi1024E19rocblas_complex_numIfEPKPKS1_S1_EviT2_lT_lS6_lS7_lPT3_PT1_: ; @_ZL38rocblas_dot_kernel_gfx942_float_doubleIiLi1024E19rocblas_complex_numIfEPKPKS1_S1_EviT2_lT_lS6_lS7_lPT3_PT1_
; %bb.0:
	s_endpgm
	.section	.rodata,"a",@progbits
	.p2align	6, 0x0
	.amdhsa_kernel _ZL38rocblas_dot_kernel_gfx942_float_doubleIiLi1024E19rocblas_complex_numIfEPKPKS1_S1_EviT2_lT_lS6_lS7_lPT3_PT1_
		.amdhsa_group_segment_fixed_size 0
		.amdhsa_private_segment_fixed_size 0
		.amdhsa_kernarg_size 88
		.amdhsa_user_sgpr_count 6
		.amdhsa_user_sgpr_private_segment_buffer 1
		.amdhsa_user_sgpr_dispatch_ptr 0
		.amdhsa_user_sgpr_queue_ptr 0
		.amdhsa_user_sgpr_kernarg_segment_ptr 1
		.amdhsa_user_sgpr_dispatch_id 0
		.amdhsa_user_sgpr_flat_scratch_init 0
		.amdhsa_user_sgpr_kernarg_preload_length 0
		.amdhsa_user_sgpr_kernarg_preload_offset 0
		.amdhsa_user_sgpr_private_segment_size 0
		.amdhsa_uses_dynamic_stack 0
		.amdhsa_system_sgpr_private_segment_wavefront_offset 0
		.amdhsa_system_sgpr_workgroup_id_x 1
		.amdhsa_system_sgpr_workgroup_id_y 0
		.amdhsa_system_sgpr_workgroup_id_z 0
		.amdhsa_system_sgpr_workgroup_info 0
		.amdhsa_system_vgpr_workitem_id 0
		.amdhsa_next_free_vgpr 1
		.amdhsa_next_free_sgpr 0
		.amdhsa_accum_offset 4
		.amdhsa_reserve_vcc 0
		.amdhsa_reserve_flat_scratch 0
		.amdhsa_float_round_mode_32 0
		.amdhsa_float_round_mode_16_64 0
		.amdhsa_float_denorm_mode_32 3
		.amdhsa_float_denorm_mode_16_64 3
		.amdhsa_dx10_clamp 1
		.amdhsa_ieee_mode 1
		.amdhsa_fp16_overflow 0
		.amdhsa_tg_split 0
		.amdhsa_exception_fp_ieee_invalid_op 0
		.amdhsa_exception_fp_denorm_src 0
		.amdhsa_exception_fp_ieee_div_zero 0
		.amdhsa_exception_fp_ieee_overflow 0
		.amdhsa_exception_fp_ieee_underflow 0
		.amdhsa_exception_fp_ieee_inexact 0
		.amdhsa_exception_int_div_zero 0
	.end_amdhsa_kernel
	.section	.text._ZL38rocblas_dot_kernel_gfx942_float_doubleIiLi1024E19rocblas_complex_numIfEPKPKS1_S1_EviT2_lT_lS6_lS7_lPT3_PT1_,"axG",@progbits,_ZL38rocblas_dot_kernel_gfx942_float_doubleIiLi1024E19rocblas_complex_numIfEPKPKS1_S1_EviT2_lT_lS6_lS7_lPT3_PT1_,comdat
.Lfunc_end214:
	.size	_ZL38rocblas_dot_kernel_gfx942_float_doubleIiLi1024E19rocblas_complex_numIfEPKPKS1_S1_EviT2_lT_lS6_lS7_lPT3_PT1_, .Lfunc_end214-_ZL38rocblas_dot_kernel_gfx942_float_doubleIiLi1024E19rocblas_complex_numIfEPKPKS1_S1_EviT2_lT_lS6_lS7_lPT3_PT1_
                                        ; -- End function
	.section	.AMDGPU.csdata,"",@progbits
; Kernel info:
; codeLenInByte = 4
; NumSgprs: 4
; NumVgprs: 0
; NumAgprs: 0
; TotalNumVgprs: 0
; ScratchSize: 0
; MemoryBound: 0
; FloatMode: 240
; IeeeMode: 1
; LDSByteSize: 0 bytes/workgroup (compile time only)
; SGPRBlocks: 0
; VGPRBlocks: 0
; NumSGPRsForWavesPerEU: 4
; NumVGPRsForWavesPerEU: 1
; AccumOffset: 4
; Occupancy: 8
; WaveLimiterHint : 0
; COMPUTE_PGM_RSRC2:SCRATCH_EN: 0
; COMPUTE_PGM_RSRC2:USER_SGPR: 6
; COMPUTE_PGM_RSRC2:TRAP_HANDLER: 0
; COMPUTE_PGM_RSRC2:TGID_X_EN: 1
; COMPUTE_PGM_RSRC2:TGID_Y_EN: 0
; COMPUTE_PGM_RSRC2:TGID_Z_EN: 0
; COMPUTE_PGM_RSRC2:TIDIG_COMP_CNT: 0
; COMPUTE_PGM_RSRC3_GFX90A:ACCUM_OFFSET: 0
; COMPUTE_PGM_RSRC3_GFX90A:TG_SPLIT: 0
	.section	.text._ZL23rocblas_dot_kernel_inc1ILb0ELi512ELi2ELb0E19rocblas_complex_numIfEPKPKS1_S1_EviT4_llS6_lliPT5_PT3_,"axG",@progbits,_ZL23rocblas_dot_kernel_inc1ILb0ELi512ELi2ELb0E19rocblas_complex_numIfEPKPKS1_S1_EviT4_llS6_lliPT5_PT3_,comdat
	.globl	_ZL23rocblas_dot_kernel_inc1ILb0ELi512ELi2ELb0E19rocblas_complex_numIfEPKPKS1_S1_EviT4_llS6_lliPT5_PT3_ ; -- Begin function _ZL23rocblas_dot_kernel_inc1ILb0ELi512ELi2ELb0E19rocblas_complex_numIfEPKPKS1_S1_EviT4_llS6_lliPT5_PT3_
	.p2align	8
	.type	_ZL23rocblas_dot_kernel_inc1ILb0ELi512ELi2ELb0E19rocblas_complex_numIfEPKPKS1_S1_EviT4_llS6_lliPT5_PT3_,@function
_ZL23rocblas_dot_kernel_inc1ILb0ELi512ELi2ELb0E19rocblas_complex_numIfEPKPKS1_S1_EviT4_llS6_lliPT5_PT3_: ; @_ZL23rocblas_dot_kernel_inc1ILb0ELi512ELi2ELb0E19rocblas_complex_numIfEPKPKS1_S1_EviT4_llS6_lliPT5_PT3_
; %bb.0:
	s_mov_b32 s2, s7
	s_load_dword s7, s[4:5], 0x0
	s_load_dword s10, s[4:5], 0x50
	v_lshl_or_b32 v4, s6, 9, v0
	v_mov_b32_e32 v2, 0
	s_mov_b32 s3, 0
	s_waitcnt lgkmcnt(0)
	v_cmp_gt_i32_e32 vcc, s7, v4
	v_mov_b32_e32 v3, v2
	s_and_saveexec_b64 s[0:1], vcc
	s_cbranch_execz .LBB215_4
; %bb.1:
	s_load_dwordx4 s[12:15], s[4:5], 0x8
	s_load_dwordx4 s[16:19], s[4:5], 0x20
	s_lshl_b64 s[8:9], s[2:3], 3
	v_ashrrev_i32_e32 v5, 31, v4
	v_lshlrev_b64 v[2:3], 3, v[4:5]
	s_waitcnt lgkmcnt(0)
	s_add_u32 s12, s12, s8
	s_addc_u32 s13, s13, s9
	s_load_dwordx2 s[12:13], s[12:13], 0x0
	s_lshl_b64 s[14:15], s[14:15], 3
	s_waitcnt lgkmcnt(0)
	s_add_u32 s11, s12, s14
	s_addc_u32 s12, s13, s15
	s_add_u32 s8, s16, s8
	s_addc_u32 s9, s17, s9
	s_load_dwordx2 s[8:9], s[8:9], 0x0
	s_lshl_b64 s[14:15], s[18:19], 3
	v_mov_b32_e32 v1, s12
	s_waitcnt lgkmcnt(0)
	s_add_u32 s13, s8, s14
	s_addc_u32 s14, s9, s15
	v_mov_b32_e32 v5, s14
	v_add_co_u32_e32 v4, vcc, s13, v2
	v_addc_co_u32_e32 v5, vcc, v5, v3, vcc
	v_add_co_u32_e32 v2, vcc, s11, v2
	v_addc_co_u32_e32 v3, vcc, v1, v3, vcc
	global_load_dwordx2 v[6:7], v[2:3], off
	global_load_dwordx2 v[8:9], v[4:5], off
	s_add_i32 s8, s6, s10
	v_lshl_or_b32 v4, s8, 9, v0
	v_cmp_gt_i32_e32 vcc, s7, v4
	s_waitcnt vmcnt(0)
	v_pk_mul_f32 v[2:3], v[6:7], v[8:9] op_sel:[0,1]
	v_pk_fma_f32 v[10:11], v[6:7], v[8:9], v[2:3] op_sel:[0,0,1] op_sel_hi:[1,1,0] neg_lo:[0,0,1] neg_hi:[0,0,1]
	v_pk_fma_f32 v[2:3], v[6:7], v[8:9], v[2:3] op_sel:[0,0,1] op_sel_hi:[1,0,0]
	v_mov_b32_e32 v11, v3
	v_pk_add_f32 v[2:3], v[10:11], 0 op_sel_hi:[1,0]
	s_and_saveexec_b64 s[8:9], vcc
	s_cbranch_execz .LBB215_3
; %bb.2:
	v_ashrrev_i32_e32 v5, 31, v4
	v_lshlrev_b64 v[4:5], 3, v[4:5]
	v_mov_b32_e32 v1, s12
	v_add_co_u32_e32 v6, vcc, s11, v4
	v_addc_co_u32_e32 v7, vcc, v1, v5, vcc
	v_mov_b32_e32 v1, s14
	v_add_co_u32_e32 v4, vcc, s13, v4
	v_addc_co_u32_e32 v5, vcc, v1, v5, vcc
	global_load_dwordx2 v[6:7], v[6:7], off
	s_nop 0
	global_load_dwordx2 v[4:5], v[4:5], off
	s_waitcnt vmcnt(0)
	v_pk_mul_f32 v[8:9], v[6:7], v[4:5] op_sel:[0,1]
	v_pk_fma_f32 v[10:11], v[6:7], v[4:5], v[8:9] op_sel:[0,0,1] op_sel_hi:[1,1,0] neg_lo:[0,0,1] neg_hi:[0,0,1]
	v_pk_fma_f32 v[4:5], v[6:7], v[4:5], v[8:9] op_sel:[0,0,1] op_sel_hi:[1,0,0]
	v_mov_b32_e32 v11, v5
	v_pk_add_f32 v[2:3], v[2:3], v[10:11]
.LBB215_3:
	s_or_b64 exec, exec, s[8:9]
.LBB215_4:
	s_or_b64 exec, exec, s[0:1]
	v_and_b32_e32 v6, 63, v0
	v_cmp_gt_u32_e32 vcc, 64, v0
	v_lshlrev_b32_e32 v1, 3, v6
	s_and_saveexec_b64 s[0:1], vcc
	s_cbranch_execz .LBB215_6
; %bb.5:
	v_mov_b32_e32 v4, 0
	v_mov_b32_e32 v5, v4
	ds_write_b64 v1, v[4:5]
.LBB215_6:
	s_or_b64 exec, exec, s[0:1]
	v_mbcnt_lo_u32_b32 v4, -1, 0
	v_mbcnt_hi_u32_b32 v9, -1, v4
	v_and_b32_e32 v10, 63, v9
	v_cmp_gt_u32_e64 s[0:1], 32, v10
	v_cndmask_b32_e64 v4, 0, 1, s[0:1]
	v_lshlrev_b32_e32 v4, 5, v4
	v_add_lshl_u32 v5, v4, v9, 2
	ds_bpermute_b32 v4, v5, v2
	ds_bpermute_b32 v5, v5, v3
	v_cmp_gt_u32_e64 s[0:1], 48, v10
	v_cndmask_b32_e64 v7, 0, 1, s[0:1]
	v_lshlrev_b32_e32 v7, 4, v7
	v_add_lshl_u32 v7, v7, v9, 2
	s_waitcnt lgkmcnt(0)
	v_pk_add_f32 v[2:3], v[2:3], v[4:5]
	ds_bpermute_b32 v4, v7, v2
	ds_bpermute_b32 v5, v7, v3
	v_cmp_gt_u32_e64 s[0:1], 56, v10
	v_cndmask_b32_e64 v7, 0, 1, s[0:1]
	v_lshlrev_b32_e32 v7, 3, v7
	v_add_lshl_u32 v7, v7, v9, 2
	s_waitcnt lgkmcnt(0)
	v_pk_add_f32 v[2:3], v[2:3], v[4:5]
	;; [unrolled: 8-line block ×4, first 2 shown]
	ds_bpermute_b32 v4, v8, v2
	ds_bpermute_b32 v5, v8, v3
	v_cmp_ne_u32_e64 s[0:1], 63, v10
	s_waitcnt lgkmcnt(0)
	s_barrier
	v_pk_add_f32 v[2:3], v[2:3], v[4:5]
	v_addc_co_u32_e64 v4, s[0:1], 0, v9, s[0:1]
	v_lshlrev_b32_e32 v9, 2, v4
	ds_bpermute_b32 v4, v9, v2
	ds_bpermute_b32 v5, v9, v3
	v_cmp_eq_u32_e64 s[0:1], 0, v6
	s_and_saveexec_b64 s[8:9], s[0:1]
	s_cbranch_execz .LBB215_8
; %bb.7:
	v_lshrrev_b32_e32 v6, 3, v0
	v_and_b32_e32 v6, 56, v6
	s_waitcnt lgkmcnt(0)
	v_pk_add_f32 v[2:3], v[2:3], v[4:5]
	ds_write_b64 v6, v[2:3]
.LBB215_8:
	s_or_b64 exec, exec, s[8:9]
	v_cmp_gt_u32_e64 s[0:1], 8, v0
	v_mov_b32_e32 v2, 0
	v_mov_b32_e32 v3, 0
	s_waitcnt lgkmcnt(0)
	s_barrier
	s_and_saveexec_b64 s[8:9], s[0:1]
	s_cbranch_execnz .LBB215_12
; %bb.9:
	s_or_b64 exec, exec, s[8:9]
	s_and_saveexec_b64 s[0:1], vcc
	s_cbranch_execnz .LBB215_13
.LBB215_10:
	s_or_b64 exec, exec, s[0:1]
	v_cmp_eq_u32_e32 vcc, 0, v0
	s_and_saveexec_b64 s[0:1], vcc
	s_cbranch_execnz .LBB215_14
.LBB215_11:
	s_endpgm
.LBB215_12:
	ds_read_b64 v[2:3], v1
	s_or_b64 exec, exec, s[8:9]
	s_and_saveexec_b64 s[0:1], vcc
	s_cbranch_execz .LBB215_10
.LBB215_13:
	s_waitcnt lgkmcnt(0)
	ds_bpermute_b32 v4, v7, v2
	ds_bpermute_b32 v5, v7, v3
	s_waitcnt lgkmcnt(0)
	v_pk_add_f32 v[2:3], v[2:3], v[4:5]
	ds_bpermute_b32 v4, v8, v2
	ds_bpermute_b32 v5, v8, v3
	s_waitcnt lgkmcnt(0)
	v_pk_add_f32 v[2:3], v[2:3], v[4:5]
	;; [unrolled: 4-line block ×3, first 2 shown]
	s_or_b64 exec, exec, s[0:1]
	v_cmp_eq_u32_e32 vcc, 0, v0
	s_and_saveexec_b64 s[0:1], vcc
	s_cbranch_execz .LBB215_11
.LBB215_14:
	s_cmp_lg_u32 s10, 1
	s_cbranch_scc0 .LBB215_16
; %bb.15:
	s_load_dwordx2 s[0:1], s[4:5], 0x40
	s_mul_hi_u32 s9, s10, s2
	s_mul_i32 s8, s10, s2
	s_lshl_b64 s[8:9], s[8:9], 3
	s_mov_b32 s7, 0
	s_waitcnt lgkmcnt(0)
	s_add_u32 s8, s0, s8
	s_addc_u32 s9, s1, s9
	s_lshl_b64 s[0:1], s[6:7], 3
	s_add_u32 s0, s8, s0
	s_addc_u32 s1, s9, s1
	s_cbranch_execz .LBB215_17
	s_branch .LBB215_18
.LBB215_16:
                                        ; implicit-def: $sgpr0_sgpr1
.LBB215_17:
	s_load_dwordx2 s[0:1], s[4:5], 0x48
	s_lshl_b64 s[2:3], s[2:3], 3
	s_waitcnt lgkmcnt(0)
	s_add_u32 s0, s0, s2
	s_addc_u32 s1, s1, s3
.LBB215_18:
	v_mov_b32_e32 v0, 0
	s_waitcnt lgkmcnt(0)
	global_store_dwordx2 v0, v[2:3], s[0:1]
	s_endpgm
	.section	.rodata,"a",@progbits
	.p2align	6, 0x0
	.amdhsa_kernel _ZL23rocblas_dot_kernel_inc1ILb0ELi512ELi2ELb0E19rocblas_complex_numIfEPKPKS1_S1_EviT4_llS6_lliPT5_PT3_
		.amdhsa_group_segment_fixed_size 512
		.amdhsa_private_segment_fixed_size 0
		.amdhsa_kernarg_size 336
		.amdhsa_user_sgpr_count 6
		.amdhsa_user_sgpr_private_segment_buffer 1
		.amdhsa_user_sgpr_dispatch_ptr 0
		.amdhsa_user_sgpr_queue_ptr 0
		.amdhsa_user_sgpr_kernarg_segment_ptr 1
		.amdhsa_user_sgpr_dispatch_id 0
		.amdhsa_user_sgpr_flat_scratch_init 0
		.amdhsa_user_sgpr_kernarg_preload_length 0
		.amdhsa_user_sgpr_kernarg_preload_offset 0
		.amdhsa_user_sgpr_private_segment_size 0
		.amdhsa_uses_dynamic_stack 0
		.amdhsa_system_sgpr_private_segment_wavefront_offset 0
		.amdhsa_system_sgpr_workgroup_id_x 1
		.amdhsa_system_sgpr_workgroup_id_y 0
		.amdhsa_system_sgpr_workgroup_id_z 1
		.amdhsa_system_sgpr_workgroup_info 0
		.amdhsa_system_vgpr_workitem_id 0
		.amdhsa_next_free_vgpr 12
		.amdhsa_next_free_sgpr 20
		.amdhsa_accum_offset 12
		.amdhsa_reserve_vcc 1
		.amdhsa_reserve_flat_scratch 0
		.amdhsa_float_round_mode_32 0
		.amdhsa_float_round_mode_16_64 0
		.amdhsa_float_denorm_mode_32 3
		.amdhsa_float_denorm_mode_16_64 3
		.amdhsa_dx10_clamp 1
		.amdhsa_ieee_mode 1
		.amdhsa_fp16_overflow 0
		.amdhsa_tg_split 0
		.amdhsa_exception_fp_ieee_invalid_op 0
		.amdhsa_exception_fp_denorm_src 0
		.amdhsa_exception_fp_ieee_div_zero 0
		.amdhsa_exception_fp_ieee_overflow 0
		.amdhsa_exception_fp_ieee_underflow 0
		.amdhsa_exception_fp_ieee_inexact 0
		.amdhsa_exception_int_div_zero 0
	.end_amdhsa_kernel
	.section	.text._ZL23rocblas_dot_kernel_inc1ILb0ELi512ELi2ELb0E19rocblas_complex_numIfEPKPKS1_S1_EviT4_llS6_lliPT5_PT3_,"axG",@progbits,_ZL23rocblas_dot_kernel_inc1ILb0ELi512ELi2ELb0E19rocblas_complex_numIfEPKPKS1_S1_EviT4_llS6_lliPT5_PT3_,comdat
.Lfunc_end215:
	.size	_ZL23rocblas_dot_kernel_inc1ILb0ELi512ELi2ELb0E19rocblas_complex_numIfEPKPKS1_S1_EviT4_llS6_lliPT5_PT3_, .Lfunc_end215-_ZL23rocblas_dot_kernel_inc1ILb0ELi512ELi2ELb0E19rocblas_complex_numIfEPKPKS1_S1_EviT4_llS6_lliPT5_PT3_
                                        ; -- End function
	.section	.AMDGPU.csdata,"",@progbits
; Kernel info:
; codeLenInByte = 1088
; NumSgprs: 24
; NumVgprs: 12
; NumAgprs: 0
; TotalNumVgprs: 12
; ScratchSize: 0
; MemoryBound: 0
; FloatMode: 240
; IeeeMode: 1
; LDSByteSize: 512 bytes/workgroup (compile time only)
; SGPRBlocks: 2
; VGPRBlocks: 1
; NumSGPRsForWavesPerEU: 24
; NumVGPRsForWavesPerEU: 12
; AccumOffset: 12
; Occupancy: 8
; WaveLimiterHint : 1
; COMPUTE_PGM_RSRC2:SCRATCH_EN: 0
; COMPUTE_PGM_RSRC2:USER_SGPR: 6
; COMPUTE_PGM_RSRC2:TRAP_HANDLER: 0
; COMPUTE_PGM_RSRC2:TGID_X_EN: 1
; COMPUTE_PGM_RSRC2:TGID_Y_EN: 0
; COMPUTE_PGM_RSRC2:TGID_Z_EN: 1
; COMPUTE_PGM_RSRC2:TIDIG_COMP_CNT: 0
; COMPUTE_PGM_RSRC3_GFX90A:ACCUM_OFFSET: 2
; COMPUTE_PGM_RSRC3_GFX90A:TG_SPLIT: 0
	.section	.text._ZL18rocblas_dot_kernelIiLb0ELi512ELi2ELb0E19rocblas_complex_numIfEPKPKS1_S1_EviT5_lT_lS6_lS7_liPT6_PT4_,"axG",@progbits,_ZL18rocblas_dot_kernelIiLb0ELi512ELi2ELb0E19rocblas_complex_numIfEPKPKS1_S1_EviT5_lT_lS6_lS7_liPT6_PT4_,comdat
	.globl	_ZL18rocblas_dot_kernelIiLb0ELi512ELi2ELb0E19rocblas_complex_numIfEPKPKS1_S1_EviT5_lT_lS6_lS7_liPT6_PT4_ ; -- Begin function _ZL18rocblas_dot_kernelIiLb0ELi512ELi2ELb0E19rocblas_complex_numIfEPKPKS1_S1_EviT5_lT_lS6_lS7_liPT6_PT4_
	.p2align	8
	.type	_ZL18rocblas_dot_kernelIiLb0ELi512ELi2ELb0E19rocblas_complex_numIfEPKPKS1_S1_EviT5_lT_lS6_lS7_liPT6_PT4_,@function
_ZL18rocblas_dot_kernelIiLb0ELi512ELi2ELb0E19rocblas_complex_numIfEPKPKS1_S1_EviT5_lT_lS6_lS7_liPT6_PT4_: ; @_ZL18rocblas_dot_kernelIiLb0ELi512ELi2ELb0E19rocblas_complex_numIfEPKPKS1_S1_EviT5_lT_lS6_lS7_liPT6_PT4_
; %bb.0:
	s_mov_b32 s2, s7
	s_load_dword s7, s[4:5], 0x0
	s_load_dword s10, s[4:5], 0x60
	v_lshl_or_b32 v1, s6, 9, v0
	v_mov_b32_e32 v2, 0
	s_mov_b32 s3, 0
	s_waitcnt lgkmcnt(0)
	v_cmp_gt_i32_e32 vcc, s7, v1
	v_mov_b32_e32 v3, v2
	s_and_saveexec_b64 s[0:1], vcc
	s_cbranch_execz .LBB216_4
; %bb.1:
	s_load_dwordx4 s[16:19], s[4:5], 0x8
	s_load_dword s12, s[4:5], 0x18
	s_lshl_b64 s[8:9], s[2:3], 3
	s_waitcnt lgkmcnt(0)
	s_add_u32 s14, s16, s8
	s_addc_u32 s15, s17, s9
	s_load_dwordx2 s[16:17], s[14:15], 0x0
	s_load_dwordx4 s[20:23], s[4:5], 0x28
	s_load_dword s11, s[4:5], 0x38
	s_lshl_b64 s[14:15], s[18:19], 3
	s_waitcnt lgkmcnt(0)
	s_add_u32 s13, s16, s14
	s_addc_u32 s14, s17, s15
	s_add_u32 s8, s20, s8
	s_addc_u32 s9, s21, s9
	s_load_dwordx2 s[8:9], s[8:9], 0x0
	v_mad_i64_i32 v[2:3], s[16:17], v1, s11, 0
	s_lshl_b64 s[16:17], s[22:23], 3
	v_lshlrev_b64 v[2:3], 3, v[2:3]
	s_waitcnt lgkmcnt(0)
	s_add_u32 s15, s8, s16
	s_addc_u32 s16, s9, s17
	v_mov_b32_e32 v4, s16
	v_add_co_u32_e32 v2, vcc, s15, v2
	v_addc_co_u32_e32 v3, vcc, v4, v3, vcc
	v_mad_i64_i32 v[4:5], s[8:9], v1, s12, 0
	v_lshlrev_b64 v[4:5], 3, v[4:5]
	v_mov_b32_e32 v1, s14
	v_add_co_u32_e32 v4, vcc, s13, v4
	v_addc_co_u32_e32 v5, vcc, v1, v5, vcc
	global_load_dwordx2 v[6:7], v[4:5], off
	global_load_dwordx2 v[8:9], v[2:3], off
	s_add_i32 s8, s6, s10
	v_lshl_or_b32 v1, s8, 9, v0
	v_cmp_gt_i32_e32 vcc, s7, v1
	s_waitcnt vmcnt(0)
	v_pk_mul_f32 v[2:3], v[6:7], v[8:9] op_sel:[0,1]
	v_pk_fma_f32 v[4:5], v[6:7], v[8:9], v[2:3] op_sel:[0,0,1] op_sel_hi:[1,1,0] neg_lo:[0,0,1] neg_hi:[0,0,1]
	v_pk_fma_f32 v[2:3], v[6:7], v[8:9], v[2:3] op_sel:[0,0,1] op_sel_hi:[1,0,0]
	v_mov_b32_e32 v5, v3
	v_pk_add_f32 v[2:3], v[4:5], 0 op_sel_hi:[1,0]
	s_and_saveexec_b64 s[8:9], vcc
	s_cbranch_execz .LBB216_3
; %bb.2:
	v_mad_i64_i32 v[4:5], s[18:19], v1, s12, 0
	v_lshlrev_b64 v[4:5], 3, v[4:5]
	v_mov_b32_e32 v6, s14
	v_add_co_u32_e32 v4, vcc, s13, v4
	v_addc_co_u32_e32 v5, vcc, v6, v5, vcc
	v_mad_i64_i32 v[6:7], s[12:13], v1, s11, 0
	v_lshlrev_b64 v[6:7], 3, v[6:7]
	v_mov_b32_e32 v1, s16
	v_add_co_u32_e32 v6, vcc, s15, v6
	v_addc_co_u32_e32 v7, vcc, v1, v7, vcc
	global_load_dwordx2 v[4:5], v[4:5], off
	s_nop 0
	global_load_dwordx2 v[6:7], v[6:7], off
	s_waitcnt vmcnt(0)
	v_pk_mul_f32 v[8:9], v[4:5], v[6:7] op_sel:[0,1]
	v_pk_fma_f32 v[10:11], v[4:5], v[6:7], v[8:9] op_sel:[0,0,1] op_sel_hi:[1,1,0] neg_lo:[0,0,1] neg_hi:[0,0,1]
	v_pk_fma_f32 v[4:5], v[4:5], v[6:7], v[8:9] op_sel:[0,0,1] op_sel_hi:[1,0,0]
	v_mov_b32_e32 v11, v5
	v_pk_add_f32 v[2:3], v[2:3], v[10:11]
.LBB216_3:
	s_or_b64 exec, exec, s[8:9]
.LBB216_4:
	s_or_b64 exec, exec, s[0:1]
	v_and_b32_e32 v6, 63, v0
	v_cmp_gt_u32_e32 vcc, 64, v0
	v_lshlrev_b32_e32 v1, 3, v6
	s_and_saveexec_b64 s[0:1], vcc
	s_cbranch_execz .LBB216_6
; %bb.5:
	v_mov_b32_e32 v4, 0
	v_mov_b32_e32 v5, v4
	ds_write_b64 v1, v[4:5]
.LBB216_6:
	s_or_b64 exec, exec, s[0:1]
	v_mbcnt_lo_u32_b32 v4, -1, 0
	v_mbcnt_hi_u32_b32 v9, -1, v4
	v_and_b32_e32 v10, 63, v9
	v_cmp_gt_u32_e64 s[0:1], 32, v10
	v_cndmask_b32_e64 v4, 0, 1, s[0:1]
	v_lshlrev_b32_e32 v4, 5, v4
	v_add_lshl_u32 v5, v4, v9, 2
	ds_bpermute_b32 v4, v5, v2
	ds_bpermute_b32 v5, v5, v3
	v_cmp_gt_u32_e64 s[0:1], 48, v10
	v_cndmask_b32_e64 v7, 0, 1, s[0:1]
	v_lshlrev_b32_e32 v7, 4, v7
	v_add_lshl_u32 v7, v7, v9, 2
	s_waitcnt lgkmcnt(0)
	v_pk_add_f32 v[2:3], v[2:3], v[4:5]
	ds_bpermute_b32 v4, v7, v2
	ds_bpermute_b32 v5, v7, v3
	v_cmp_gt_u32_e64 s[0:1], 56, v10
	v_cndmask_b32_e64 v7, 0, 1, s[0:1]
	v_lshlrev_b32_e32 v7, 3, v7
	v_add_lshl_u32 v7, v7, v9, 2
	s_waitcnt lgkmcnt(0)
	v_pk_add_f32 v[2:3], v[2:3], v[4:5]
	;; [unrolled: 8-line block ×4, first 2 shown]
	ds_bpermute_b32 v4, v8, v2
	ds_bpermute_b32 v5, v8, v3
	v_cmp_ne_u32_e64 s[0:1], 63, v10
	s_waitcnt lgkmcnt(0)
	s_barrier
	v_pk_add_f32 v[2:3], v[2:3], v[4:5]
	v_addc_co_u32_e64 v4, s[0:1], 0, v9, s[0:1]
	v_lshlrev_b32_e32 v9, 2, v4
	ds_bpermute_b32 v4, v9, v2
	ds_bpermute_b32 v5, v9, v3
	v_cmp_eq_u32_e64 s[0:1], 0, v6
	s_and_saveexec_b64 s[8:9], s[0:1]
	s_cbranch_execz .LBB216_8
; %bb.7:
	v_lshrrev_b32_e32 v6, 3, v0
	v_and_b32_e32 v6, 56, v6
	s_waitcnt lgkmcnt(0)
	v_pk_add_f32 v[2:3], v[2:3], v[4:5]
	ds_write_b64 v6, v[2:3]
.LBB216_8:
	s_or_b64 exec, exec, s[8:9]
	v_cmp_gt_u32_e64 s[0:1], 8, v0
	v_mov_b32_e32 v2, 0
	v_mov_b32_e32 v3, 0
	s_waitcnt lgkmcnt(0)
	s_barrier
	s_and_saveexec_b64 s[8:9], s[0:1]
	s_cbranch_execnz .LBB216_12
; %bb.9:
	s_or_b64 exec, exec, s[8:9]
	s_and_saveexec_b64 s[0:1], vcc
	s_cbranch_execnz .LBB216_13
.LBB216_10:
	s_or_b64 exec, exec, s[0:1]
	v_cmp_eq_u32_e32 vcc, 0, v0
	s_and_saveexec_b64 s[0:1], vcc
	s_cbranch_execnz .LBB216_14
.LBB216_11:
	s_endpgm
.LBB216_12:
	ds_read_b64 v[2:3], v1
	s_or_b64 exec, exec, s[8:9]
	s_and_saveexec_b64 s[0:1], vcc
	s_cbranch_execz .LBB216_10
.LBB216_13:
	s_waitcnt lgkmcnt(0)
	ds_bpermute_b32 v4, v7, v2
	ds_bpermute_b32 v5, v7, v3
	s_waitcnt lgkmcnt(0)
	v_pk_add_f32 v[2:3], v[2:3], v[4:5]
	ds_bpermute_b32 v4, v8, v2
	ds_bpermute_b32 v5, v8, v3
	s_waitcnt lgkmcnt(0)
	v_pk_add_f32 v[2:3], v[2:3], v[4:5]
	;; [unrolled: 4-line block ×3, first 2 shown]
	s_or_b64 exec, exec, s[0:1]
	v_cmp_eq_u32_e32 vcc, 0, v0
	s_and_saveexec_b64 s[0:1], vcc
	s_cbranch_execz .LBB216_11
.LBB216_14:
	s_cmp_lg_u32 s10, 1
	s_cbranch_scc0 .LBB216_16
; %bb.15:
	s_load_dwordx2 s[0:1], s[4:5], 0x50
	s_mul_hi_u32 s9, s10, s2
	s_mul_i32 s8, s10, s2
	s_lshl_b64 s[8:9], s[8:9], 3
	s_mov_b32 s7, 0
	s_waitcnt lgkmcnt(0)
	s_add_u32 s8, s0, s8
	s_addc_u32 s9, s1, s9
	s_lshl_b64 s[0:1], s[6:7], 3
	s_add_u32 s0, s8, s0
	s_addc_u32 s1, s9, s1
	s_cbranch_execz .LBB216_17
	s_branch .LBB216_18
.LBB216_16:
                                        ; implicit-def: $sgpr0_sgpr1
.LBB216_17:
	s_load_dwordx2 s[0:1], s[4:5], 0x58
	s_lshl_b64 s[2:3], s[2:3], 3
	s_waitcnt lgkmcnt(0)
	s_add_u32 s0, s0, s2
	s_addc_u32 s1, s1, s3
.LBB216_18:
	v_mov_b32_e32 v0, 0
	s_waitcnt lgkmcnt(0)
	global_store_dwordx2 v0, v[2:3], s[0:1]
	s_endpgm
	.section	.rodata,"a",@progbits
	.p2align	6, 0x0
	.amdhsa_kernel _ZL18rocblas_dot_kernelIiLb0ELi512ELi2ELb0E19rocblas_complex_numIfEPKPKS1_S1_EviT5_lT_lS6_lS7_liPT6_PT4_
		.amdhsa_group_segment_fixed_size 512
		.amdhsa_private_segment_fixed_size 0
		.amdhsa_kernarg_size 352
		.amdhsa_user_sgpr_count 6
		.amdhsa_user_sgpr_private_segment_buffer 1
		.amdhsa_user_sgpr_dispatch_ptr 0
		.amdhsa_user_sgpr_queue_ptr 0
		.amdhsa_user_sgpr_kernarg_segment_ptr 1
		.amdhsa_user_sgpr_dispatch_id 0
		.amdhsa_user_sgpr_flat_scratch_init 0
		.amdhsa_user_sgpr_kernarg_preload_length 0
		.amdhsa_user_sgpr_kernarg_preload_offset 0
		.amdhsa_user_sgpr_private_segment_size 0
		.amdhsa_uses_dynamic_stack 0
		.amdhsa_system_sgpr_private_segment_wavefront_offset 0
		.amdhsa_system_sgpr_workgroup_id_x 1
		.amdhsa_system_sgpr_workgroup_id_y 0
		.amdhsa_system_sgpr_workgroup_id_z 1
		.amdhsa_system_sgpr_workgroup_info 0
		.amdhsa_system_vgpr_workitem_id 0
		.amdhsa_next_free_vgpr 12
		.amdhsa_next_free_sgpr 24
		.amdhsa_accum_offset 12
		.amdhsa_reserve_vcc 1
		.amdhsa_reserve_flat_scratch 0
		.amdhsa_float_round_mode_32 0
		.amdhsa_float_round_mode_16_64 0
		.amdhsa_float_denorm_mode_32 3
		.amdhsa_float_denorm_mode_16_64 3
		.amdhsa_dx10_clamp 1
		.amdhsa_ieee_mode 1
		.amdhsa_fp16_overflow 0
		.amdhsa_tg_split 0
		.amdhsa_exception_fp_ieee_invalid_op 0
		.amdhsa_exception_fp_denorm_src 0
		.amdhsa_exception_fp_ieee_div_zero 0
		.amdhsa_exception_fp_ieee_overflow 0
		.amdhsa_exception_fp_ieee_underflow 0
		.amdhsa_exception_fp_ieee_inexact 0
		.amdhsa_exception_int_div_zero 0
	.end_amdhsa_kernel
	.section	.text._ZL18rocblas_dot_kernelIiLb0ELi512ELi2ELb0E19rocblas_complex_numIfEPKPKS1_S1_EviT5_lT_lS6_lS7_liPT6_PT4_,"axG",@progbits,_ZL18rocblas_dot_kernelIiLb0ELi512ELi2ELb0E19rocblas_complex_numIfEPKPKS1_S1_EviT5_lT_lS6_lS7_liPT6_PT4_,comdat
.Lfunc_end216:
	.size	_ZL18rocblas_dot_kernelIiLb0ELi512ELi2ELb0E19rocblas_complex_numIfEPKPKS1_S1_EviT5_lT_lS6_lS7_liPT6_PT4_, .Lfunc_end216-_ZL18rocblas_dot_kernelIiLb0ELi512ELi2ELb0E19rocblas_complex_numIfEPKPKS1_S1_EviT5_lT_lS6_lS7_liPT6_PT4_
                                        ; -- End function
	.section	.AMDGPU.csdata,"",@progbits
; Kernel info:
; codeLenInByte = 1144
; NumSgprs: 28
; NumVgprs: 12
; NumAgprs: 0
; TotalNumVgprs: 12
; ScratchSize: 0
; MemoryBound: 0
; FloatMode: 240
; IeeeMode: 1
; LDSByteSize: 512 bytes/workgroup (compile time only)
; SGPRBlocks: 3
; VGPRBlocks: 1
; NumSGPRsForWavesPerEU: 28
; NumVGPRsForWavesPerEU: 12
; AccumOffset: 12
; Occupancy: 8
; WaveLimiterHint : 1
; COMPUTE_PGM_RSRC2:SCRATCH_EN: 0
; COMPUTE_PGM_RSRC2:USER_SGPR: 6
; COMPUTE_PGM_RSRC2:TRAP_HANDLER: 0
; COMPUTE_PGM_RSRC2:TGID_X_EN: 1
; COMPUTE_PGM_RSRC2:TGID_Y_EN: 0
; COMPUTE_PGM_RSRC2:TGID_Z_EN: 1
; COMPUTE_PGM_RSRC2:TIDIG_COMP_CNT: 0
; COMPUTE_PGM_RSRC3_GFX90A:ACCUM_OFFSET: 2
; COMPUTE_PGM_RSRC3_GFX90A:TG_SPLIT: 0
	.section	.text._ZL24rocblas_dot_kernel_magsqIiLb0ELi512ELi2ELb0E19rocblas_complex_numIfEPKPKS1_S1_EviT5_lT_liPT6_PT4_,"axG",@progbits,_ZL24rocblas_dot_kernel_magsqIiLb0ELi512ELi2ELb0E19rocblas_complex_numIfEPKPKS1_S1_EviT5_lT_liPT6_PT4_,comdat
	.globl	_ZL24rocblas_dot_kernel_magsqIiLb0ELi512ELi2ELb0E19rocblas_complex_numIfEPKPKS1_S1_EviT5_lT_liPT6_PT4_ ; -- Begin function _ZL24rocblas_dot_kernel_magsqIiLb0ELi512ELi2ELb0E19rocblas_complex_numIfEPKPKS1_S1_EviT5_lT_liPT6_PT4_
	.p2align	8
	.type	_ZL24rocblas_dot_kernel_magsqIiLb0ELi512ELi2ELb0E19rocblas_complex_numIfEPKPKS1_S1_EviT5_lT_liPT6_PT4_,@function
_ZL24rocblas_dot_kernel_magsqIiLb0ELi512ELi2ELb0E19rocblas_complex_numIfEPKPKS1_S1_EviT5_lT_liPT6_PT4_: ; @_ZL24rocblas_dot_kernel_magsqIiLb0ELi512ELi2ELb0E19rocblas_complex_numIfEPKPKS1_S1_EviT5_lT_liPT6_PT4_
; %bb.0:
	s_mov_b32 s2, s7
	s_load_dword s7, s[4:5], 0x0
	s_load_dword s10, s[4:5], 0x40
	v_lshl_or_b32 v1, s6, 9, v0
	v_mov_b32_e32 v2, 0
	s_mov_b32 s3, 0
	s_waitcnt lgkmcnt(0)
	v_cmp_gt_i32_e32 vcc, s7, v1
	v_mov_b32_e32 v3, v2
	s_and_saveexec_b64 s[0:1], vcc
	s_cbranch_execz .LBB217_4
; %bb.1:
	s_load_dwordx4 s[12:15], s[4:5], 0x8
	s_load_dword s11, s[4:5], 0x18
	s_lshl_b64 s[8:9], s[2:3], 3
	s_waitcnt lgkmcnt(0)
	s_add_u32 s8, s12, s8
	s_addc_u32 s9, s13, s9
	s_load_dwordx2 s[8:9], s[8:9], 0x0
	v_mad_i64_i32 v[2:3], s[12:13], v1, s11, 0
	s_lshl_b64 s[12:13], s[14:15], 3
	v_lshlrev_b64 v[2:3], 3, v[2:3]
	s_waitcnt lgkmcnt(0)
	s_add_u32 s12, s8, s12
	s_addc_u32 s13, s9, s13
	v_mov_b32_e32 v1, s13
	v_add_co_u32_e32 v2, vcc, s12, v2
	v_addc_co_u32_e32 v3, vcc, v1, v3, vcc
	global_load_dwordx2 v[2:3], v[2:3], off
	s_add_i32 s8, s6, s10
	v_lshl_or_b32 v1, s8, 9, v0
	v_cmp_gt_i32_e32 vcc, s7, v1
	s_waitcnt vmcnt(0)
	v_pk_mul_f32 v[4:5], v[2:3], v[2:3]
	v_pk_mul_f32 v[6:7], v[2:3], v[2:3] op_sel_hi:[0,1]
	v_mov_b32_e32 v4, v5
	v_mov_b32_e32 v5, v7
	v_pk_add_f32 v[6:7], v[6:7], v[6:7]
	v_pk_fma_f32 v[2:3], v[2:3], v[2:3], v[4:5] op_sel_hi:[0,1,1] neg_lo:[0,0,1] neg_hi:[0,0,1]
	v_mov_b32_e32 v3, v7
	v_pk_add_f32 v[2:3], v[2:3], 0 op_sel_hi:[1,0]
	s_and_saveexec_b64 s[8:9], vcc
	s_cbranch_execz .LBB217_3
; %bb.2:
	v_mad_i64_i32 v[4:5], s[14:15], v1, s11, 0
	v_lshlrev_b64 v[4:5], 3, v[4:5]
	v_mov_b32_e32 v1, s13
	v_add_co_u32_e32 v4, vcc, s12, v4
	v_addc_co_u32_e32 v5, vcc, v1, v5, vcc
	global_load_dwordx2 v[4:5], v[4:5], off
	s_waitcnt vmcnt(0)
	v_pk_mul_f32 v[6:7], v[4:5], v[4:5] op_sel_hi:[0,1]
	v_pk_mul_f32 v[8:9], v[4:5], v[4:5]
	v_mov_b32_e32 v8, v9
	v_mov_b32_e32 v9, v7
	v_pk_fma_f32 v[4:5], v[4:5], v[4:5], v[8:9] op_sel_hi:[0,1,1] neg_lo:[0,0,1] neg_hi:[0,0,1]
	v_pk_add_f32 v[6:7], v[6:7], v[6:7]
	v_mov_b32_e32 v5, v7
	v_pk_add_f32 v[2:3], v[2:3], v[4:5]
.LBB217_3:
	s_or_b64 exec, exec, s[8:9]
.LBB217_4:
	s_or_b64 exec, exec, s[0:1]
	v_and_b32_e32 v6, 63, v0
	v_cmp_gt_u32_e32 vcc, 64, v0
	v_lshlrev_b32_e32 v1, 3, v6
	s_and_saveexec_b64 s[0:1], vcc
	s_cbranch_execz .LBB217_6
; %bb.5:
	v_mov_b32_e32 v4, 0
	v_mov_b32_e32 v5, v4
	ds_write_b64 v1, v[4:5]
.LBB217_6:
	s_or_b64 exec, exec, s[0:1]
	v_mbcnt_lo_u32_b32 v4, -1, 0
	v_mbcnt_hi_u32_b32 v9, -1, v4
	v_and_b32_e32 v10, 63, v9
	v_cmp_gt_u32_e64 s[0:1], 32, v10
	v_cndmask_b32_e64 v4, 0, 1, s[0:1]
	v_lshlrev_b32_e32 v4, 5, v4
	v_add_lshl_u32 v5, v4, v9, 2
	ds_bpermute_b32 v4, v5, v2
	ds_bpermute_b32 v5, v5, v3
	v_cmp_gt_u32_e64 s[0:1], 48, v10
	v_cndmask_b32_e64 v7, 0, 1, s[0:1]
	v_lshlrev_b32_e32 v7, 4, v7
	v_add_lshl_u32 v7, v7, v9, 2
	s_waitcnt lgkmcnt(0)
	v_pk_add_f32 v[2:3], v[2:3], v[4:5]
	ds_bpermute_b32 v4, v7, v2
	ds_bpermute_b32 v5, v7, v3
	v_cmp_gt_u32_e64 s[0:1], 56, v10
	v_cndmask_b32_e64 v7, 0, 1, s[0:1]
	v_lshlrev_b32_e32 v7, 3, v7
	v_add_lshl_u32 v7, v7, v9, 2
	s_waitcnt lgkmcnt(0)
	v_pk_add_f32 v[2:3], v[2:3], v[4:5]
	;; [unrolled: 8-line block ×4, first 2 shown]
	ds_bpermute_b32 v4, v8, v2
	ds_bpermute_b32 v5, v8, v3
	v_cmp_ne_u32_e64 s[0:1], 63, v10
	s_waitcnt lgkmcnt(0)
	s_barrier
	v_pk_add_f32 v[2:3], v[2:3], v[4:5]
	v_addc_co_u32_e64 v4, s[0:1], 0, v9, s[0:1]
	v_lshlrev_b32_e32 v9, 2, v4
	ds_bpermute_b32 v4, v9, v2
	ds_bpermute_b32 v5, v9, v3
	v_cmp_eq_u32_e64 s[0:1], 0, v6
	s_and_saveexec_b64 s[8:9], s[0:1]
	s_cbranch_execz .LBB217_8
; %bb.7:
	v_lshrrev_b32_e32 v6, 3, v0
	v_and_b32_e32 v6, 56, v6
	s_waitcnt lgkmcnt(0)
	v_pk_add_f32 v[2:3], v[2:3], v[4:5]
	ds_write_b64 v6, v[2:3]
.LBB217_8:
	s_or_b64 exec, exec, s[8:9]
	v_cmp_gt_u32_e64 s[0:1], 8, v0
	v_mov_b32_e32 v2, 0
	v_mov_b32_e32 v3, 0
	s_waitcnt lgkmcnt(0)
	s_barrier
	s_and_saveexec_b64 s[8:9], s[0:1]
	s_cbranch_execnz .LBB217_12
; %bb.9:
	s_or_b64 exec, exec, s[8:9]
	s_and_saveexec_b64 s[0:1], vcc
	s_cbranch_execnz .LBB217_13
.LBB217_10:
	s_or_b64 exec, exec, s[0:1]
	v_cmp_eq_u32_e32 vcc, 0, v0
	s_and_saveexec_b64 s[0:1], vcc
	s_cbranch_execnz .LBB217_14
.LBB217_11:
	s_endpgm
.LBB217_12:
	ds_read_b64 v[2:3], v1
	s_or_b64 exec, exec, s[8:9]
	s_and_saveexec_b64 s[0:1], vcc
	s_cbranch_execz .LBB217_10
.LBB217_13:
	s_waitcnt lgkmcnt(0)
	ds_bpermute_b32 v4, v7, v2
	ds_bpermute_b32 v5, v7, v3
	s_waitcnt lgkmcnt(0)
	v_pk_add_f32 v[2:3], v[2:3], v[4:5]
	ds_bpermute_b32 v4, v8, v2
	ds_bpermute_b32 v5, v8, v3
	s_waitcnt lgkmcnt(0)
	v_pk_add_f32 v[2:3], v[2:3], v[4:5]
	;; [unrolled: 4-line block ×3, first 2 shown]
	s_or_b64 exec, exec, s[0:1]
	v_cmp_eq_u32_e32 vcc, 0, v0
	s_and_saveexec_b64 s[0:1], vcc
	s_cbranch_execz .LBB217_11
.LBB217_14:
	s_cmp_lg_u32 s10, 1
	s_cbranch_scc0 .LBB217_16
; %bb.15:
	s_load_dwordx2 s[0:1], s[4:5], 0x30
	s_mul_hi_u32 s9, s10, s2
	s_mul_i32 s8, s10, s2
	s_lshl_b64 s[8:9], s[8:9], 3
	s_mov_b32 s7, 0
	s_waitcnt lgkmcnt(0)
	s_add_u32 s8, s0, s8
	s_addc_u32 s9, s1, s9
	s_lshl_b64 s[0:1], s[6:7], 3
	s_add_u32 s0, s8, s0
	s_addc_u32 s1, s9, s1
	s_cbranch_execz .LBB217_17
	s_branch .LBB217_18
.LBB217_16:
                                        ; implicit-def: $sgpr0_sgpr1
.LBB217_17:
	s_load_dwordx2 s[0:1], s[4:5], 0x38
	s_lshl_b64 s[2:3], s[2:3], 3
	s_waitcnt lgkmcnt(0)
	s_add_u32 s0, s0, s2
	s_addc_u32 s1, s1, s3
.LBB217_18:
	v_mov_b32_e32 v0, 0
	s_waitcnt lgkmcnt(0)
	global_store_dwordx2 v0, v[2:3], s[0:1]
	s_endpgm
	.section	.rodata,"a",@progbits
	.p2align	6, 0x0
	.amdhsa_kernel _ZL24rocblas_dot_kernel_magsqIiLb0ELi512ELi2ELb0E19rocblas_complex_numIfEPKPKS1_S1_EviT5_lT_liPT6_PT4_
		.amdhsa_group_segment_fixed_size 512
		.amdhsa_private_segment_fixed_size 0
		.amdhsa_kernarg_size 320
		.amdhsa_user_sgpr_count 6
		.amdhsa_user_sgpr_private_segment_buffer 1
		.amdhsa_user_sgpr_dispatch_ptr 0
		.amdhsa_user_sgpr_queue_ptr 0
		.amdhsa_user_sgpr_kernarg_segment_ptr 1
		.amdhsa_user_sgpr_dispatch_id 0
		.amdhsa_user_sgpr_flat_scratch_init 0
		.amdhsa_user_sgpr_kernarg_preload_length 0
		.amdhsa_user_sgpr_kernarg_preload_offset 0
		.amdhsa_user_sgpr_private_segment_size 0
		.amdhsa_uses_dynamic_stack 0
		.amdhsa_system_sgpr_private_segment_wavefront_offset 0
		.amdhsa_system_sgpr_workgroup_id_x 1
		.amdhsa_system_sgpr_workgroup_id_y 0
		.amdhsa_system_sgpr_workgroup_id_z 1
		.amdhsa_system_sgpr_workgroup_info 0
		.amdhsa_system_vgpr_workitem_id 0
		.amdhsa_next_free_vgpr 11
		.amdhsa_next_free_sgpr 16
		.amdhsa_accum_offset 12
		.amdhsa_reserve_vcc 1
		.amdhsa_reserve_flat_scratch 0
		.amdhsa_float_round_mode_32 0
		.amdhsa_float_round_mode_16_64 0
		.amdhsa_float_denorm_mode_32 3
		.amdhsa_float_denorm_mode_16_64 3
		.amdhsa_dx10_clamp 1
		.amdhsa_ieee_mode 1
		.amdhsa_fp16_overflow 0
		.amdhsa_tg_split 0
		.amdhsa_exception_fp_ieee_invalid_op 0
		.amdhsa_exception_fp_denorm_src 0
		.amdhsa_exception_fp_ieee_div_zero 0
		.amdhsa_exception_fp_ieee_overflow 0
		.amdhsa_exception_fp_ieee_underflow 0
		.amdhsa_exception_fp_ieee_inexact 0
		.amdhsa_exception_int_div_zero 0
	.end_amdhsa_kernel
	.section	.text._ZL24rocblas_dot_kernel_magsqIiLb0ELi512ELi2ELb0E19rocblas_complex_numIfEPKPKS1_S1_EviT5_lT_liPT6_PT4_,"axG",@progbits,_ZL24rocblas_dot_kernel_magsqIiLb0ELi512ELi2ELb0E19rocblas_complex_numIfEPKPKS1_S1_EviT5_lT_liPT6_PT4_,comdat
.Lfunc_end217:
	.size	_ZL24rocblas_dot_kernel_magsqIiLb0ELi512ELi2ELb0E19rocblas_complex_numIfEPKPKS1_S1_EviT5_lT_liPT6_PT4_, .Lfunc_end217-_ZL24rocblas_dot_kernel_magsqIiLb0ELi512ELi2ELb0E19rocblas_complex_numIfEPKPKS1_S1_EviT5_lT_liPT6_PT4_
                                        ; -- End function
	.section	.AMDGPU.csdata,"",@progbits
; Kernel info:
; codeLenInByte = 1052
; NumSgprs: 20
; NumVgprs: 11
; NumAgprs: 0
; TotalNumVgprs: 11
; ScratchSize: 0
; MemoryBound: 0
; FloatMode: 240
; IeeeMode: 1
; LDSByteSize: 512 bytes/workgroup (compile time only)
; SGPRBlocks: 2
; VGPRBlocks: 1
; NumSGPRsForWavesPerEU: 20
; NumVGPRsForWavesPerEU: 11
; AccumOffset: 12
; Occupancy: 8
; WaveLimiterHint : 1
; COMPUTE_PGM_RSRC2:SCRATCH_EN: 0
; COMPUTE_PGM_RSRC2:USER_SGPR: 6
; COMPUTE_PGM_RSRC2:TRAP_HANDLER: 0
; COMPUTE_PGM_RSRC2:TGID_X_EN: 1
; COMPUTE_PGM_RSRC2:TGID_Y_EN: 0
; COMPUTE_PGM_RSRC2:TGID_Z_EN: 1
; COMPUTE_PGM_RSRC2:TIDIG_COMP_CNT: 0
; COMPUTE_PGM_RSRC3_GFX90A:ACCUM_OFFSET: 2
; COMPUTE_PGM_RSRC3_GFX90A:TG_SPLIT: 0
	.section	.text._ZL28rocblas_dot_batched_4_kernelIlLi32ELi4ELb0E19rocblas_complex_numIfES1_PKPKS1_EviT5_lT_lS6_lS7_liPT4_,"axG",@progbits,_ZL28rocblas_dot_batched_4_kernelIlLi32ELi4ELb0E19rocblas_complex_numIfES1_PKPKS1_EviT5_lT_lS6_lS7_liPT4_,comdat
	.globl	_ZL28rocblas_dot_batched_4_kernelIlLi32ELi4ELb0E19rocblas_complex_numIfES1_PKPKS1_EviT5_lT_lS6_lS7_liPT4_ ; -- Begin function _ZL28rocblas_dot_batched_4_kernelIlLi32ELi4ELb0E19rocblas_complex_numIfES1_PKPKS1_EviT5_lT_lS6_lS7_liPT4_
	.p2align	8
	.type	_ZL28rocblas_dot_batched_4_kernelIlLi32ELi4ELb0E19rocblas_complex_numIfES1_PKPKS1_EviT5_lT_lS6_lS7_liPT4_,@function
_ZL28rocblas_dot_batched_4_kernelIlLi32ELi4ELb0E19rocblas_complex_numIfES1_PKPKS1_EviT5_lT_lS6_lS7_liPT4_: ; @_ZL28rocblas_dot_batched_4_kernelIlLi32ELi4ELb0E19rocblas_complex_numIfES1_PKPKS1_EviT5_lT_lS6_lS7_liPT4_
; %bb.0:
	s_load_dword s0, s[4:5], 0x48
	v_bfe_u32 v1, v0, 10, 10
	v_lshl_add_u32 v2, s6, 2, v1
	s_waitcnt lgkmcnt(0)
	v_cmp_gt_u32_e32 vcc, s0, v2
	s_and_saveexec_b64 s[0:1], vcc
	s_cbranch_execz .LBB218_7
; %bb.1:
	s_load_dword s14, s[4:5], 0x0
	s_load_dwordx2 s[8:9], s[4:5], 0x50
	v_mov_b32_e32 v3, 0
	v_and_b32_e32 v8, 0x3ff, v0
	v_lshlrev_b64 v[0:1], 3, v[2:3]
	s_waitcnt lgkmcnt(0)
	v_cmp_gt_i32_e32 vcc, s14, v8
	v_mov_b32_e32 v2, v3
	s_and_saveexec_b64 s[10:11], vcc
	s_cbranch_execz .LBB218_5
; %bb.2:
	s_load_dwordx2 s[6:7], s[4:5], 0x8
	s_load_dwordx2 s[12:13], s[4:5], 0x28
	s_load_dwordx4 s[0:3], s[4:5], 0x10
	v_mov_b32_e32 v9, v8
	s_waitcnt lgkmcnt(0)
	v_mov_b32_e32 v3, s7
	v_add_co_u32_e32 v2, vcc, s6, v0
	v_addc_co_u32_e32 v3, vcc, v3, v1, vcc
	global_load_dwordx2 v[4:5], v[2:3], off
	v_mov_b32_e32 v3, s13
	v_add_co_u32_e32 v2, vcc, s12, v0
	v_addc_co_u32_e32 v3, vcc, v3, v1, vcc
	global_load_dwordx2 v[6:7], v[2:3], off
	s_load_dwordx4 s[4:7], s[4:5], 0x30
	v_mad_u64_u32 v[12:13], s[16:17], s2, v8, 0
	v_mov_b32_e32 v16, v13
	s_lshl_b64 s[16:17], s[0:1], 3
	s_lshl_b64 s[0:1], s[2:3], 8
	s_waitcnt lgkmcnt(0)
	v_mad_u64_u32 v[14:15], s[18:19], s6, v8, 0
	v_mad_u64_u32 v[16:17], s[2:3], s3, v8, v[16:17]
	v_mov_b32_e32 v18, v15
	v_mov_b32_e32 v13, v16
	v_mad_u64_u32 v[18:19], s[2:3], s7, v8, v[18:19]
	v_lshlrev_b64 v[12:13], 3, v[12:13]
	v_mov_b32_e32 v3, s17
	v_mov_b32_e32 v15, v18
	v_add_co_u32_e32 v12, vcc, s16, v12
	s_lshl_b64 s[18:19], s[4:5], 3
	v_lshlrev_b64 v[14:15], 3, v[14:15]
	v_addc_co_u32_e32 v3, vcc, v13, v3, vcc
	v_mov_b32_e32 v20, s19
	v_add_co_u32_e32 v13, vcc, s18, v14
	v_addc_co_u32_e32 v14, vcc, v15, v20, vcc
	v_mov_b32_e32 v2, 0
	s_lshl_b64 s[4:5], s[6:7], 8
	s_mov_b64 s[12:13], 0
	v_mov_b32_e32 v10, s1
	v_mov_b32_e32 v11, s5
	s_waitcnt vmcnt(1)
	v_add_co_u32_e32 v4, vcc, v4, v12
	v_addc_co_u32_e32 v5, vcc, v5, v3, vcc
	s_waitcnt vmcnt(0)
	v_add_co_u32_e32 v3, vcc, v13, v6
	v_addc_co_u32_e32 v7, vcc, v14, v7, vcc
	v_add_co_u32_e32 v6, vcc, 4, v3
	v_addc_co_u32_e32 v7, vcc, 0, v7, vcc
	v_mov_b32_e32 v3, v2
.LBB218_3:                              ; =>This Inner Loop Header: Depth=1
	global_load_dwordx2 v[12:13], v[6:7], off offset:-4
	global_load_dwordx2 v[14:15], v[4:5], off
	v_add_co_u32_e32 v4, vcc, s0, v4
	v_addc_co_u32_e32 v5, vcc, v5, v10, vcc
	v_add_co_u32_e32 v6, vcc, s4, v6
	v_add_u32_e32 v9, 32, v9
	v_addc_co_u32_e32 v7, vcc, v7, v11, vcc
	v_cmp_le_i32_e32 vcc, s14, v9
	s_or_b64 s[12:13], vcc, s[12:13]
	s_waitcnt vmcnt(0)
	v_pk_mul_f32 v[16:17], v[14:15], v[12:13] op_sel:[0,1]
	v_pk_fma_f32 v[18:19], v[14:15], v[12:13], v[16:17] op_sel:[0,0,1] op_sel_hi:[1,1,0] neg_lo:[0,0,1] neg_hi:[0,0,1]
	v_pk_fma_f32 v[12:13], v[14:15], v[12:13], v[16:17] op_sel:[0,0,1] op_sel_hi:[1,0,0]
	v_mov_b32_e32 v19, v13
	v_pk_add_f32 v[2:3], v[2:3], v[18:19]
	s_andn2_b64 exec, exec, s[12:13]
	s_cbranch_execnz .LBB218_3
; %bb.4:
	s_or_b64 exec, exec, s[12:13]
.LBB218_5:
	s_or_b64 exec, exec, s[10:11]
	v_mbcnt_lo_u32_b32 v4, -1, 0
	v_mbcnt_hi_u32_b32 v6, -1, v4
	v_and_b32_e32 v7, 63, v6
	v_cmp_gt_u32_e32 vcc, 48, v7
	v_cndmask_b32_e64 v4, 0, 1, vcc
	v_lshlrev_b32_e32 v4, 4, v4
	v_add_lshl_u32 v5, v4, v6, 2
	ds_bpermute_b32 v4, v5, v2
	ds_bpermute_b32 v5, v5, v3
	v_cmp_gt_u32_e32 vcc, 56, v7
	v_cndmask_b32_e64 v9, 0, 1, vcc
	v_lshlrev_b32_e32 v9, 3, v9
	v_add_lshl_u32 v9, v9, v6, 2
	s_waitcnt lgkmcnt(0)
	v_pk_add_f32 v[2:3], v[2:3], v[4:5]
	ds_bpermute_b32 v4, v9, v2
	ds_bpermute_b32 v5, v9, v3
	v_cmp_gt_u32_e32 vcc, 60, v7
	v_cndmask_b32_e64 v9, 0, 1, vcc
	v_lshlrev_b32_e32 v9, 2, v9
	v_add_lshl_u32 v9, v9, v6, 2
	s_waitcnt lgkmcnt(0)
	v_pk_add_f32 v[2:3], v[2:3], v[4:5]
	;; [unrolled: 8-line block ×3, first 2 shown]
	ds_bpermute_b32 v4, v9, v2
	ds_bpermute_b32 v5, v9, v3
	v_cmp_ne_u32_e32 vcc, 63, v7
	s_waitcnt lgkmcnt(0)
	s_barrier
	v_pk_add_f32 v[2:3], v[2:3], v[4:5]
	v_addc_co_u32_e32 v4, vcc, 0, v6, vcc
	v_lshlrev_b32_e32 v5, 2, v4
	ds_bpermute_b32 v4, v5, v2
	ds_bpermute_b32 v5, v5, v3
	v_cmp_eq_u32_e32 vcc, 0, v8
	s_and_b64 exec, exec, vcc
	s_cbranch_execz .LBB218_7
; %bb.6:
	v_mov_b32_e32 v6, s9
	v_add_co_u32_e32 v0, vcc, s8, v0
	v_addc_co_u32_e32 v1, vcc, v6, v1, vcc
	s_waitcnt lgkmcnt(0)
	v_pk_add_f32 v[2:3], v[2:3], v[4:5]
	global_store_dwordx2 v[0:1], v[2:3], off
.LBB218_7:
	s_endpgm
	.section	.rodata,"a",@progbits
	.p2align	6, 0x0
	.amdhsa_kernel _ZL28rocblas_dot_batched_4_kernelIlLi32ELi4ELb0E19rocblas_complex_numIfES1_PKPKS1_EviT5_lT_lS6_lS7_liPT4_
		.amdhsa_group_segment_fixed_size 0
		.amdhsa_private_segment_fixed_size 0
		.amdhsa_kernarg_size 88
		.amdhsa_user_sgpr_count 6
		.amdhsa_user_sgpr_private_segment_buffer 1
		.amdhsa_user_sgpr_dispatch_ptr 0
		.amdhsa_user_sgpr_queue_ptr 0
		.amdhsa_user_sgpr_kernarg_segment_ptr 1
		.amdhsa_user_sgpr_dispatch_id 0
		.amdhsa_user_sgpr_flat_scratch_init 0
		.amdhsa_user_sgpr_kernarg_preload_length 0
		.amdhsa_user_sgpr_kernarg_preload_offset 0
		.amdhsa_user_sgpr_private_segment_size 0
		.amdhsa_uses_dynamic_stack 0
		.amdhsa_system_sgpr_private_segment_wavefront_offset 0
		.amdhsa_system_sgpr_workgroup_id_x 1
		.amdhsa_system_sgpr_workgroup_id_y 0
		.amdhsa_system_sgpr_workgroup_id_z 0
		.amdhsa_system_sgpr_workgroup_info 0
		.amdhsa_system_vgpr_workitem_id 1
		.amdhsa_next_free_vgpr 21
		.amdhsa_next_free_sgpr 20
		.amdhsa_accum_offset 24
		.amdhsa_reserve_vcc 1
		.amdhsa_reserve_flat_scratch 0
		.amdhsa_float_round_mode_32 0
		.amdhsa_float_round_mode_16_64 0
		.amdhsa_float_denorm_mode_32 3
		.amdhsa_float_denorm_mode_16_64 3
		.amdhsa_dx10_clamp 1
		.amdhsa_ieee_mode 1
		.amdhsa_fp16_overflow 0
		.amdhsa_tg_split 0
		.amdhsa_exception_fp_ieee_invalid_op 0
		.amdhsa_exception_fp_denorm_src 0
		.amdhsa_exception_fp_ieee_div_zero 0
		.amdhsa_exception_fp_ieee_overflow 0
		.amdhsa_exception_fp_ieee_underflow 0
		.amdhsa_exception_fp_ieee_inexact 0
		.amdhsa_exception_int_div_zero 0
	.end_amdhsa_kernel
	.section	.text._ZL28rocblas_dot_batched_4_kernelIlLi32ELi4ELb0E19rocblas_complex_numIfES1_PKPKS1_EviT5_lT_lS6_lS7_liPT4_,"axG",@progbits,_ZL28rocblas_dot_batched_4_kernelIlLi32ELi4ELb0E19rocblas_complex_numIfES1_PKPKS1_EviT5_lT_lS6_lS7_liPT4_,comdat
.Lfunc_end218:
	.size	_ZL28rocblas_dot_batched_4_kernelIlLi32ELi4ELb0E19rocblas_complex_numIfES1_PKPKS1_EviT5_lT_lS6_lS7_liPT4_, .Lfunc_end218-_ZL28rocblas_dot_batched_4_kernelIlLi32ELi4ELb0E19rocblas_complex_numIfES1_PKPKS1_EviT5_lT_lS6_lS7_liPT4_
                                        ; -- End function
	.section	.AMDGPU.csdata,"",@progbits
; Kernel info:
; codeLenInByte = 744
; NumSgprs: 24
; NumVgprs: 21
; NumAgprs: 0
; TotalNumVgprs: 21
; ScratchSize: 0
; MemoryBound: 0
; FloatMode: 240
; IeeeMode: 1
; LDSByteSize: 0 bytes/workgroup (compile time only)
; SGPRBlocks: 2
; VGPRBlocks: 2
; NumSGPRsForWavesPerEU: 24
; NumVGPRsForWavesPerEU: 21
; AccumOffset: 24
; Occupancy: 8
; WaveLimiterHint : 0
; COMPUTE_PGM_RSRC2:SCRATCH_EN: 0
; COMPUTE_PGM_RSRC2:USER_SGPR: 6
; COMPUTE_PGM_RSRC2:TRAP_HANDLER: 0
; COMPUTE_PGM_RSRC2:TGID_X_EN: 1
; COMPUTE_PGM_RSRC2:TGID_Y_EN: 0
; COMPUTE_PGM_RSRC2:TGID_Z_EN: 0
; COMPUTE_PGM_RSRC2:TIDIG_COMP_CNT: 1
; COMPUTE_PGM_RSRC3_GFX90A:ACCUM_OFFSET: 5
; COMPUTE_PGM_RSRC3_GFX90A:TG_SPLIT: 0
	.section	.text._ZL28rocblas_dot_batched_4_kernelIlLi64ELi4ELb0E19rocblas_complex_numIfES1_PKPKS1_EviT5_lT_lS6_lS7_liPT4_,"axG",@progbits,_ZL28rocblas_dot_batched_4_kernelIlLi64ELi4ELb0E19rocblas_complex_numIfES1_PKPKS1_EviT5_lT_lS6_lS7_liPT4_,comdat
	.globl	_ZL28rocblas_dot_batched_4_kernelIlLi64ELi4ELb0E19rocblas_complex_numIfES1_PKPKS1_EviT5_lT_lS6_lS7_liPT4_ ; -- Begin function _ZL28rocblas_dot_batched_4_kernelIlLi64ELi4ELb0E19rocblas_complex_numIfES1_PKPKS1_EviT5_lT_lS6_lS7_liPT4_
	.p2align	8
	.type	_ZL28rocblas_dot_batched_4_kernelIlLi64ELi4ELb0E19rocblas_complex_numIfES1_PKPKS1_EviT5_lT_lS6_lS7_liPT4_,@function
_ZL28rocblas_dot_batched_4_kernelIlLi64ELi4ELb0E19rocblas_complex_numIfES1_PKPKS1_EviT5_lT_lS6_lS7_liPT4_: ; @_ZL28rocblas_dot_batched_4_kernelIlLi64ELi4ELb0E19rocblas_complex_numIfES1_PKPKS1_EviT5_lT_lS6_lS7_liPT4_
; %bb.0:
	s_load_dword s0, s[4:5], 0x48
	v_bfe_u32 v1, v0, 10, 10
	v_lshl_add_u32 v2, s6, 2, v1
	s_waitcnt lgkmcnt(0)
	v_cmp_gt_u32_e32 vcc, s0, v2
	s_and_saveexec_b64 s[0:1], vcc
	s_cbranch_execz .LBB219_7
; %bb.1:
	s_load_dword s14, s[4:5], 0x0
	s_load_dwordx2 s[8:9], s[4:5], 0x50
	v_mov_b32_e32 v3, 0
	v_and_b32_e32 v8, 0x3ff, v0
	v_lshlrev_b64 v[0:1], 3, v[2:3]
	s_waitcnt lgkmcnt(0)
	v_cmp_gt_i32_e32 vcc, s14, v8
	v_mov_b32_e32 v2, v3
	s_and_saveexec_b64 s[10:11], vcc
	s_cbranch_execz .LBB219_5
; %bb.2:
	s_load_dwordx2 s[6:7], s[4:5], 0x8
	s_load_dwordx2 s[12:13], s[4:5], 0x28
	s_load_dwordx4 s[0:3], s[4:5], 0x10
	v_mov_b32_e32 v9, v8
	s_waitcnt lgkmcnt(0)
	v_mov_b32_e32 v3, s7
	v_add_co_u32_e32 v2, vcc, s6, v0
	v_addc_co_u32_e32 v3, vcc, v3, v1, vcc
	global_load_dwordx2 v[4:5], v[2:3], off
	v_mov_b32_e32 v3, s13
	v_add_co_u32_e32 v2, vcc, s12, v0
	v_addc_co_u32_e32 v3, vcc, v3, v1, vcc
	global_load_dwordx2 v[6:7], v[2:3], off
	s_load_dwordx4 s[4:7], s[4:5], 0x30
	v_mad_u64_u32 v[12:13], s[16:17], s2, v8, 0
	v_mov_b32_e32 v16, v13
	s_lshl_b64 s[16:17], s[0:1], 3
	s_lshl_b64 s[0:1], s[2:3], 9
	s_waitcnt lgkmcnt(0)
	v_mad_u64_u32 v[14:15], s[18:19], s6, v8, 0
	v_mad_u64_u32 v[16:17], s[2:3], s3, v8, v[16:17]
	v_mov_b32_e32 v18, v15
	v_mov_b32_e32 v13, v16
	v_mad_u64_u32 v[18:19], s[2:3], s7, v8, v[18:19]
	v_lshlrev_b64 v[12:13], 3, v[12:13]
	v_mov_b32_e32 v3, s17
	v_mov_b32_e32 v15, v18
	v_add_co_u32_e32 v12, vcc, s16, v12
	s_lshl_b64 s[18:19], s[4:5], 3
	v_lshlrev_b64 v[14:15], 3, v[14:15]
	v_addc_co_u32_e32 v3, vcc, v13, v3, vcc
	v_mov_b32_e32 v20, s19
	v_add_co_u32_e32 v13, vcc, s18, v14
	v_addc_co_u32_e32 v14, vcc, v15, v20, vcc
	v_mov_b32_e32 v2, 0
	s_lshl_b64 s[4:5], s[6:7], 9
	s_mov_b64 s[12:13], 0
	v_mov_b32_e32 v10, s1
	v_mov_b32_e32 v11, s5
	s_waitcnt vmcnt(1)
	v_add_co_u32_e32 v4, vcc, v4, v12
	v_addc_co_u32_e32 v5, vcc, v5, v3, vcc
	s_waitcnt vmcnt(0)
	v_add_co_u32_e32 v3, vcc, v13, v6
	v_addc_co_u32_e32 v7, vcc, v14, v7, vcc
	v_add_co_u32_e32 v6, vcc, 4, v3
	v_addc_co_u32_e32 v7, vcc, 0, v7, vcc
	v_mov_b32_e32 v3, v2
.LBB219_3:                              ; =>This Inner Loop Header: Depth=1
	global_load_dwordx2 v[12:13], v[6:7], off offset:-4
	global_load_dwordx2 v[14:15], v[4:5], off
	v_add_co_u32_e32 v4, vcc, s0, v4
	v_addc_co_u32_e32 v5, vcc, v5, v10, vcc
	v_add_co_u32_e32 v6, vcc, s4, v6
	v_add_u32_e32 v9, 64, v9
	v_addc_co_u32_e32 v7, vcc, v7, v11, vcc
	v_cmp_le_i32_e32 vcc, s14, v9
	s_or_b64 s[12:13], vcc, s[12:13]
	s_waitcnt vmcnt(0)
	v_pk_mul_f32 v[16:17], v[14:15], v[12:13] op_sel:[0,1]
	v_pk_fma_f32 v[18:19], v[14:15], v[12:13], v[16:17] op_sel:[0,0,1] op_sel_hi:[1,1,0] neg_lo:[0,0,1] neg_hi:[0,0,1]
	v_pk_fma_f32 v[12:13], v[14:15], v[12:13], v[16:17] op_sel:[0,0,1] op_sel_hi:[1,0,0]
	v_mov_b32_e32 v19, v13
	v_pk_add_f32 v[2:3], v[2:3], v[18:19]
	s_andn2_b64 exec, exec, s[12:13]
	s_cbranch_execnz .LBB219_3
; %bb.4:
	s_or_b64 exec, exec, s[12:13]
.LBB219_5:
	s_or_b64 exec, exec, s[10:11]
	v_mbcnt_lo_u32_b32 v4, -1, 0
	v_mbcnt_hi_u32_b32 v6, -1, v4
	v_and_b32_e32 v7, 63, v6
	v_cmp_gt_u32_e32 vcc, 32, v7
	v_cndmask_b32_e64 v4, 0, 1, vcc
	v_lshlrev_b32_e32 v4, 5, v4
	v_add_lshl_u32 v5, v4, v6, 2
	ds_bpermute_b32 v4, v5, v2
	ds_bpermute_b32 v5, v5, v3
	v_cmp_gt_u32_e32 vcc, 48, v7
	v_cndmask_b32_e64 v9, 0, 1, vcc
	v_lshlrev_b32_e32 v9, 4, v9
	v_add_lshl_u32 v9, v9, v6, 2
	s_waitcnt lgkmcnt(0)
	v_pk_add_f32 v[2:3], v[2:3], v[4:5]
	ds_bpermute_b32 v4, v9, v2
	ds_bpermute_b32 v5, v9, v3
	v_cmp_gt_u32_e32 vcc, 56, v7
	v_cndmask_b32_e64 v9, 0, 1, vcc
	v_lshlrev_b32_e32 v9, 3, v9
	v_add_lshl_u32 v9, v9, v6, 2
	s_waitcnt lgkmcnt(0)
	v_pk_add_f32 v[2:3], v[2:3], v[4:5]
	;; [unrolled: 8-line block ×4, first 2 shown]
	ds_bpermute_b32 v4, v9, v2
	ds_bpermute_b32 v5, v9, v3
	v_cmp_ne_u32_e32 vcc, 63, v7
	s_waitcnt lgkmcnt(0)
	s_barrier
	v_pk_add_f32 v[2:3], v[2:3], v[4:5]
	v_addc_co_u32_e32 v4, vcc, 0, v6, vcc
	v_lshlrev_b32_e32 v5, 2, v4
	ds_bpermute_b32 v4, v5, v2
	ds_bpermute_b32 v5, v5, v3
	v_cmp_eq_u32_e32 vcc, 0, v8
	s_and_b64 exec, exec, vcc
	s_cbranch_execz .LBB219_7
; %bb.6:
	v_mov_b32_e32 v6, s9
	v_add_co_u32_e32 v0, vcc, s8, v0
	v_addc_co_u32_e32 v1, vcc, v6, v1, vcc
	s_waitcnt lgkmcnt(0)
	v_pk_add_f32 v[2:3], v[2:3], v[4:5]
	global_store_dwordx2 v[0:1], v[2:3], off
.LBB219_7:
	s_endpgm
	.section	.rodata,"a",@progbits
	.p2align	6, 0x0
	.amdhsa_kernel _ZL28rocblas_dot_batched_4_kernelIlLi64ELi4ELb0E19rocblas_complex_numIfES1_PKPKS1_EviT5_lT_lS6_lS7_liPT4_
		.amdhsa_group_segment_fixed_size 0
		.amdhsa_private_segment_fixed_size 0
		.amdhsa_kernarg_size 88
		.amdhsa_user_sgpr_count 6
		.amdhsa_user_sgpr_private_segment_buffer 1
		.amdhsa_user_sgpr_dispatch_ptr 0
		.amdhsa_user_sgpr_queue_ptr 0
		.amdhsa_user_sgpr_kernarg_segment_ptr 1
		.amdhsa_user_sgpr_dispatch_id 0
		.amdhsa_user_sgpr_flat_scratch_init 0
		.amdhsa_user_sgpr_kernarg_preload_length 0
		.amdhsa_user_sgpr_kernarg_preload_offset 0
		.amdhsa_user_sgpr_private_segment_size 0
		.amdhsa_uses_dynamic_stack 0
		.amdhsa_system_sgpr_private_segment_wavefront_offset 0
		.amdhsa_system_sgpr_workgroup_id_x 1
		.amdhsa_system_sgpr_workgroup_id_y 0
		.amdhsa_system_sgpr_workgroup_id_z 0
		.amdhsa_system_sgpr_workgroup_info 0
		.amdhsa_system_vgpr_workitem_id 1
		.amdhsa_next_free_vgpr 21
		.amdhsa_next_free_sgpr 20
		.amdhsa_accum_offset 24
		.amdhsa_reserve_vcc 1
		.amdhsa_reserve_flat_scratch 0
		.amdhsa_float_round_mode_32 0
		.amdhsa_float_round_mode_16_64 0
		.amdhsa_float_denorm_mode_32 3
		.amdhsa_float_denorm_mode_16_64 3
		.amdhsa_dx10_clamp 1
		.amdhsa_ieee_mode 1
		.amdhsa_fp16_overflow 0
		.amdhsa_tg_split 0
		.amdhsa_exception_fp_ieee_invalid_op 0
		.amdhsa_exception_fp_denorm_src 0
		.amdhsa_exception_fp_ieee_div_zero 0
		.amdhsa_exception_fp_ieee_overflow 0
		.amdhsa_exception_fp_ieee_underflow 0
		.amdhsa_exception_fp_ieee_inexact 0
		.amdhsa_exception_int_div_zero 0
	.end_amdhsa_kernel
	.section	.text._ZL28rocblas_dot_batched_4_kernelIlLi64ELi4ELb0E19rocblas_complex_numIfES1_PKPKS1_EviT5_lT_lS6_lS7_liPT4_,"axG",@progbits,_ZL28rocblas_dot_batched_4_kernelIlLi64ELi4ELb0E19rocblas_complex_numIfES1_PKPKS1_EviT5_lT_lS6_lS7_liPT4_,comdat
.Lfunc_end219:
	.size	_ZL28rocblas_dot_batched_4_kernelIlLi64ELi4ELb0E19rocblas_complex_numIfES1_PKPKS1_EviT5_lT_lS6_lS7_liPT4_, .Lfunc_end219-_ZL28rocblas_dot_batched_4_kernelIlLi64ELi4ELb0E19rocblas_complex_numIfES1_PKPKS1_EviT5_lT_lS6_lS7_liPT4_
                                        ; -- End function
	.section	.AMDGPU.csdata,"",@progbits
; Kernel info:
; codeLenInByte = 796
; NumSgprs: 24
; NumVgprs: 21
; NumAgprs: 0
; TotalNumVgprs: 21
; ScratchSize: 0
; MemoryBound: 0
; FloatMode: 240
; IeeeMode: 1
; LDSByteSize: 0 bytes/workgroup (compile time only)
; SGPRBlocks: 2
; VGPRBlocks: 2
; NumSGPRsForWavesPerEU: 24
; NumVGPRsForWavesPerEU: 21
; AccumOffset: 24
; Occupancy: 8
; WaveLimiterHint : 0
; COMPUTE_PGM_RSRC2:SCRATCH_EN: 0
; COMPUTE_PGM_RSRC2:USER_SGPR: 6
; COMPUTE_PGM_RSRC2:TRAP_HANDLER: 0
; COMPUTE_PGM_RSRC2:TGID_X_EN: 1
; COMPUTE_PGM_RSRC2:TGID_Y_EN: 0
; COMPUTE_PGM_RSRC2:TGID_Z_EN: 0
; COMPUTE_PGM_RSRC2:TIDIG_COMP_CNT: 1
; COMPUTE_PGM_RSRC3_GFX90A:ACCUM_OFFSET: 5
; COMPUTE_PGM_RSRC3_GFX90A:TG_SPLIT: 0
	.section	.text._ZL18rocblas_dot_kernelIlLb1ELi1024ELi32ELb0E19rocblas_complex_numIfEPKPKS1_S1_EviT5_lT_lS6_lS7_liPT6_PT4_,"axG",@progbits,_ZL18rocblas_dot_kernelIlLb1ELi1024ELi32ELb0E19rocblas_complex_numIfEPKPKS1_S1_EviT5_lT_lS6_lS7_liPT6_PT4_,comdat
	.globl	_ZL18rocblas_dot_kernelIlLb1ELi1024ELi32ELb0E19rocblas_complex_numIfEPKPKS1_S1_EviT5_lT_lS6_lS7_liPT6_PT4_ ; -- Begin function _ZL18rocblas_dot_kernelIlLb1ELi1024ELi32ELb0E19rocblas_complex_numIfEPKPKS1_S1_EviT5_lT_lS6_lS7_liPT6_PT4_
	.p2align	8
	.type	_ZL18rocblas_dot_kernelIlLb1ELi1024ELi32ELb0E19rocblas_complex_numIfEPKPKS1_S1_EviT5_lT_lS6_lS7_liPT6_PT4_,@function
_ZL18rocblas_dot_kernelIlLb1ELi1024ELi32ELb0E19rocblas_complex_numIfEPKPKS1_S1_EviT5_lT_lS6_lS7_liPT6_PT4_: ; @_ZL18rocblas_dot_kernelIlLb1ELi1024ELi32ELb0E19rocblas_complex_numIfEPKPKS1_S1_EviT5_lT_lS6_lS7_liPT6_PT4_
; %bb.0:
	s_load_dword s16, s[4:5], 0x0
	s_load_dwordx2 s[12:13], s[4:5], 0x58
	v_mov_b32_e32 v3, 0
	s_mov_b32 s6, s7
	s_mov_b32 s7, 0
	s_waitcnt lgkmcnt(0)
	v_cmp_gt_i32_e32 vcc, s16, v0
	v_mov_b32_e32 v2, v3
	s_and_saveexec_b64 s[14:15], vcc
	s_cbranch_execz .LBB220_4
; %bb.1:
	s_load_dwordx2 s[18:19], s[4:5], 0x8
	s_load_dwordx4 s[8:11], s[4:5], 0x10
	s_load_dwordx2 s[20:21], s[4:5], 0x28
	s_load_dwordx4 s[0:3], s[4:5], 0x30
	s_lshl_b64 s[22:23], s[6:7], 3
	s_waitcnt lgkmcnt(0)
	s_add_u32 s18, s18, s22
	s_addc_u32 s19, s19, s23
	s_load_dword s17, s[4:5], 0x60
	s_load_dwordx2 s[24:25], s[18:19], 0x0
	s_add_u32 s4, s20, s22
	s_addc_u32 s5, s21, s23
	s_load_dwordx2 s[18:19], s[4:5], 0x0
	v_mad_u64_u32 v[2:3], s[4:5], s10, v0, 0
	v_mov_b32_e32 v4, v3
	v_mad_u64_u32 v[4:5], s[4:5], s11, v0, v[4:5]
	s_waitcnt lgkmcnt(0)
	s_lshl_b32 s17, s17, 10
	s_lshl_b64 s[4:5], s[8:9], 3
	v_mov_b32_e32 v3, v4
	s_add_u32 s4, s24, s4
	v_lshlrev_b64 v[2:3], 3, v[2:3]
	s_addc_u32 s5, s25, s5
	s_ashr_i32 s20, s17, 31
	v_mov_b32_e32 v5, s5
	v_add_co_u32_e32 v4, vcc, s4, v2
	s_mul_i32 s4, s10, s20
	s_mul_hi_u32 s5, s10, s17
	v_addc_co_u32_e32 v5, vcc, v5, v3, vcc
	s_add_i32 s4, s5, s4
	s_mul_i32 s5, s11, s17
	v_mad_u64_u32 v[2:3], s[8:9], s2, v0, 0
	s_add_i32 s5, s4, s5
	s_mul_i32 s4, s10, s17
	v_mov_b32_e32 v6, v3
	s_lshl_b64 s[4:5], s[4:5], 3
	v_mad_u64_u32 v[6:7], s[8:9], s3, v0, v[6:7]
	s_lshl_b64 s[0:1], s[0:1], 3
	v_mov_b32_e32 v3, v6
	s_add_u32 s0, s18, s0
	v_lshlrev_b64 v[2:3], 3, v[2:3]
	s_addc_u32 s1, s19, s1
	v_mov_b32_e32 v7, s1
	v_add_co_u32_e32 v6, vcc, s0, v2
	s_mul_i32 s0, s2, s20
	s_mul_hi_u32 s1, s2, s17
	s_add_i32 s0, s1, s0
	s_mul_i32 s1, s3, s17
	s_add_i32 s1, s0, s1
	s_mul_i32 s0, s2, s17
	s_lshl_b64 s[8:9], s[0:1], 3
	v_mov_b32_e32 v2, 0
	v_or_b32_e32 v1, s17, v0
	v_addc_co_u32_e32 v7, vcc, v7, v3, vcc
	s_mov_b64 s[2:3], 0
	v_mov_b32_e32 v8, s5
	v_mov_b32_e32 v9, s9
	s_mov_b32 s5, s7
	v_mov_b32_e32 v3, v2
.LBB220_2:                              ; =>This Inner Loop Header: Depth=1
	global_load_dwordx2 v[10:11], v[6:7], off
	global_load_dwordx2 v[12:13], v[4:5], off
	v_add_co_u32_e64 v4, s[0:1], s4, v4
	v_addc_co_u32_e64 v5, s[0:1], v5, v8, s[0:1]
	s_add_i32 s9, s5, 1
	v_add_co_u32_e64 v6, s[0:1], s8, v6
	v_addc_co_u32_e64 v7, s[0:1], v7, v9, s[0:1]
	s_cmp_gt_u32 s5, 30
	v_cmp_le_i32_e32 vcc, s16, v1
	s_cselect_b64 s[0:1], -1, 0
	s_or_b64 s[0:1], s[0:1], vcc
	s_and_b64 s[0:1], exec, s[0:1]
	v_add_u32_e32 v1, s17, v1
	s_mov_b32 s5, s9
	s_or_b64 s[2:3], s[0:1], s[2:3]
	s_waitcnt vmcnt(0)
	v_pk_mul_f32 v[14:15], v[12:13], v[10:11] op_sel:[0,1]
	v_pk_fma_f32 v[16:17], v[12:13], v[10:11], v[14:15] op_sel:[0,0,1] op_sel_hi:[1,1,0] neg_lo:[0,0,1] neg_hi:[0,0,1]
	v_pk_fma_f32 v[10:11], v[12:13], v[10:11], v[14:15] op_sel:[0,0,1] op_sel_hi:[1,0,0]
	v_mov_b32_e32 v17, v11
	v_pk_add_f32 v[2:3], v[2:3], v[16:17]
	s_andn2_b64 exec, exec, s[2:3]
	s_cbranch_execnz .LBB220_2
; %bb.3:
	s_or_b64 exec, exec, s[2:3]
.LBB220_4:
	s_or_b64 exec, exec, s[14:15]
	v_and_b32_e32 v6, 63, v0
	v_cmp_gt_u32_e32 vcc, 64, v0
	v_lshlrev_b32_e32 v1, 3, v6
	s_and_saveexec_b64 s[0:1], vcc
	s_cbranch_execz .LBB220_6
; %bb.5:
	v_mov_b32_e32 v4, 0
	v_mov_b32_e32 v5, v4
	ds_write_b64 v1, v[4:5]
.LBB220_6:
	s_or_b64 exec, exec, s[0:1]
	v_mbcnt_lo_u32_b32 v4, -1, 0
	v_mbcnt_hi_u32_b32 v10, -1, v4
	v_and_b32_e32 v11, 63, v10
	v_cmp_gt_u32_e64 s[0:1], 32, v11
	v_cndmask_b32_e64 v4, 0, 1, s[0:1]
	v_lshlrev_b32_e32 v4, 5, v4
	v_add_lshl_u32 v5, v4, v10, 2
	ds_bpermute_b32 v4, v5, v2
	ds_bpermute_b32 v5, v5, v3
	v_cmp_gt_u32_e64 s[0:1], 48, v11
	v_cndmask_b32_e64 v7, 0, 1, s[0:1]
	v_lshlrev_b32_e32 v7, 4, v7
	v_add_lshl_u32 v7, v7, v10, 2
	s_waitcnt lgkmcnt(0)
	v_pk_add_f32 v[2:3], v[2:3], v[4:5]
	ds_bpermute_b32 v4, v7, v2
	ds_bpermute_b32 v5, v7, v3
	v_cmp_gt_u32_e64 s[0:1], 56, v11
	v_cndmask_b32_e64 v7, 0, 1, s[0:1]
	v_lshlrev_b32_e32 v7, 3, v7
	v_add_lshl_u32 v7, v7, v10, 2
	s_waitcnt lgkmcnt(0)
	v_pk_add_f32 v[2:3], v[2:3], v[4:5]
	ds_bpermute_b32 v4, v7, v2
	ds_bpermute_b32 v5, v7, v3
	v_cmp_gt_u32_e64 s[0:1], 60, v11
	v_cndmask_b32_e64 v8, 0, 1, s[0:1]
	v_lshlrev_b32_e32 v8, 2, v8
	v_add_lshl_u32 v8, v8, v10, 2
	s_waitcnt lgkmcnt(0)
	v_pk_add_f32 v[2:3], v[2:3], v[4:5]
	ds_bpermute_b32 v4, v8, v2
	ds_bpermute_b32 v5, v8, v3
	v_cmp_gt_u32_e64 s[0:1], 62, v11
	v_cndmask_b32_e64 v9, 0, 1, s[0:1]
	v_lshlrev_b32_e32 v9, 1, v9
	v_add_lshl_u32 v9, v9, v10, 2
	s_waitcnt lgkmcnt(0)
	v_pk_add_f32 v[2:3], v[2:3], v[4:5]
	ds_bpermute_b32 v4, v9, v2
	ds_bpermute_b32 v5, v9, v3
	v_cmp_ne_u32_e64 s[0:1], 63, v11
	s_waitcnt lgkmcnt(0)
	s_barrier
	v_pk_add_f32 v[2:3], v[2:3], v[4:5]
	v_addc_co_u32_e64 v4, s[0:1], 0, v10, s[0:1]
	v_lshlrev_b32_e32 v10, 2, v4
	ds_bpermute_b32 v4, v10, v2
	ds_bpermute_b32 v5, v10, v3
	v_cmp_eq_u32_e64 s[0:1], 0, v6
	s_and_saveexec_b64 s[2:3], s[0:1]
	s_cbranch_execz .LBB220_8
; %bb.7:
	v_lshrrev_b32_e32 v6, 3, v0
	v_and_b32_e32 v6, 0x78, v6
	s_waitcnt lgkmcnt(0)
	v_pk_add_f32 v[2:3], v[2:3], v[4:5]
	ds_write_b64 v6, v[2:3]
.LBB220_8:
	s_or_b64 exec, exec, s[2:3]
	v_cmp_gt_u32_e64 s[0:1], 16, v0
	v_mov_b32_e32 v2, 0
	v_mov_b32_e32 v3, 0
	s_waitcnt lgkmcnt(0)
	s_barrier
	s_and_saveexec_b64 s[2:3], s[0:1]
	s_cbranch_execnz .LBB220_12
; %bb.9:
	s_or_b64 exec, exec, s[2:3]
	s_and_saveexec_b64 s[0:1], vcc
	s_cbranch_execnz .LBB220_13
.LBB220_10:
	s_or_b64 exec, exec, s[0:1]
	v_cmp_eq_u32_e32 vcc, 0, v0
	s_and_saveexec_b64 s[0:1], vcc
	s_cbranch_execnz .LBB220_14
.LBB220_11:
	s_endpgm
.LBB220_12:
	ds_read_b64 v[2:3], v1
	s_or_b64 exec, exec, s[2:3]
	s_and_saveexec_b64 s[0:1], vcc
	s_cbranch_execz .LBB220_10
.LBB220_13:
	s_waitcnt lgkmcnt(0)
	ds_bpermute_b32 v4, v7, v2
	ds_bpermute_b32 v5, v7, v3
	s_waitcnt lgkmcnt(0)
	v_pk_add_f32 v[2:3], v[2:3], v[4:5]
	ds_bpermute_b32 v4, v8, v2
	ds_bpermute_b32 v5, v8, v3
	s_waitcnt lgkmcnt(0)
	v_pk_add_f32 v[2:3], v[2:3], v[4:5]
	;; [unrolled: 4-line block ×4, first 2 shown]
	s_or_b64 exec, exec, s[0:1]
	v_cmp_eq_u32_e32 vcc, 0, v0
	s_and_saveexec_b64 s[0:1], vcc
	s_cbranch_execz .LBB220_11
.LBB220_14:
	s_lshl_b64 s[0:1], s[6:7], 3
	s_add_u32 s0, s12, s0
	s_addc_u32 s1, s13, s1
	v_mov_b32_e32 v0, 0
	s_waitcnt lgkmcnt(0)
	global_store_dwordx2 v0, v[2:3], s[0:1]
	s_endpgm
	.section	.rodata,"a",@progbits
	.p2align	6, 0x0
	.amdhsa_kernel _ZL18rocblas_dot_kernelIlLb1ELi1024ELi32ELb0E19rocblas_complex_numIfEPKPKS1_S1_EviT5_lT_lS6_lS7_liPT6_PT4_
		.amdhsa_group_segment_fixed_size 512
		.amdhsa_private_segment_fixed_size 0
		.amdhsa_kernarg_size 352
		.amdhsa_user_sgpr_count 6
		.amdhsa_user_sgpr_private_segment_buffer 1
		.amdhsa_user_sgpr_dispatch_ptr 0
		.amdhsa_user_sgpr_queue_ptr 0
		.amdhsa_user_sgpr_kernarg_segment_ptr 1
		.amdhsa_user_sgpr_dispatch_id 0
		.amdhsa_user_sgpr_flat_scratch_init 0
		.amdhsa_user_sgpr_kernarg_preload_length 0
		.amdhsa_user_sgpr_kernarg_preload_offset 0
		.amdhsa_user_sgpr_private_segment_size 0
		.amdhsa_uses_dynamic_stack 0
		.amdhsa_system_sgpr_private_segment_wavefront_offset 0
		.amdhsa_system_sgpr_workgroup_id_x 1
		.amdhsa_system_sgpr_workgroup_id_y 0
		.amdhsa_system_sgpr_workgroup_id_z 1
		.amdhsa_system_sgpr_workgroup_info 0
		.amdhsa_system_vgpr_workitem_id 0
		.amdhsa_next_free_vgpr 18
		.amdhsa_next_free_sgpr 26
		.amdhsa_accum_offset 20
		.amdhsa_reserve_vcc 1
		.amdhsa_reserve_flat_scratch 0
		.amdhsa_float_round_mode_32 0
		.amdhsa_float_round_mode_16_64 0
		.amdhsa_float_denorm_mode_32 3
		.amdhsa_float_denorm_mode_16_64 3
		.amdhsa_dx10_clamp 1
		.amdhsa_ieee_mode 1
		.amdhsa_fp16_overflow 0
		.amdhsa_tg_split 0
		.amdhsa_exception_fp_ieee_invalid_op 0
		.amdhsa_exception_fp_denorm_src 0
		.amdhsa_exception_fp_ieee_div_zero 0
		.amdhsa_exception_fp_ieee_overflow 0
		.amdhsa_exception_fp_ieee_underflow 0
		.amdhsa_exception_fp_ieee_inexact 0
		.amdhsa_exception_int_div_zero 0
	.end_amdhsa_kernel
	.section	.text._ZL18rocblas_dot_kernelIlLb1ELi1024ELi32ELb0E19rocblas_complex_numIfEPKPKS1_S1_EviT5_lT_lS6_lS7_liPT6_PT4_,"axG",@progbits,_ZL18rocblas_dot_kernelIlLb1ELi1024ELi32ELb0E19rocblas_complex_numIfEPKPKS1_S1_EviT5_lT_lS6_lS7_liPT6_PT4_,comdat
.Lfunc_end220:
	.size	_ZL18rocblas_dot_kernelIlLb1ELi1024ELi32ELb0E19rocblas_complex_numIfEPKPKS1_S1_EviT5_lT_lS6_lS7_liPT6_PT4_, .Lfunc_end220-_ZL18rocblas_dot_kernelIlLb1ELi1024ELi32ELb0E19rocblas_complex_numIfEPKPKS1_S1_EviT5_lT_lS6_lS7_liPT6_PT4_
                                        ; -- End function
	.section	.AMDGPU.csdata,"",@progbits
; Kernel info:
; codeLenInByte = 1156
; NumSgprs: 30
; NumVgprs: 18
; NumAgprs: 0
; TotalNumVgprs: 18
; ScratchSize: 0
; MemoryBound: 0
; FloatMode: 240
; IeeeMode: 1
; LDSByteSize: 512 bytes/workgroup (compile time only)
; SGPRBlocks: 3
; VGPRBlocks: 2
; NumSGPRsForWavesPerEU: 30
; NumVGPRsForWavesPerEU: 18
; AccumOffset: 20
; Occupancy: 8
; WaveLimiterHint : 0
; COMPUTE_PGM_RSRC2:SCRATCH_EN: 0
; COMPUTE_PGM_RSRC2:USER_SGPR: 6
; COMPUTE_PGM_RSRC2:TRAP_HANDLER: 0
; COMPUTE_PGM_RSRC2:TGID_X_EN: 1
; COMPUTE_PGM_RSRC2:TGID_Y_EN: 0
; COMPUTE_PGM_RSRC2:TGID_Z_EN: 1
; COMPUTE_PGM_RSRC2:TIDIG_COMP_CNT: 0
; COMPUTE_PGM_RSRC3_GFX90A:ACCUM_OFFSET: 4
; COMPUTE_PGM_RSRC3_GFX90A:TG_SPLIT: 0
	.section	.text._ZL24rocblas_dot_kernel_magsqIlLb1ELi1024ELi32ELb0E19rocblas_complex_numIfEPKPKS1_S1_EviT5_lT_liPT6_PT4_,"axG",@progbits,_ZL24rocblas_dot_kernel_magsqIlLb1ELi1024ELi32ELb0E19rocblas_complex_numIfEPKPKS1_S1_EviT5_lT_liPT6_PT4_,comdat
	.globl	_ZL24rocblas_dot_kernel_magsqIlLb1ELi1024ELi32ELb0E19rocblas_complex_numIfEPKPKS1_S1_EviT5_lT_liPT6_PT4_ ; -- Begin function _ZL24rocblas_dot_kernel_magsqIlLb1ELi1024ELi32ELb0E19rocblas_complex_numIfEPKPKS1_S1_EviT5_lT_liPT6_PT4_
	.p2align	8
	.type	_ZL24rocblas_dot_kernel_magsqIlLb1ELi1024ELi32ELb0E19rocblas_complex_numIfEPKPKS1_S1_EviT5_lT_liPT6_PT4_,@function
_ZL24rocblas_dot_kernel_magsqIlLb1ELi1024ELi32ELb0E19rocblas_complex_numIfEPKPKS1_S1_EviT5_lT_liPT6_PT4_: ; @_ZL24rocblas_dot_kernel_magsqIlLb1ELi1024ELi32ELb0E19rocblas_complex_numIfEPKPKS1_S1_EviT5_lT_liPT6_PT4_
; %bb.0:
	s_mov_b32 s2, s7
	s_load_dword s12, s[4:5], 0x0
	s_load_dwordx2 s[6:7], s[4:5], 0x38
	v_mov_b32_e32 v3, 0
	s_mov_b32 s3, 0
	v_mov_b32_e32 v2, v3
	s_waitcnt lgkmcnt(0)
	v_cmp_gt_i32_e32 vcc, s12, v0
	s_and_saveexec_b64 s[8:9], vcc
	s_cbranch_execz .LBB221_4
; %bb.1:
	s_load_dwordx2 s[0:1], s[4:5], 0x8
	s_load_dword s10, s[4:5], 0x40
	s_load_dwordx4 s[16:19], s[4:5], 0x10
	s_lshl_b64 s[4:5], s[2:3], 3
	s_waitcnt lgkmcnt(0)
	s_add_u32 s0, s0, s4
	s_addc_u32 s1, s1, s5
	s_load_dwordx2 s[0:1], s[0:1], 0x0
	v_mad_u64_u32 v[2:3], s[4:5], s18, v0, 0
	v_mov_b32_e32 v4, v3
	v_mad_u64_u32 v[4:5], s[4:5], s19, v0, v[4:5]
	s_lshl_b32 s13, s10, 10
	v_mov_b32_e32 v3, v4
	s_lshl_b64 s[4:5], s[16:17], 3
	v_lshlrev_b64 v[2:3], 3, v[2:3]
	s_waitcnt lgkmcnt(0)
	s_add_u32 s0, s0, s4
	s_addc_u32 s1, s1, s5
	v_add_co_u32_e32 v4, vcc, s0, v2
	s_ashr_i32 s0, s13, 31
	v_mov_b32_e32 v5, s1
	s_mul_i32 s0, s18, s0
	s_mul_hi_u32 s1, s18, s13
	s_add_i32 s0, s1, s0
	s_mul_i32 s1, s19, s13
	s_add_i32 s1, s0, s1
	s_mul_i32 s0, s18, s13
	s_lshl_b64 s[10:11], s[0:1], 3
	v_mov_b32_e32 v2, 0
	v_or_b32_e32 v1, s13, v0
	v_addc_co_u32_e32 v5, vcc, v5, v3, vcc
	s_mov_b64 s[4:5], 0
	v_mov_b32_e32 v6, s11
	s_mov_b32 s11, s3
	v_mov_b32_e32 v3, v2
.LBB221_2:                              ; =>This Inner Loop Header: Depth=1
	global_load_dwordx2 v[8:9], v[4:5], off
	s_add_i32 s14, s11, 1
	v_add_co_u32_e64 v4, s[0:1], s10, v4
	v_addc_co_u32_e64 v5, s[0:1], v5, v6, s[0:1]
	s_cmp_gt_u32 s11, 30
	v_cmp_le_i32_e32 vcc, s12, v1
	s_cselect_b64 s[0:1], -1, 0
	s_or_b64 s[0:1], s[0:1], vcc
	s_and_b64 s[0:1], exec, s[0:1]
	v_add_u32_e32 v1, s13, v1
	s_mov_b32 s11, s14
	s_or_b64 s[4:5], s[0:1], s[4:5]
	s_waitcnt vmcnt(0)
	v_pk_mul_f32 v[10:11], v[8:9], v[8:9]
	v_pk_mul_f32 v[12:13], v[8:9], v[8:9] op_sel_hi:[0,1]
	v_mov_b32_e32 v10, v11
	v_mov_b32_e32 v11, v13
	v_pk_add_f32 v[12:13], v[12:13], v[12:13]
	v_pk_fma_f32 v[8:9], v[8:9], v[8:9], v[10:11] op_sel_hi:[0,1,1] neg_lo:[0,0,1] neg_hi:[0,0,1]
	v_mov_b32_e32 v9, v13
	v_pk_add_f32 v[2:3], v[2:3], v[8:9]
	s_andn2_b64 exec, exec, s[4:5]
	s_cbranch_execnz .LBB221_2
; %bb.3:
	s_or_b64 exec, exec, s[4:5]
.LBB221_4:
	s_or_b64 exec, exec, s[8:9]
	v_and_b32_e32 v6, 63, v0
	v_cmp_gt_u32_e32 vcc, 64, v0
	v_lshlrev_b32_e32 v1, 3, v6
	s_and_saveexec_b64 s[0:1], vcc
	s_cbranch_execz .LBB221_6
; %bb.5:
	v_mov_b32_e32 v4, 0
	v_mov_b32_e32 v5, v4
	ds_write_b64 v1, v[4:5]
.LBB221_6:
	s_or_b64 exec, exec, s[0:1]
	v_mbcnt_lo_u32_b32 v4, -1, 0
	v_mbcnt_hi_u32_b32 v10, -1, v4
	v_and_b32_e32 v11, 63, v10
	v_cmp_gt_u32_e64 s[0:1], 32, v11
	v_cndmask_b32_e64 v4, 0, 1, s[0:1]
	v_lshlrev_b32_e32 v4, 5, v4
	v_add_lshl_u32 v5, v4, v10, 2
	ds_bpermute_b32 v4, v5, v2
	ds_bpermute_b32 v5, v5, v3
	v_cmp_gt_u32_e64 s[0:1], 48, v11
	v_cndmask_b32_e64 v7, 0, 1, s[0:1]
	v_lshlrev_b32_e32 v7, 4, v7
	v_add_lshl_u32 v7, v7, v10, 2
	s_waitcnt lgkmcnt(0)
	v_pk_add_f32 v[2:3], v[2:3], v[4:5]
	ds_bpermute_b32 v4, v7, v2
	ds_bpermute_b32 v5, v7, v3
	v_cmp_gt_u32_e64 s[0:1], 56, v11
	v_cndmask_b32_e64 v7, 0, 1, s[0:1]
	v_lshlrev_b32_e32 v7, 3, v7
	v_add_lshl_u32 v7, v7, v10, 2
	s_waitcnt lgkmcnt(0)
	v_pk_add_f32 v[2:3], v[2:3], v[4:5]
	;; [unrolled: 8-line block ×4, first 2 shown]
	ds_bpermute_b32 v4, v9, v2
	ds_bpermute_b32 v5, v9, v3
	v_cmp_ne_u32_e64 s[0:1], 63, v11
	s_waitcnt lgkmcnt(0)
	s_barrier
	v_pk_add_f32 v[2:3], v[2:3], v[4:5]
	v_addc_co_u32_e64 v4, s[0:1], 0, v10, s[0:1]
	v_lshlrev_b32_e32 v10, 2, v4
	ds_bpermute_b32 v4, v10, v2
	ds_bpermute_b32 v5, v10, v3
	v_cmp_eq_u32_e64 s[0:1], 0, v6
	s_and_saveexec_b64 s[4:5], s[0:1]
	s_cbranch_execz .LBB221_8
; %bb.7:
	v_lshrrev_b32_e32 v6, 3, v0
	v_and_b32_e32 v6, 0x78, v6
	s_waitcnt lgkmcnt(0)
	v_pk_add_f32 v[2:3], v[2:3], v[4:5]
	ds_write_b64 v6, v[2:3]
.LBB221_8:
	s_or_b64 exec, exec, s[4:5]
	v_cmp_gt_u32_e64 s[0:1], 16, v0
	v_mov_b32_e32 v2, 0
	v_mov_b32_e32 v3, 0
	s_waitcnt lgkmcnt(0)
	s_barrier
	s_and_saveexec_b64 s[4:5], s[0:1]
	s_cbranch_execnz .LBB221_12
; %bb.9:
	s_or_b64 exec, exec, s[4:5]
	s_and_saveexec_b64 s[0:1], vcc
	s_cbranch_execnz .LBB221_13
.LBB221_10:
	s_or_b64 exec, exec, s[0:1]
	v_cmp_eq_u32_e32 vcc, 0, v0
	s_and_saveexec_b64 s[0:1], vcc
	s_cbranch_execnz .LBB221_14
.LBB221_11:
	s_endpgm
.LBB221_12:
	ds_read_b64 v[2:3], v1
	s_or_b64 exec, exec, s[4:5]
	s_and_saveexec_b64 s[0:1], vcc
	s_cbranch_execz .LBB221_10
.LBB221_13:
	s_waitcnt lgkmcnt(0)
	ds_bpermute_b32 v4, v7, v2
	ds_bpermute_b32 v5, v7, v3
	s_waitcnt lgkmcnt(0)
	v_pk_add_f32 v[2:3], v[2:3], v[4:5]
	ds_bpermute_b32 v4, v8, v2
	ds_bpermute_b32 v5, v8, v3
	s_waitcnt lgkmcnt(0)
	v_pk_add_f32 v[2:3], v[2:3], v[4:5]
	;; [unrolled: 4-line block ×4, first 2 shown]
	s_or_b64 exec, exec, s[0:1]
	v_cmp_eq_u32_e32 vcc, 0, v0
	s_and_saveexec_b64 s[0:1], vcc
	s_cbranch_execz .LBB221_11
.LBB221_14:
	s_lshl_b64 s[0:1], s[2:3], 3
	s_add_u32 s0, s6, s0
	s_addc_u32 s1, s7, s1
	v_mov_b32_e32 v0, 0
	s_waitcnt lgkmcnt(0)
	global_store_dwordx2 v0, v[2:3], s[0:1]
	s_endpgm
	.section	.rodata,"a",@progbits
	.p2align	6, 0x0
	.amdhsa_kernel _ZL24rocblas_dot_kernel_magsqIlLb1ELi1024ELi32ELb0E19rocblas_complex_numIfEPKPKS1_S1_EviT5_lT_liPT6_PT4_
		.amdhsa_group_segment_fixed_size 512
		.amdhsa_private_segment_fixed_size 0
		.amdhsa_kernarg_size 320
		.amdhsa_user_sgpr_count 6
		.amdhsa_user_sgpr_private_segment_buffer 1
		.amdhsa_user_sgpr_dispatch_ptr 0
		.amdhsa_user_sgpr_queue_ptr 0
		.amdhsa_user_sgpr_kernarg_segment_ptr 1
		.amdhsa_user_sgpr_dispatch_id 0
		.amdhsa_user_sgpr_flat_scratch_init 0
		.amdhsa_user_sgpr_kernarg_preload_length 0
		.amdhsa_user_sgpr_kernarg_preload_offset 0
		.amdhsa_user_sgpr_private_segment_size 0
		.amdhsa_uses_dynamic_stack 0
		.amdhsa_system_sgpr_private_segment_wavefront_offset 0
		.amdhsa_system_sgpr_workgroup_id_x 1
		.amdhsa_system_sgpr_workgroup_id_y 0
		.amdhsa_system_sgpr_workgroup_id_z 1
		.amdhsa_system_sgpr_workgroup_info 0
		.amdhsa_system_vgpr_workitem_id 0
		.amdhsa_next_free_vgpr 14
		.amdhsa_next_free_sgpr 20
		.amdhsa_accum_offset 16
		.amdhsa_reserve_vcc 1
		.amdhsa_reserve_flat_scratch 0
		.amdhsa_float_round_mode_32 0
		.amdhsa_float_round_mode_16_64 0
		.amdhsa_float_denorm_mode_32 3
		.amdhsa_float_denorm_mode_16_64 3
		.amdhsa_dx10_clamp 1
		.amdhsa_ieee_mode 1
		.amdhsa_fp16_overflow 0
		.amdhsa_tg_split 0
		.amdhsa_exception_fp_ieee_invalid_op 0
		.amdhsa_exception_fp_denorm_src 0
		.amdhsa_exception_fp_ieee_div_zero 0
		.amdhsa_exception_fp_ieee_overflow 0
		.amdhsa_exception_fp_ieee_underflow 0
		.amdhsa_exception_fp_ieee_inexact 0
		.amdhsa_exception_int_div_zero 0
	.end_amdhsa_kernel
	.section	.text._ZL24rocblas_dot_kernel_magsqIlLb1ELi1024ELi32ELb0E19rocblas_complex_numIfEPKPKS1_S1_EviT5_lT_liPT6_PT4_,"axG",@progbits,_ZL24rocblas_dot_kernel_magsqIlLb1ELi1024ELi32ELb0E19rocblas_complex_numIfEPKPKS1_S1_EviT5_lT_liPT6_PT4_,comdat
.Lfunc_end221:
	.size	_ZL24rocblas_dot_kernel_magsqIlLb1ELi1024ELi32ELb0E19rocblas_complex_numIfEPKPKS1_S1_EviT5_lT_liPT6_PT4_, .Lfunc_end221-_ZL24rocblas_dot_kernel_magsqIlLb1ELi1024ELi32ELb0E19rocblas_complex_numIfEPKPKS1_S1_EviT5_lT_liPT6_PT4_
                                        ; -- End function
	.section	.AMDGPU.csdata,"",@progbits
; Kernel info:
; codeLenInByte = 1028
; NumSgprs: 24
; NumVgprs: 14
; NumAgprs: 0
; TotalNumVgprs: 14
; ScratchSize: 0
; MemoryBound: 0
; FloatMode: 240
; IeeeMode: 1
; LDSByteSize: 512 bytes/workgroup (compile time only)
; SGPRBlocks: 2
; VGPRBlocks: 1
; NumSGPRsForWavesPerEU: 24
; NumVGPRsForWavesPerEU: 14
; AccumOffset: 16
; Occupancy: 8
; WaveLimiterHint : 0
; COMPUTE_PGM_RSRC2:SCRATCH_EN: 0
; COMPUTE_PGM_RSRC2:USER_SGPR: 6
; COMPUTE_PGM_RSRC2:TRAP_HANDLER: 0
; COMPUTE_PGM_RSRC2:TGID_X_EN: 1
; COMPUTE_PGM_RSRC2:TGID_Y_EN: 0
; COMPUTE_PGM_RSRC2:TGID_Z_EN: 1
; COMPUTE_PGM_RSRC2:TIDIG_COMP_CNT: 0
; COMPUTE_PGM_RSRC3_GFX90A:ACCUM_OFFSET: 3
; COMPUTE_PGM_RSRC3_GFX90A:TG_SPLIT: 0
	.section	.text._ZL38rocblas_dot_kernel_gfx942_float_doubleIlLi1024E19rocblas_complex_numIfEPKPKS1_S1_EviT2_lT_lS6_lS7_lPT3_PT1_,"axG",@progbits,_ZL38rocblas_dot_kernel_gfx942_float_doubleIlLi1024E19rocblas_complex_numIfEPKPKS1_S1_EviT2_lT_lS6_lS7_lPT3_PT1_,comdat
	.globl	_ZL38rocblas_dot_kernel_gfx942_float_doubleIlLi1024E19rocblas_complex_numIfEPKPKS1_S1_EviT2_lT_lS6_lS7_lPT3_PT1_ ; -- Begin function _ZL38rocblas_dot_kernel_gfx942_float_doubleIlLi1024E19rocblas_complex_numIfEPKPKS1_S1_EviT2_lT_lS6_lS7_lPT3_PT1_
	.p2align	8
	.type	_ZL38rocblas_dot_kernel_gfx942_float_doubleIlLi1024E19rocblas_complex_numIfEPKPKS1_S1_EviT2_lT_lS6_lS7_lPT3_PT1_,@function
_ZL38rocblas_dot_kernel_gfx942_float_doubleIlLi1024E19rocblas_complex_numIfEPKPKS1_S1_EviT2_lT_lS6_lS7_lPT3_PT1_: ; @_ZL38rocblas_dot_kernel_gfx942_float_doubleIlLi1024E19rocblas_complex_numIfEPKPKS1_S1_EviT2_lT_lS6_lS7_lPT3_PT1_
; %bb.0:
	s_endpgm
	.section	.rodata,"a",@progbits
	.p2align	6, 0x0
	.amdhsa_kernel _ZL38rocblas_dot_kernel_gfx942_float_doubleIlLi1024E19rocblas_complex_numIfEPKPKS1_S1_EviT2_lT_lS6_lS7_lPT3_PT1_
		.amdhsa_group_segment_fixed_size 0
		.amdhsa_private_segment_fixed_size 0
		.amdhsa_kernarg_size 88
		.amdhsa_user_sgpr_count 6
		.amdhsa_user_sgpr_private_segment_buffer 1
		.amdhsa_user_sgpr_dispatch_ptr 0
		.amdhsa_user_sgpr_queue_ptr 0
		.amdhsa_user_sgpr_kernarg_segment_ptr 1
		.amdhsa_user_sgpr_dispatch_id 0
		.amdhsa_user_sgpr_flat_scratch_init 0
		.amdhsa_user_sgpr_kernarg_preload_length 0
		.amdhsa_user_sgpr_kernarg_preload_offset 0
		.amdhsa_user_sgpr_private_segment_size 0
		.amdhsa_uses_dynamic_stack 0
		.amdhsa_system_sgpr_private_segment_wavefront_offset 0
		.amdhsa_system_sgpr_workgroup_id_x 1
		.amdhsa_system_sgpr_workgroup_id_y 0
		.amdhsa_system_sgpr_workgroup_id_z 0
		.amdhsa_system_sgpr_workgroup_info 0
		.amdhsa_system_vgpr_workitem_id 0
		.amdhsa_next_free_vgpr 1
		.amdhsa_next_free_sgpr 0
		.amdhsa_accum_offset 4
		.amdhsa_reserve_vcc 0
		.amdhsa_reserve_flat_scratch 0
		.amdhsa_float_round_mode_32 0
		.amdhsa_float_round_mode_16_64 0
		.amdhsa_float_denorm_mode_32 3
		.amdhsa_float_denorm_mode_16_64 3
		.amdhsa_dx10_clamp 1
		.amdhsa_ieee_mode 1
		.amdhsa_fp16_overflow 0
		.amdhsa_tg_split 0
		.amdhsa_exception_fp_ieee_invalid_op 0
		.amdhsa_exception_fp_denorm_src 0
		.amdhsa_exception_fp_ieee_div_zero 0
		.amdhsa_exception_fp_ieee_overflow 0
		.amdhsa_exception_fp_ieee_underflow 0
		.amdhsa_exception_fp_ieee_inexact 0
		.amdhsa_exception_int_div_zero 0
	.end_amdhsa_kernel
	.section	.text._ZL38rocblas_dot_kernel_gfx942_float_doubleIlLi1024E19rocblas_complex_numIfEPKPKS1_S1_EviT2_lT_lS6_lS7_lPT3_PT1_,"axG",@progbits,_ZL38rocblas_dot_kernel_gfx942_float_doubleIlLi1024E19rocblas_complex_numIfEPKPKS1_S1_EviT2_lT_lS6_lS7_lPT3_PT1_,comdat
.Lfunc_end222:
	.size	_ZL38rocblas_dot_kernel_gfx942_float_doubleIlLi1024E19rocblas_complex_numIfEPKPKS1_S1_EviT2_lT_lS6_lS7_lPT3_PT1_, .Lfunc_end222-_ZL38rocblas_dot_kernel_gfx942_float_doubleIlLi1024E19rocblas_complex_numIfEPKPKS1_S1_EviT2_lT_lS6_lS7_lPT3_PT1_
                                        ; -- End function
	.section	.AMDGPU.csdata,"",@progbits
; Kernel info:
; codeLenInByte = 4
; NumSgprs: 4
; NumVgprs: 0
; NumAgprs: 0
; TotalNumVgprs: 0
; ScratchSize: 0
; MemoryBound: 0
; FloatMode: 240
; IeeeMode: 1
; LDSByteSize: 0 bytes/workgroup (compile time only)
; SGPRBlocks: 0
; VGPRBlocks: 0
; NumSGPRsForWavesPerEU: 4
; NumVGPRsForWavesPerEU: 1
; AccumOffset: 4
; Occupancy: 8
; WaveLimiterHint : 0
; COMPUTE_PGM_RSRC2:SCRATCH_EN: 0
; COMPUTE_PGM_RSRC2:USER_SGPR: 6
; COMPUTE_PGM_RSRC2:TRAP_HANDLER: 0
; COMPUTE_PGM_RSRC2:TGID_X_EN: 1
; COMPUTE_PGM_RSRC2:TGID_Y_EN: 0
; COMPUTE_PGM_RSRC2:TGID_Z_EN: 0
; COMPUTE_PGM_RSRC2:TIDIG_COMP_CNT: 0
; COMPUTE_PGM_RSRC3_GFX90A:ACCUM_OFFSET: 0
; COMPUTE_PGM_RSRC3_GFX90A:TG_SPLIT: 0
	.section	.text._ZL18rocblas_dot_kernelIlLb0ELi512ELi2ELb0E19rocblas_complex_numIfEPKPKS1_S1_EviT5_lT_lS6_lS7_liPT6_PT4_,"axG",@progbits,_ZL18rocblas_dot_kernelIlLb0ELi512ELi2ELb0E19rocblas_complex_numIfEPKPKS1_S1_EviT5_lT_lS6_lS7_liPT6_PT4_,comdat
	.globl	_ZL18rocblas_dot_kernelIlLb0ELi512ELi2ELb0E19rocblas_complex_numIfEPKPKS1_S1_EviT5_lT_lS6_lS7_liPT6_PT4_ ; -- Begin function _ZL18rocblas_dot_kernelIlLb0ELi512ELi2ELb0E19rocblas_complex_numIfEPKPKS1_S1_EviT5_lT_lS6_lS7_liPT6_PT4_
	.p2align	8
	.type	_ZL18rocblas_dot_kernelIlLb0ELi512ELi2ELb0E19rocblas_complex_numIfEPKPKS1_S1_EviT5_lT_lS6_lS7_liPT6_PT4_,@function
_ZL18rocblas_dot_kernelIlLb0ELi512ELi2ELb0E19rocblas_complex_numIfEPKPKS1_S1_EviT5_lT_lS6_lS7_liPT6_PT4_: ; @_ZL18rocblas_dot_kernelIlLb0ELi512ELi2ELb0E19rocblas_complex_numIfEPKPKS1_S1_EviT5_lT_lS6_lS7_liPT6_PT4_
; %bb.0:
	s_mov_b32 s12, s7
	s_load_dword s7, s[4:5], 0x0
	s_load_dword s16, s[4:5], 0x60
	v_lshl_or_b32 v1, s6, 9, v0
	v_mov_b32_e32 v2, 0
	s_mov_b32 s13, 0
	s_waitcnt lgkmcnt(0)
	v_cmp_gt_i32_e32 vcc, s7, v1
	v_mov_b32_e32 v3, v2
	s_and_saveexec_b64 s[14:15], vcc
	s_cbranch_execz .LBB223_4
; %bb.1:
	s_load_dwordx2 s[18:19], s[4:5], 0x8
	s_load_dwordx4 s[8:11], s[4:5], 0x10
	s_load_dwordx2 s[20:21], s[4:5], 0x28
	s_load_dwordx4 s[0:3], s[4:5], 0x30
	s_lshl_b64 s[22:23], s[12:13], 3
	s_waitcnt lgkmcnt(0)
	s_add_u32 s18, s18, s22
	s_addc_u32 s19, s19, s23
	s_load_dwordx2 s[18:19], s[18:19], 0x0
	s_lshl_b64 s[8:9], s[8:9], 3
	v_ashrrev_i32_e32 v4, 31, v1
	v_mul_lo_u32 v5, v1, s3
	v_mul_lo_u32 v6, v4, s2
	s_waitcnt lgkmcnt(0)
	s_add_u32 s17, s18, s8
	s_addc_u32 s18, s19, s9
	s_add_u32 s8, s20, s22
	s_addc_u32 s9, s21, s23
	s_load_dwordx2 s[8:9], s[8:9], 0x0
	v_mad_u64_u32 v[2:3], s[20:21], v1, s2, 0
	s_lshl_b64 s[0:1], s[0:1], 3
	v_add3_u32 v3, v3, v5, v6
	s_waitcnt lgkmcnt(0)
	s_add_u32 s8, s8, s0
	s_addc_u32 s9, s9, s1
	v_lshlrev_b64 v[2:3], 3, v[2:3]
	v_mov_b32_e32 v5, s9
	v_add_co_u32_e32 v2, vcc, s8, v2
	v_addc_co_u32_e32 v3, vcc, v5, v3, vcc
	v_mul_lo_u32 v6, v1, s11
	v_mul_lo_u32 v7, v4, s10
	v_mad_u64_u32 v[4:5], s[0:1], v1, s10, 0
	v_add3_u32 v5, v5, v6, v7
	v_lshlrev_b64 v[4:5], 3, v[4:5]
	v_mov_b32_e32 v1, s18
	v_add_co_u32_e32 v4, vcc, s17, v4
	v_addc_co_u32_e32 v5, vcc, v1, v5, vcc
	global_load_dwordx2 v[6:7], v[4:5], off
	global_load_dwordx2 v[8:9], v[2:3], off
	s_add_i32 s0, s6, s16
	v_lshl_or_b32 v1, s0, 9, v0
	v_cmp_gt_i32_e32 vcc, s7, v1
	s_waitcnt vmcnt(0)
	v_pk_mul_f32 v[2:3], v[6:7], v[8:9] op_sel:[0,1]
	v_pk_fma_f32 v[4:5], v[6:7], v[8:9], v[2:3] op_sel:[0,0,1] op_sel_hi:[1,1,0] neg_lo:[0,0,1] neg_hi:[0,0,1]
	v_pk_fma_f32 v[2:3], v[6:7], v[8:9], v[2:3] op_sel:[0,0,1] op_sel_hi:[1,0,0]
	v_mov_b32_e32 v5, v3
	v_pk_add_f32 v[2:3], v[4:5], 0 op_sel_hi:[1,0]
	s_and_saveexec_b64 s[0:1], vcc
	s_cbranch_execz .LBB223_3
; %bb.2:
	v_ashrrev_i32_e32 v6, 31, v1
	v_mul_lo_u32 v7, v1, s11
	v_mul_lo_u32 v8, v6, s10
	v_mad_u64_u32 v[4:5], s[10:11], v1, s10, 0
	v_add3_u32 v5, v5, v7, v8
	v_lshlrev_b64 v[4:5], 3, v[4:5]
	v_mov_b32_e32 v7, s18
	v_add_co_u32_e32 v4, vcc, s17, v4
	v_addc_co_u32_e32 v5, vcc, v7, v5, vcc
	v_mul_lo_u32 v8, v1, s3
	v_mul_lo_u32 v9, v6, s2
	v_mad_u64_u32 v[6:7], s[2:3], v1, s2, 0
	v_add3_u32 v7, v7, v8, v9
	v_lshlrev_b64 v[6:7], 3, v[6:7]
	v_mov_b32_e32 v1, s9
	v_add_co_u32_e32 v6, vcc, s8, v6
	v_addc_co_u32_e32 v7, vcc, v1, v7, vcc
	global_load_dwordx2 v[4:5], v[4:5], off
	s_nop 0
	global_load_dwordx2 v[6:7], v[6:7], off
	s_waitcnt vmcnt(0)
	v_pk_mul_f32 v[8:9], v[4:5], v[6:7] op_sel:[0,1]
	v_pk_fma_f32 v[10:11], v[4:5], v[6:7], v[8:9] op_sel:[0,0,1] op_sel_hi:[1,1,0] neg_lo:[0,0,1] neg_hi:[0,0,1]
	v_pk_fma_f32 v[4:5], v[4:5], v[6:7], v[8:9] op_sel:[0,0,1] op_sel_hi:[1,0,0]
	v_mov_b32_e32 v11, v5
	v_pk_add_f32 v[2:3], v[2:3], v[10:11]
.LBB223_3:
	s_or_b64 exec, exec, s[0:1]
.LBB223_4:
	s_or_b64 exec, exec, s[14:15]
	v_and_b32_e32 v6, 63, v0
	v_cmp_gt_u32_e32 vcc, 64, v0
	v_lshlrev_b32_e32 v1, 3, v6
	s_and_saveexec_b64 s[0:1], vcc
	s_cbranch_execz .LBB223_6
; %bb.5:
	v_mov_b32_e32 v4, 0
	v_mov_b32_e32 v5, v4
	ds_write_b64 v1, v[4:5]
.LBB223_6:
	s_or_b64 exec, exec, s[0:1]
	v_mbcnt_lo_u32_b32 v4, -1, 0
	v_mbcnt_hi_u32_b32 v9, -1, v4
	v_and_b32_e32 v10, 63, v9
	v_cmp_gt_u32_e64 s[0:1], 32, v10
	v_cndmask_b32_e64 v4, 0, 1, s[0:1]
	v_lshlrev_b32_e32 v4, 5, v4
	v_add_lshl_u32 v5, v4, v9, 2
	ds_bpermute_b32 v4, v5, v2
	ds_bpermute_b32 v5, v5, v3
	v_cmp_gt_u32_e64 s[0:1], 48, v10
	v_cndmask_b32_e64 v7, 0, 1, s[0:1]
	v_lshlrev_b32_e32 v7, 4, v7
	v_add_lshl_u32 v7, v7, v9, 2
	s_waitcnt lgkmcnt(0)
	v_pk_add_f32 v[2:3], v[2:3], v[4:5]
	ds_bpermute_b32 v4, v7, v2
	ds_bpermute_b32 v5, v7, v3
	v_cmp_gt_u32_e64 s[0:1], 56, v10
	v_cndmask_b32_e64 v7, 0, 1, s[0:1]
	v_lshlrev_b32_e32 v7, 3, v7
	v_add_lshl_u32 v7, v7, v9, 2
	s_waitcnt lgkmcnt(0)
	v_pk_add_f32 v[2:3], v[2:3], v[4:5]
	;; [unrolled: 8-line block ×4, first 2 shown]
	ds_bpermute_b32 v4, v8, v2
	ds_bpermute_b32 v5, v8, v3
	v_cmp_ne_u32_e64 s[0:1], 63, v10
	s_waitcnt lgkmcnt(0)
	s_barrier
	v_pk_add_f32 v[2:3], v[2:3], v[4:5]
	v_addc_co_u32_e64 v4, s[0:1], 0, v9, s[0:1]
	v_lshlrev_b32_e32 v9, 2, v4
	ds_bpermute_b32 v4, v9, v2
	ds_bpermute_b32 v5, v9, v3
	v_cmp_eq_u32_e64 s[0:1], 0, v6
	s_and_saveexec_b64 s[2:3], s[0:1]
	s_cbranch_execz .LBB223_8
; %bb.7:
	v_lshrrev_b32_e32 v6, 3, v0
	v_and_b32_e32 v6, 56, v6
	s_waitcnt lgkmcnt(0)
	v_pk_add_f32 v[2:3], v[2:3], v[4:5]
	ds_write_b64 v6, v[2:3]
.LBB223_8:
	s_or_b64 exec, exec, s[2:3]
	v_cmp_gt_u32_e64 s[0:1], 8, v0
	v_mov_b32_e32 v2, 0
	v_mov_b32_e32 v3, 0
	s_waitcnt lgkmcnt(0)
	s_barrier
	s_and_saveexec_b64 s[2:3], s[0:1]
	s_cbranch_execnz .LBB223_12
; %bb.9:
	s_or_b64 exec, exec, s[2:3]
	s_and_saveexec_b64 s[0:1], vcc
	s_cbranch_execnz .LBB223_13
.LBB223_10:
	s_or_b64 exec, exec, s[0:1]
	v_cmp_eq_u32_e32 vcc, 0, v0
	s_and_saveexec_b64 s[0:1], vcc
	s_cbranch_execnz .LBB223_14
.LBB223_11:
	s_endpgm
.LBB223_12:
	ds_read_b64 v[2:3], v1
	s_or_b64 exec, exec, s[2:3]
	s_and_saveexec_b64 s[0:1], vcc
	s_cbranch_execz .LBB223_10
.LBB223_13:
	s_waitcnt lgkmcnt(0)
	ds_bpermute_b32 v4, v7, v2
	ds_bpermute_b32 v5, v7, v3
	s_waitcnt lgkmcnt(0)
	v_pk_add_f32 v[2:3], v[2:3], v[4:5]
	ds_bpermute_b32 v4, v8, v2
	ds_bpermute_b32 v5, v8, v3
	s_waitcnt lgkmcnt(0)
	v_pk_add_f32 v[2:3], v[2:3], v[4:5]
	;; [unrolled: 4-line block ×3, first 2 shown]
	s_or_b64 exec, exec, s[0:1]
	v_cmp_eq_u32_e32 vcc, 0, v0
	s_and_saveexec_b64 s[0:1], vcc
	s_cbranch_execz .LBB223_11
.LBB223_14:
	s_cmp_lg_u32 s16, 1
	s_cbranch_scc0 .LBB223_16
; %bb.15:
	s_load_dwordx2 s[0:1], s[4:5], 0x50
	s_mul_hi_u32 s3, s16, s12
	s_mul_i32 s2, s16, s12
	s_lshl_b64 s[2:3], s[2:3], 3
	s_mov_b32 s7, 0
	s_waitcnt lgkmcnt(0)
	s_add_u32 s2, s0, s2
	s_addc_u32 s3, s1, s3
	s_lshl_b64 s[0:1], s[6:7], 3
	s_add_u32 s0, s2, s0
	s_addc_u32 s1, s3, s1
	s_cbranch_execz .LBB223_17
	s_branch .LBB223_18
.LBB223_16:
                                        ; implicit-def: $sgpr0_sgpr1
.LBB223_17:
	s_load_dwordx2 s[0:1], s[4:5], 0x58
	s_lshl_b64 s[2:3], s[12:13], 3
	s_waitcnt lgkmcnt(0)
	s_add_u32 s0, s0, s2
	s_addc_u32 s1, s1, s3
.LBB223_18:
	v_mov_b32_e32 v0, 0
	s_waitcnt lgkmcnt(0)
	global_store_dwordx2 v0, v[2:3], s[0:1]
	s_endpgm
	.section	.rodata,"a",@progbits
	.p2align	6, 0x0
	.amdhsa_kernel _ZL18rocblas_dot_kernelIlLb0ELi512ELi2ELb0E19rocblas_complex_numIfEPKPKS1_S1_EviT5_lT_lS6_lS7_liPT6_PT4_
		.amdhsa_group_segment_fixed_size 512
		.amdhsa_private_segment_fixed_size 0
		.amdhsa_kernarg_size 352
		.amdhsa_user_sgpr_count 6
		.amdhsa_user_sgpr_private_segment_buffer 1
		.amdhsa_user_sgpr_dispatch_ptr 0
		.amdhsa_user_sgpr_queue_ptr 0
		.amdhsa_user_sgpr_kernarg_segment_ptr 1
		.amdhsa_user_sgpr_dispatch_id 0
		.amdhsa_user_sgpr_flat_scratch_init 0
		.amdhsa_user_sgpr_kernarg_preload_length 0
		.amdhsa_user_sgpr_kernarg_preload_offset 0
		.amdhsa_user_sgpr_private_segment_size 0
		.amdhsa_uses_dynamic_stack 0
		.amdhsa_system_sgpr_private_segment_wavefront_offset 0
		.amdhsa_system_sgpr_workgroup_id_x 1
		.amdhsa_system_sgpr_workgroup_id_y 0
		.amdhsa_system_sgpr_workgroup_id_z 1
		.amdhsa_system_sgpr_workgroup_info 0
		.amdhsa_system_vgpr_workitem_id 0
		.amdhsa_next_free_vgpr 12
		.amdhsa_next_free_sgpr 24
		.amdhsa_accum_offset 12
		.amdhsa_reserve_vcc 1
		.amdhsa_reserve_flat_scratch 0
		.amdhsa_float_round_mode_32 0
		.amdhsa_float_round_mode_16_64 0
		.amdhsa_float_denorm_mode_32 3
		.amdhsa_float_denorm_mode_16_64 3
		.amdhsa_dx10_clamp 1
		.amdhsa_ieee_mode 1
		.amdhsa_fp16_overflow 0
		.amdhsa_tg_split 0
		.amdhsa_exception_fp_ieee_invalid_op 0
		.amdhsa_exception_fp_denorm_src 0
		.amdhsa_exception_fp_ieee_div_zero 0
		.amdhsa_exception_fp_ieee_overflow 0
		.amdhsa_exception_fp_ieee_underflow 0
		.amdhsa_exception_fp_ieee_inexact 0
		.amdhsa_exception_int_div_zero 0
	.end_amdhsa_kernel
	.section	.text._ZL18rocblas_dot_kernelIlLb0ELi512ELi2ELb0E19rocblas_complex_numIfEPKPKS1_S1_EviT5_lT_lS6_lS7_liPT6_PT4_,"axG",@progbits,_ZL18rocblas_dot_kernelIlLb0ELi512ELi2ELb0E19rocblas_complex_numIfEPKPKS1_S1_EviT5_lT_lS6_lS7_liPT6_PT4_,comdat
.Lfunc_end223:
	.size	_ZL18rocblas_dot_kernelIlLb0ELi512ELi2ELb0E19rocblas_complex_numIfEPKPKS1_S1_EviT5_lT_lS6_lS7_liPT6_PT4_, .Lfunc_end223-_ZL18rocblas_dot_kernelIlLb0ELi512ELi2ELb0E19rocblas_complex_numIfEPKPKS1_S1_EviT5_lT_lS6_lS7_liPT6_PT4_
                                        ; -- End function
	.section	.AMDGPU.csdata,"",@progbits
; Kernel info:
; codeLenInByte = 1248
; NumSgprs: 28
; NumVgprs: 12
; NumAgprs: 0
; TotalNumVgprs: 12
; ScratchSize: 0
; MemoryBound: 0
; FloatMode: 240
; IeeeMode: 1
; LDSByteSize: 512 bytes/workgroup (compile time only)
; SGPRBlocks: 3
; VGPRBlocks: 1
; NumSGPRsForWavesPerEU: 28
; NumVGPRsForWavesPerEU: 12
; AccumOffset: 12
; Occupancy: 8
; WaveLimiterHint : 1
; COMPUTE_PGM_RSRC2:SCRATCH_EN: 0
; COMPUTE_PGM_RSRC2:USER_SGPR: 6
; COMPUTE_PGM_RSRC2:TRAP_HANDLER: 0
; COMPUTE_PGM_RSRC2:TGID_X_EN: 1
; COMPUTE_PGM_RSRC2:TGID_Y_EN: 0
; COMPUTE_PGM_RSRC2:TGID_Z_EN: 1
; COMPUTE_PGM_RSRC2:TIDIG_COMP_CNT: 0
; COMPUTE_PGM_RSRC3_GFX90A:ACCUM_OFFSET: 2
; COMPUTE_PGM_RSRC3_GFX90A:TG_SPLIT: 0
	.section	.text._ZL24rocblas_dot_kernel_magsqIlLb0ELi512ELi2ELb0E19rocblas_complex_numIfEPKPKS1_S1_EviT5_lT_liPT6_PT4_,"axG",@progbits,_ZL24rocblas_dot_kernel_magsqIlLb0ELi512ELi2ELb0E19rocblas_complex_numIfEPKPKS1_S1_EviT5_lT_liPT6_PT4_,comdat
	.globl	_ZL24rocblas_dot_kernel_magsqIlLb0ELi512ELi2ELb0E19rocblas_complex_numIfEPKPKS1_S1_EviT5_lT_liPT6_PT4_ ; -- Begin function _ZL24rocblas_dot_kernel_magsqIlLb0ELi512ELi2ELb0E19rocblas_complex_numIfEPKPKS1_S1_EviT5_lT_liPT6_PT4_
	.p2align	8
	.type	_ZL24rocblas_dot_kernel_magsqIlLb0ELi512ELi2ELb0E19rocblas_complex_numIfEPKPKS1_S1_EviT5_lT_liPT6_PT4_,@function
_ZL24rocblas_dot_kernel_magsqIlLb0ELi512ELi2ELb0E19rocblas_complex_numIfEPKPKS1_S1_EviT5_lT_liPT6_PT4_: ; @_ZL24rocblas_dot_kernel_magsqIlLb0ELi512ELi2ELb0E19rocblas_complex_numIfEPKPKS1_S1_EviT5_lT_liPT6_PT4_
; %bb.0:
	s_mov_b32 s8, s7
	s_load_dword s7, s[4:5], 0x0
	s_load_dword s12, s[4:5], 0x40
	v_lshl_or_b32 v1, s6, 9, v0
	v_mov_b32_e32 v2, 0
	s_mov_b32 s9, 0
	s_waitcnt lgkmcnt(0)
	v_cmp_gt_i32_e32 vcc, s7, v1
	v_mov_b32_e32 v3, v2
	s_and_saveexec_b64 s[10:11], vcc
	s_cbranch_execz .LBB224_4
; %bb.1:
	s_load_dwordx2 s[14:15], s[4:5], 0x8
	s_load_dwordx4 s[0:3], s[4:5], 0x10
	s_lshl_b64 s[16:17], s[8:9], 3
	v_ashrrev_i32_e32 v2, 31, v1
	s_waitcnt lgkmcnt(0)
	s_add_u32 s14, s14, s16
	s_addc_u32 s15, s15, s17
	s_load_dwordx2 s[14:15], s[14:15], 0x0
	v_mul_lo_u32 v4, v1, s3
	v_mul_lo_u32 v5, v2, s2
	v_mad_u64_u32 v[2:3], s[16:17], v1, s2, 0
	s_lshl_b64 s[0:1], s[0:1], 3
	s_waitcnt lgkmcnt(0)
	s_add_u32 s13, s14, s0
	v_add3_u32 v3, v3, v4, v5
	s_addc_u32 s14, s15, s1
	v_lshlrev_b64 v[2:3], 3, v[2:3]
	v_mov_b32_e32 v1, s14
	v_add_co_u32_e32 v2, vcc, s13, v2
	v_addc_co_u32_e32 v3, vcc, v1, v3, vcc
	global_load_dwordx2 v[2:3], v[2:3], off
	s_add_i32 s0, s6, s12
	v_lshl_or_b32 v1, s0, 9, v0
	v_cmp_gt_i32_e32 vcc, s7, v1
	s_waitcnt vmcnt(0)
	v_pk_mul_f32 v[4:5], v[2:3], v[2:3]
	v_pk_mul_f32 v[6:7], v[2:3], v[2:3] op_sel_hi:[0,1]
	v_mov_b32_e32 v4, v5
	v_mov_b32_e32 v5, v7
	v_pk_add_f32 v[6:7], v[6:7], v[6:7]
	v_pk_fma_f32 v[2:3], v[2:3], v[2:3], v[4:5] op_sel_hi:[0,1,1] neg_lo:[0,0,1] neg_hi:[0,0,1]
	v_mov_b32_e32 v3, v7
	v_pk_add_f32 v[2:3], v[2:3], 0 op_sel_hi:[1,0]
	s_and_saveexec_b64 s[0:1], vcc
	s_cbranch_execz .LBB224_3
; %bb.2:
	v_ashrrev_i32_e32 v4, 31, v1
	v_mul_lo_u32 v6, v1, s3
	v_mul_lo_u32 v7, v4, s2
	v_mad_u64_u32 v[4:5], s[2:3], v1, s2, 0
	v_add3_u32 v5, v5, v6, v7
	v_lshlrev_b64 v[4:5], 3, v[4:5]
	v_mov_b32_e32 v1, s14
	v_add_co_u32_e32 v4, vcc, s13, v4
	v_addc_co_u32_e32 v5, vcc, v1, v5, vcc
	global_load_dwordx2 v[4:5], v[4:5], off
	s_waitcnt vmcnt(0)
	v_pk_mul_f32 v[6:7], v[4:5], v[4:5] op_sel_hi:[0,1]
	v_pk_mul_f32 v[8:9], v[4:5], v[4:5]
	v_mov_b32_e32 v8, v9
	v_mov_b32_e32 v9, v7
	v_pk_fma_f32 v[4:5], v[4:5], v[4:5], v[8:9] op_sel_hi:[0,1,1] neg_lo:[0,0,1] neg_hi:[0,0,1]
	v_pk_add_f32 v[6:7], v[6:7], v[6:7]
	v_mov_b32_e32 v5, v7
	v_pk_add_f32 v[2:3], v[2:3], v[4:5]
.LBB224_3:
	s_or_b64 exec, exec, s[0:1]
.LBB224_4:
	s_or_b64 exec, exec, s[10:11]
	v_and_b32_e32 v6, 63, v0
	v_cmp_gt_u32_e32 vcc, 64, v0
	v_lshlrev_b32_e32 v1, 3, v6
	s_and_saveexec_b64 s[0:1], vcc
	s_cbranch_execz .LBB224_6
; %bb.5:
	v_mov_b32_e32 v4, 0
	v_mov_b32_e32 v5, v4
	ds_write_b64 v1, v[4:5]
.LBB224_6:
	s_or_b64 exec, exec, s[0:1]
	v_mbcnt_lo_u32_b32 v4, -1, 0
	v_mbcnt_hi_u32_b32 v9, -1, v4
	v_and_b32_e32 v10, 63, v9
	v_cmp_gt_u32_e64 s[0:1], 32, v10
	v_cndmask_b32_e64 v4, 0, 1, s[0:1]
	v_lshlrev_b32_e32 v4, 5, v4
	v_add_lshl_u32 v5, v4, v9, 2
	ds_bpermute_b32 v4, v5, v2
	ds_bpermute_b32 v5, v5, v3
	v_cmp_gt_u32_e64 s[0:1], 48, v10
	v_cndmask_b32_e64 v7, 0, 1, s[0:1]
	v_lshlrev_b32_e32 v7, 4, v7
	v_add_lshl_u32 v7, v7, v9, 2
	s_waitcnt lgkmcnt(0)
	v_pk_add_f32 v[2:3], v[2:3], v[4:5]
	ds_bpermute_b32 v4, v7, v2
	ds_bpermute_b32 v5, v7, v3
	v_cmp_gt_u32_e64 s[0:1], 56, v10
	v_cndmask_b32_e64 v7, 0, 1, s[0:1]
	v_lshlrev_b32_e32 v7, 3, v7
	v_add_lshl_u32 v7, v7, v9, 2
	s_waitcnt lgkmcnt(0)
	v_pk_add_f32 v[2:3], v[2:3], v[4:5]
	;; [unrolled: 8-line block ×4, first 2 shown]
	ds_bpermute_b32 v4, v8, v2
	ds_bpermute_b32 v5, v8, v3
	v_cmp_ne_u32_e64 s[0:1], 63, v10
	s_waitcnt lgkmcnt(0)
	s_barrier
	v_pk_add_f32 v[2:3], v[2:3], v[4:5]
	v_addc_co_u32_e64 v4, s[0:1], 0, v9, s[0:1]
	v_lshlrev_b32_e32 v9, 2, v4
	ds_bpermute_b32 v4, v9, v2
	ds_bpermute_b32 v5, v9, v3
	v_cmp_eq_u32_e64 s[0:1], 0, v6
	s_and_saveexec_b64 s[2:3], s[0:1]
	s_cbranch_execz .LBB224_8
; %bb.7:
	v_lshrrev_b32_e32 v6, 3, v0
	v_and_b32_e32 v6, 56, v6
	s_waitcnt lgkmcnt(0)
	v_pk_add_f32 v[2:3], v[2:3], v[4:5]
	ds_write_b64 v6, v[2:3]
.LBB224_8:
	s_or_b64 exec, exec, s[2:3]
	v_cmp_gt_u32_e64 s[0:1], 8, v0
	v_mov_b32_e32 v2, 0
	v_mov_b32_e32 v3, 0
	s_waitcnt lgkmcnt(0)
	s_barrier
	s_and_saveexec_b64 s[2:3], s[0:1]
	s_cbranch_execnz .LBB224_12
; %bb.9:
	s_or_b64 exec, exec, s[2:3]
	s_and_saveexec_b64 s[0:1], vcc
	s_cbranch_execnz .LBB224_13
.LBB224_10:
	s_or_b64 exec, exec, s[0:1]
	v_cmp_eq_u32_e32 vcc, 0, v0
	s_and_saveexec_b64 s[0:1], vcc
	s_cbranch_execnz .LBB224_14
.LBB224_11:
	s_endpgm
.LBB224_12:
	ds_read_b64 v[2:3], v1
	s_or_b64 exec, exec, s[2:3]
	s_and_saveexec_b64 s[0:1], vcc
	s_cbranch_execz .LBB224_10
.LBB224_13:
	s_waitcnt lgkmcnt(0)
	ds_bpermute_b32 v4, v7, v2
	ds_bpermute_b32 v5, v7, v3
	s_waitcnt lgkmcnt(0)
	v_pk_add_f32 v[2:3], v[2:3], v[4:5]
	ds_bpermute_b32 v4, v8, v2
	ds_bpermute_b32 v5, v8, v3
	s_waitcnt lgkmcnt(0)
	v_pk_add_f32 v[2:3], v[2:3], v[4:5]
	ds_bpermute_b32 v4, v9, v2
	ds_bpermute_b32 v5, v9, v3
	s_waitcnt lgkmcnt(0)
	v_pk_add_f32 v[2:3], v[2:3], v[4:5]
	s_or_b64 exec, exec, s[0:1]
	v_cmp_eq_u32_e32 vcc, 0, v0
	s_and_saveexec_b64 s[0:1], vcc
	s_cbranch_execz .LBB224_11
.LBB224_14:
	s_cmp_lg_u32 s12, 1
	s_cbranch_scc0 .LBB224_16
; %bb.15:
	s_load_dwordx2 s[0:1], s[4:5], 0x30
	s_mul_hi_u32 s3, s12, s8
	s_mul_i32 s2, s12, s8
	s_lshl_b64 s[2:3], s[2:3], 3
	s_mov_b32 s7, 0
	s_waitcnt lgkmcnt(0)
	s_add_u32 s2, s0, s2
	s_addc_u32 s3, s1, s3
	s_lshl_b64 s[0:1], s[6:7], 3
	s_add_u32 s0, s2, s0
	s_addc_u32 s1, s3, s1
	s_cbranch_execz .LBB224_17
	s_branch .LBB224_18
.LBB224_16:
                                        ; implicit-def: $sgpr0_sgpr1
.LBB224_17:
	s_load_dwordx2 s[0:1], s[4:5], 0x38
	s_lshl_b64 s[2:3], s[8:9], 3
	s_waitcnt lgkmcnt(0)
	s_add_u32 s0, s0, s2
	s_addc_u32 s1, s1, s3
.LBB224_18:
	v_mov_b32_e32 v0, 0
	s_waitcnt lgkmcnt(0)
	global_store_dwordx2 v0, v[2:3], s[0:1]
	s_endpgm
	.section	.rodata,"a",@progbits
	.p2align	6, 0x0
	.amdhsa_kernel _ZL24rocblas_dot_kernel_magsqIlLb0ELi512ELi2ELb0E19rocblas_complex_numIfEPKPKS1_S1_EviT5_lT_liPT6_PT4_
		.amdhsa_group_segment_fixed_size 512
		.amdhsa_private_segment_fixed_size 0
		.amdhsa_kernarg_size 320
		.amdhsa_user_sgpr_count 6
		.amdhsa_user_sgpr_private_segment_buffer 1
		.amdhsa_user_sgpr_dispatch_ptr 0
		.amdhsa_user_sgpr_queue_ptr 0
		.amdhsa_user_sgpr_kernarg_segment_ptr 1
		.amdhsa_user_sgpr_dispatch_id 0
		.amdhsa_user_sgpr_flat_scratch_init 0
		.amdhsa_user_sgpr_kernarg_preload_length 0
		.amdhsa_user_sgpr_kernarg_preload_offset 0
		.amdhsa_user_sgpr_private_segment_size 0
		.amdhsa_uses_dynamic_stack 0
		.amdhsa_system_sgpr_private_segment_wavefront_offset 0
		.amdhsa_system_sgpr_workgroup_id_x 1
		.amdhsa_system_sgpr_workgroup_id_y 0
		.amdhsa_system_sgpr_workgroup_id_z 1
		.amdhsa_system_sgpr_workgroup_info 0
		.amdhsa_system_vgpr_workitem_id 0
		.amdhsa_next_free_vgpr 11
		.amdhsa_next_free_sgpr 18
		.amdhsa_accum_offset 12
		.amdhsa_reserve_vcc 1
		.amdhsa_reserve_flat_scratch 0
		.amdhsa_float_round_mode_32 0
		.amdhsa_float_round_mode_16_64 0
		.amdhsa_float_denorm_mode_32 3
		.amdhsa_float_denorm_mode_16_64 3
		.amdhsa_dx10_clamp 1
		.amdhsa_ieee_mode 1
		.amdhsa_fp16_overflow 0
		.amdhsa_tg_split 0
		.amdhsa_exception_fp_ieee_invalid_op 0
		.amdhsa_exception_fp_denorm_src 0
		.amdhsa_exception_fp_ieee_div_zero 0
		.amdhsa_exception_fp_ieee_overflow 0
		.amdhsa_exception_fp_ieee_underflow 0
		.amdhsa_exception_fp_ieee_inexact 0
		.amdhsa_exception_int_div_zero 0
	.end_amdhsa_kernel
	.section	.text._ZL24rocblas_dot_kernel_magsqIlLb0ELi512ELi2ELb0E19rocblas_complex_numIfEPKPKS1_S1_EviT5_lT_liPT6_PT4_,"axG",@progbits,_ZL24rocblas_dot_kernel_magsqIlLb0ELi512ELi2ELb0E19rocblas_complex_numIfEPKPKS1_S1_EviT5_lT_liPT6_PT4_,comdat
.Lfunc_end224:
	.size	_ZL24rocblas_dot_kernel_magsqIlLb0ELi512ELi2ELb0E19rocblas_complex_numIfEPKPKS1_S1_EviT5_lT_liPT6_PT4_, .Lfunc_end224-_ZL24rocblas_dot_kernel_magsqIlLb0ELi512ELi2ELb0E19rocblas_complex_numIfEPKPKS1_S1_EviT5_lT_liPT6_PT4_
                                        ; -- End function
	.section	.AMDGPU.csdata,"",@progbits
; Kernel info:
; codeLenInByte = 1108
; NumSgprs: 22
; NumVgprs: 11
; NumAgprs: 0
; TotalNumVgprs: 11
; ScratchSize: 0
; MemoryBound: 0
; FloatMode: 240
; IeeeMode: 1
; LDSByteSize: 512 bytes/workgroup (compile time only)
; SGPRBlocks: 2
; VGPRBlocks: 1
; NumSGPRsForWavesPerEU: 22
; NumVGPRsForWavesPerEU: 11
; AccumOffset: 12
; Occupancy: 8
; WaveLimiterHint : 1
; COMPUTE_PGM_RSRC2:SCRATCH_EN: 0
; COMPUTE_PGM_RSRC2:USER_SGPR: 6
; COMPUTE_PGM_RSRC2:TRAP_HANDLER: 0
; COMPUTE_PGM_RSRC2:TGID_X_EN: 1
; COMPUTE_PGM_RSRC2:TGID_Y_EN: 0
; COMPUTE_PGM_RSRC2:TGID_Z_EN: 1
; COMPUTE_PGM_RSRC2:TIDIG_COMP_CNT: 0
; COMPUTE_PGM_RSRC3_GFX90A:ACCUM_OFFSET: 2
; COMPUTE_PGM_RSRC3_GFX90A:TG_SPLIT: 0
	.section	.text._ZL28rocblas_dot_batched_4_kernelIiLi32ELi4ELb0E19rocblas_complex_numIdES1_PKPKS1_EviT5_lT_lS6_lS7_liPT4_,"axG",@progbits,_ZL28rocblas_dot_batched_4_kernelIiLi32ELi4ELb0E19rocblas_complex_numIdES1_PKPKS1_EviT5_lT_lS6_lS7_liPT4_,comdat
	.globl	_ZL28rocblas_dot_batched_4_kernelIiLi32ELi4ELb0E19rocblas_complex_numIdES1_PKPKS1_EviT5_lT_lS6_lS7_liPT4_ ; -- Begin function _ZL28rocblas_dot_batched_4_kernelIiLi32ELi4ELb0E19rocblas_complex_numIdES1_PKPKS1_EviT5_lT_lS6_lS7_liPT4_
	.p2align	8
	.type	_ZL28rocblas_dot_batched_4_kernelIiLi32ELi4ELb0E19rocblas_complex_numIdES1_PKPKS1_EviT5_lT_lS6_lS7_liPT4_,@function
_ZL28rocblas_dot_batched_4_kernelIiLi32ELi4ELb0E19rocblas_complex_numIdES1_PKPKS1_EviT5_lT_lS6_lS7_liPT4_: ; @_ZL28rocblas_dot_batched_4_kernelIiLi32ELi4ELb0E19rocblas_complex_numIdES1_PKPKS1_EviT5_lT_lS6_lS7_liPT4_
; %bb.0:
	s_load_dword s0, s[4:5], 0x48
	v_bfe_u32 v1, v0, 10, 10
	v_lshl_add_u32 v2, s6, 2, v1
	s_waitcnt lgkmcnt(0)
	v_cmp_gt_u32_e32 vcc, s0, v2
	s_and_saveexec_b64 s[0:1], vcc
	s_cbranch_execz .LBB225_7
; %bb.1:
	s_load_dword s14, s[4:5], 0x0
	s_load_dwordx2 s[6:7], s[4:5], 0x50
	v_and_b32_e32 v10, 0x3ff, v0
	v_pk_mov_b32 v[0:1], 0, 0
	v_mov_b32_e32 v3, 0
	s_waitcnt lgkmcnt(0)
	v_cmp_gt_i32_e32 vcc, s14, v10
	v_pk_mov_b32 v[4:5], v[0:1], v[0:1] op_sel:[0,1]
	s_and_saveexec_b64 s[12:13], vcc
	s_cbranch_execz .LBB225_5
; %bb.2:
	s_load_dwordx4 s[0:3], s[4:5], 0x8
	s_load_dwordx4 s[8:11], s[4:5], 0x28
	v_lshlrev_b64 v[0:1], 3, v[2:3]
	s_load_dword s16, s[4:5], 0x18
	s_load_dword s18, s[4:5], 0x38
	v_mov_b32_e32 v11, v10
	s_waitcnt lgkmcnt(0)
	v_mov_b32_e32 v6, s1
	v_mov_b32_e32 v5, s9
	v_add_co_u32_e32 v4, vcc, s8, v0
	v_addc_co_u32_e32 v5, vcc, v5, v1, vcc
	global_load_dwordx2 v[4:5], v[4:5], off
	v_add_co_u32_e32 v0, vcc, s0, v0
	v_addc_co_u32_e32 v1, vcc, v6, v1, vcc
	global_load_dwordx2 v[6:7], v[0:1], off
	v_mad_i64_i32 v[8:9], s[4:5], s18, v10, 0
	s_lshl_b64 s[8:9], s[10:11], 4
	v_lshlrev_b64 v[8:9], 4, v[8:9]
	v_mad_i64_i32 v[12:13], s[4:5], s16, v10, 0
	v_mov_b32_e32 v14, s9
	v_add_co_u32_e32 v8, vcc, s8, v8
	s_lshl_b64 s[10:11], s[2:3], 4
	v_lshlrev_b64 v[12:13], 4, v[12:13]
	v_addc_co_u32_e32 v9, vcc, v9, v14, vcc
	v_mov_b32_e32 v15, s11
	v_add_co_u32_e32 v14, vcc, s10, v12
	v_addc_co_u32_e32 v15, vcc, v13, v15, vcc
	s_ashr_i32 s17, s16, 31
	s_ashr_i32 s19, s18, 31
	v_pk_mov_b32 v[0:1], 0, 0
	s_lshl_b64 s[2:3], s[18:19], 9
	s_lshl_b64 s[4:5], s[16:17], 9
	s_mov_b64 s[0:1], 0
	v_mov_b32_e32 v12, s3
	v_mov_b32_e32 v13, s5
	s_waitcnt vmcnt(1)
	v_add_co_u32_e32 v4, vcc, v8, v4
	v_addc_co_u32_e32 v5, vcc, v9, v5, vcc
	s_waitcnt vmcnt(0)
	v_add_co_u32_e32 v8, vcc, v14, v6
	v_addc_co_u32_e32 v9, vcc, v15, v7, vcc
	v_add_co_u32_e32 v6, vcc, 8, v4
	v_addc_co_u32_e32 v7, vcc, 0, v5, vcc
	;; [unrolled: 2-line block ×3, first 2 shown]
	v_pk_mov_b32 v[4:5], v[0:1], v[0:1] op_sel:[0,1]
.LBB225_3:                              ; =>This Inner Loop Header: Depth=1
	global_load_dwordx4 v[14:17], v[8:9], off offset:-8
	global_load_dwordx4 v[18:21], v[6:7], off offset:-8
	v_add_co_u32_e32 v6, vcc, s2, v6
	v_addc_co_u32_e32 v7, vcc, v7, v12, vcc
	v_add_co_u32_e32 v8, vcc, s4, v8
	v_add_u32_e32 v11, 32, v11
	v_addc_co_u32_e32 v9, vcc, v9, v13, vcc
	v_cmp_le_i32_e32 vcc, s14, v11
	s_or_b64 s[0:1], vcc, s[0:1]
	s_waitcnt vmcnt(0)
	v_mul_f64 v[22:23], v[16:17], v[20:21]
	v_mul_f64 v[20:21], v[14:15], v[20:21]
	v_fma_f64 v[14:15], v[14:15], v[18:19], -v[22:23]
	v_fmac_f64_e32 v[20:21], v[16:17], v[18:19]
	v_add_f64 v[0:1], v[0:1], v[14:15]
	v_add_f64 v[4:5], v[4:5], v[20:21]
	s_andn2_b64 exec, exec, s[0:1]
	s_cbranch_execnz .LBB225_3
; %bb.4:
	s_or_b64 exec, exec, s[0:1]
.LBB225_5:
	s_or_b64 exec, exec, s[12:13]
	v_mbcnt_lo_u32_b32 v6, -1, 0
	v_mbcnt_hi_u32_b32 v11, -1, v6
	v_and_b32_e32 v12, 63, v11
	v_cmp_gt_u32_e32 vcc, 48, v12
	v_cndmask_b32_e64 v6, 0, 1, vcc
	v_lshlrev_b32_e32 v6, 4, v6
	v_add_lshl_u32 v9, v6, v11, 2
	ds_bpermute_b32 v6, v9, v0
	ds_bpermute_b32 v7, v9, v1
	;; [unrolled: 1-line block ×4, first 2 shown]
	v_cmp_gt_u32_e32 vcc, 56, v12
	s_waitcnt lgkmcnt(0)
	v_add_f64 v[0:1], v[0:1], v[6:7]
	v_cndmask_b32_e64 v6, 0, 1, vcc
	v_lshlrev_b32_e32 v6, 3, v6
	v_add_f64 v[4:5], v[4:5], v[8:9]
	v_add_lshl_u32 v9, v6, v11, 2
	ds_bpermute_b32 v6, v9, v0
	ds_bpermute_b32 v7, v9, v1
	;; [unrolled: 1-line block ×4, first 2 shown]
	v_cmp_gt_u32_e32 vcc, 60, v12
	s_barrier
	s_waitcnt lgkmcnt(2)
	v_add_f64 v[0:1], v[0:1], v[6:7]
	v_cndmask_b32_e64 v6, 0, 1, vcc
	v_lshlrev_b32_e32 v6, 2, v6
	s_waitcnt lgkmcnt(0)
	v_add_f64 v[4:5], v[4:5], v[8:9]
	v_add_lshl_u32 v9, v6, v11, 2
	ds_bpermute_b32 v6, v9, v0
	ds_bpermute_b32 v7, v9, v1
	;; [unrolled: 1-line block ×4, first 2 shown]
	v_cmp_gt_u32_e32 vcc, 62, v12
	s_waitcnt lgkmcnt(0)
	v_add_f64 v[0:1], v[0:1], v[6:7]
	v_cndmask_b32_e64 v6, 0, 1, vcc
	v_lshlrev_b32_e32 v6, 1, v6
	v_add_f64 v[4:5], v[4:5], v[8:9]
	v_add_lshl_u32 v9, v6, v11, 2
	ds_bpermute_b32 v6, v9, v0
	ds_bpermute_b32 v7, v9, v1
	;; [unrolled: 1-line block ×4, first 2 shown]
	v_cmp_ne_u32_e32 vcc, 63, v12
	s_waitcnt lgkmcnt(2)
	v_add_f64 v[0:1], v[0:1], v[6:7]
	s_waitcnt lgkmcnt(0)
	v_add_f64 v[6:7], v[4:5], v[8:9]
	v_addc_co_u32_e32 v4, vcc, 0, v11, vcc
	v_lshlrev_b32_e32 v9, 2, v4
	ds_bpermute_b32 v4, v9, v0
	ds_bpermute_b32 v5, v9, v1
	ds_bpermute_b32 v8, v9, v6
	ds_bpermute_b32 v9, v9, v7
	v_cmp_eq_u32_e32 vcc, 0, v10
	s_and_b64 exec, exec, vcc
	s_cbranch_execz .LBB225_7
; %bb.6:
	v_lshlrev_b64 v[2:3], 4, v[2:3]
	v_mov_b32_e32 v11, s7
	v_add_co_u32_e32 v10, vcc, s6, v2
	v_addc_co_u32_e32 v11, vcc, v11, v3, vcc
	s_waitcnt lgkmcnt(0)
	v_add_f64 v[2:3], v[6:7], v[8:9]
	v_add_f64 v[0:1], v[0:1], v[4:5]
	global_store_dwordx4 v[10:11], v[0:3], off
.LBB225_7:
	s_endpgm
	.section	.rodata,"a",@progbits
	.p2align	6, 0x0
	.amdhsa_kernel _ZL28rocblas_dot_batched_4_kernelIiLi32ELi4ELb0E19rocblas_complex_numIdES1_PKPKS1_EviT5_lT_lS6_lS7_liPT4_
		.amdhsa_group_segment_fixed_size 0
		.amdhsa_private_segment_fixed_size 0
		.amdhsa_kernarg_size 88
		.amdhsa_user_sgpr_count 6
		.amdhsa_user_sgpr_private_segment_buffer 1
		.amdhsa_user_sgpr_dispatch_ptr 0
		.amdhsa_user_sgpr_queue_ptr 0
		.amdhsa_user_sgpr_kernarg_segment_ptr 1
		.amdhsa_user_sgpr_dispatch_id 0
		.amdhsa_user_sgpr_flat_scratch_init 0
		.amdhsa_user_sgpr_kernarg_preload_length 0
		.amdhsa_user_sgpr_kernarg_preload_offset 0
		.amdhsa_user_sgpr_private_segment_size 0
		.amdhsa_uses_dynamic_stack 0
		.amdhsa_system_sgpr_private_segment_wavefront_offset 0
		.amdhsa_system_sgpr_workgroup_id_x 1
		.amdhsa_system_sgpr_workgroup_id_y 0
		.amdhsa_system_sgpr_workgroup_id_z 0
		.amdhsa_system_sgpr_workgroup_info 0
		.amdhsa_system_vgpr_workitem_id 1
		.amdhsa_next_free_vgpr 24
		.amdhsa_next_free_sgpr 20
		.amdhsa_accum_offset 24
		.amdhsa_reserve_vcc 1
		.amdhsa_reserve_flat_scratch 0
		.amdhsa_float_round_mode_32 0
		.amdhsa_float_round_mode_16_64 0
		.amdhsa_float_denorm_mode_32 3
		.amdhsa_float_denorm_mode_16_64 3
		.amdhsa_dx10_clamp 1
		.amdhsa_ieee_mode 1
		.amdhsa_fp16_overflow 0
		.amdhsa_tg_split 0
		.amdhsa_exception_fp_ieee_invalid_op 0
		.amdhsa_exception_fp_denorm_src 0
		.amdhsa_exception_fp_ieee_div_zero 0
		.amdhsa_exception_fp_ieee_overflow 0
		.amdhsa_exception_fp_ieee_underflow 0
		.amdhsa_exception_fp_ieee_inexact 0
		.amdhsa_exception_int_div_zero 0
	.end_amdhsa_kernel
	.section	.text._ZL28rocblas_dot_batched_4_kernelIiLi32ELi4ELb0E19rocblas_complex_numIdES1_PKPKS1_EviT5_lT_lS6_lS7_liPT4_,"axG",@progbits,_ZL28rocblas_dot_batched_4_kernelIiLi32ELi4ELb0E19rocblas_complex_numIdES1_PKPKS1_EviT5_lT_lS6_lS7_liPT4_,comdat
.Lfunc_end225:
	.size	_ZL28rocblas_dot_batched_4_kernelIiLi32ELi4ELb0E19rocblas_complex_numIdES1_PKPKS1_EviT5_lT_lS6_lS7_liPT4_, .Lfunc_end225-_ZL28rocblas_dot_batched_4_kernelIiLi32ELi4ELb0E19rocblas_complex_numIdES1_PKPKS1_EviT5_lT_lS6_lS7_liPT4_
                                        ; -- End function
	.section	.AMDGPU.csdata,"",@progbits
; Kernel info:
; codeLenInByte = 888
; NumSgprs: 24
; NumVgprs: 24
; NumAgprs: 0
; TotalNumVgprs: 24
; ScratchSize: 0
; MemoryBound: 0
; FloatMode: 240
; IeeeMode: 1
; LDSByteSize: 0 bytes/workgroup (compile time only)
; SGPRBlocks: 2
; VGPRBlocks: 2
; NumSGPRsForWavesPerEU: 24
; NumVGPRsForWavesPerEU: 24
; AccumOffset: 24
; Occupancy: 8
; WaveLimiterHint : 0
; COMPUTE_PGM_RSRC2:SCRATCH_EN: 0
; COMPUTE_PGM_RSRC2:USER_SGPR: 6
; COMPUTE_PGM_RSRC2:TRAP_HANDLER: 0
; COMPUTE_PGM_RSRC2:TGID_X_EN: 1
; COMPUTE_PGM_RSRC2:TGID_Y_EN: 0
; COMPUTE_PGM_RSRC2:TGID_Z_EN: 0
; COMPUTE_PGM_RSRC2:TIDIG_COMP_CNT: 1
; COMPUTE_PGM_RSRC3_GFX90A:ACCUM_OFFSET: 5
; COMPUTE_PGM_RSRC3_GFX90A:TG_SPLIT: 0
	.section	.text._ZL28rocblas_dot_batched_4_kernelIiLi64ELi4ELb0E19rocblas_complex_numIdES1_PKPKS1_EviT5_lT_lS6_lS7_liPT4_,"axG",@progbits,_ZL28rocblas_dot_batched_4_kernelIiLi64ELi4ELb0E19rocblas_complex_numIdES1_PKPKS1_EviT5_lT_lS6_lS7_liPT4_,comdat
	.globl	_ZL28rocblas_dot_batched_4_kernelIiLi64ELi4ELb0E19rocblas_complex_numIdES1_PKPKS1_EviT5_lT_lS6_lS7_liPT4_ ; -- Begin function _ZL28rocblas_dot_batched_4_kernelIiLi64ELi4ELb0E19rocblas_complex_numIdES1_PKPKS1_EviT5_lT_lS6_lS7_liPT4_
	.p2align	8
	.type	_ZL28rocblas_dot_batched_4_kernelIiLi64ELi4ELb0E19rocblas_complex_numIdES1_PKPKS1_EviT5_lT_lS6_lS7_liPT4_,@function
_ZL28rocblas_dot_batched_4_kernelIiLi64ELi4ELb0E19rocblas_complex_numIdES1_PKPKS1_EviT5_lT_lS6_lS7_liPT4_: ; @_ZL28rocblas_dot_batched_4_kernelIiLi64ELi4ELb0E19rocblas_complex_numIdES1_PKPKS1_EviT5_lT_lS6_lS7_liPT4_
; %bb.0:
	s_load_dword s0, s[4:5], 0x48
	v_bfe_u32 v1, v0, 10, 10
	v_lshl_add_u32 v2, s6, 2, v1
	s_waitcnt lgkmcnt(0)
	v_cmp_gt_u32_e32 vcc, s0, v2
	s_and_saveexec_b64 s[0:1], vcc
	s_cbranch_execz .LBB226_7
; %bb.1:
	s_load_dword s14, s[4:5], 0x0
	s_load_dwordx2 s[6:7], s[4:5], 0x50
	v_and_b32_e32 v10, 0x3ff, v0
	v_pk_mov_b32 v[0:1], 0, 0
	v_mov_b32_e32 v3, 0
	s_waitcnt lgkmcnt(0)
	v_cmp_gt_i32_e32 vcc, s14, v10
	v_pk_mov_b32 v[4:5], v[0:1], v[0:1] op_sel:[0,1]
	s_and_saveexec_b64 s[12:13], vcc
	s_cbranch_execz .LBB226_5
; %bb.2:
	s_load_dwordx4 s[0:3], s[4:5], 0x8
	s_load_dwordx4 s[8:11], s[4:5], 0x28
	v_lshlrev_b64 v[0:1], 3, v[2:3]
	s_load_dword s16, s[4:5], 0x18
	s_load_dword s18, s[4:5], 0x38
	v_mov_b32_e32 v11, v10
	s_waitcnt lgkmcnt(0)
	v_mov_b32_e32 v6, s1
	v_mov_b32_e32 v5, s9
	v_add_co_u32_e32 v4, vcc, s8, v0
	v_addc_co_u32_e32 v5, vcc, v5, v1, vcc
	global_load_dwordx2 v[4:5], v[4:5], off
	v_add_co_u32_e32 v0, vcc, s0, v0
	v_addc_co_u32_e32 v1, vcc, v6, v1, vcc
	global_load_dwordx2 v[6:7], v[0:1], off
	v_mad_i64_i32 v[8:9], s[4:5], s18, v10, 0
	s_lshl_b64 s[8:9], s[10:11], 4
	v_lshlrev_b64 v[8:9], 4, v[8:9]
	v_mad_i64_i32 v[12:13], s[4:5], s16, v10, 0
	v_mov_b32_e32 v14, s9
	v_add_co_u32_e32 v8, vcc, s8, v8
	s_lshl_b64 s[10:11], s[2:3], 4
	v_lshlrev_b64 v[12:13], 4, v[12:13]
	v_addc_co_u32_e32 v9, vcc, v9, v14, vcc
	v_mov_b32_e32 v15, s11
	v_add_co_u32_e32 v14, vcc, s10, v12
	v_addc_co_u32_e32 v15, vcc, v13, v15, vcc
	s_ashr_i32 s17, s16, 31
	s_ashr_i32 s19, s18, 31
	v_pk_mov_b32 v[0:1], 0, 0
	s_lshl_b64 s[2:3], s[18:19], 10
	s_lshl_b64 s[4:5], s[16:17], 10
	s_mov_b64 s[0:1], 0
	v_mov_b32_e32 v12, s3
	v_mov_b32_e32 v13, s5
	s_waitcnt vmcnt(1)
	v_add_co_u32_e32 v4, vcc, v8, v4
	v_addc_co_u32_e32 v5, vcc, v9, v5, vcc
	s_waitcnt vmcnt(0)
	v_add_co_u32_e32 v8, vcc, v14, v6
	v_addc_co_u32_e32 v9, vcc, v15, v7, vcc
	v_add_co_u32_e32 v6, vcc, 8, v4
	v_addc_co_u32_e32 v7, vcc, 0, v5, vcc
	;; [unrolled: 2-line block ×3, first 2 shown]
	v_pk_mov_b32 v[4:5], v[0:1], v[0:1] op_sel:[0,1]
.LBB226_3:                              ; =>This Inner Loop Header: Depth=1
	global_load_dwordx4 v[14:17], v[8:9], off offset:-8
	global_load_dwordx4 v[18:21], v[6:7], off offset:-8
	v_add_co_u32_e32 v6, vcc, s2, v6
	v_addc_co_u32_e32 v7, vcc, v7, v12, vcc
	v_add_co_u32_e32 v8, vcc, s4, v8
	v_add_u32_e32 v11, 64, v11
	v_addc_co_u32_e32 v9, vcc, v9, v13, vcc
	v_cmp_le_i32_e32 vcc, s14, v11
	s_or_b64 s[0:1], vcc, s[0:1]
	s_waitcnt vmcnt(0)
	v_mul_f64 v[22:23], v[16:17], v[20:21]
	v_mul_f64 v[20:21], v[14:15], v[20:21]
	v_fma_f64 v[14:15], v[14:15], v[18:19], -v[22:23]
	v_fmac_f64_e32 v[20:21], v[16:17], v[18:19]
	v_add_f64 v[0:1], v[0:1], v[14:15]
	v_add_f64 v[4:5], v[4:5], v[20:21]
	s_andn2_b64 exec, exec, s[0:1]
	s_cbranch_execnz .LBB226_3
; %bb.4:
	s_or_b64 exec, exec, s[0:1]
.LBB226_5:
	s_or_b64 exec, exec, s[12:13]
	v_mbcnt_lo_u32_b32 v6, -1, 0
	v_mbcnt_hi_u32_b32 v11, -1, v6
	v_and_b32_e32 v12, 63, v11
	v_cmp_gt_u32_e32 vcc, 32, v12
	v_cndmask_b32_e64 v6, 0, 1, vcc
	v_lshlrev_b32_e32 v6, 5, v6
	v_add_lshl_u32 v9, v6, v11, 2
	ds_bpermute_b32 v6, v9, v0
	ds_bpermute_b32 v7, v9, v1
	;; [unrolled: 1-line block ×4, first 2 shown]
	v_cmp_gt_u32_e32 vcc, 48, v12
	s_waitcnt lgkmcnt(0)
	v_add_f64 v[0:1], v[0:1], v[6:7]
	v_cndmask_b32_e64 v6, 0, 1, vcc
	v_lshlrev_b32_e32 v6, 4, v6
	v_add_f64 v[4:5], v[4:5], v[8:9]
	v_add_lshl_u32 v9, v6, v11, 2
	ds_bpermute_b32 v6, v9, v0
	ds_bpermute_b32 v7, v9, v1
	;; [unrolled: 1-line block ×4, first 2 shown]
	v_cmp_gt_u32_e32 vcc, 56, v12
	s_barrier
	s_waitcnt lgkmcnt(2)
	v_add_f64 v[0:1], v[0:1], v[6:7]
	v_cndmask_b32_e64 v6, 0, 1, vcc
	v_lshlrev_b32_e32 v6, 3, v6
	s_waitcnt lgkmcnt(0)
	v_add_f64 v[4:5], v[4:5], v[8:9]
	v_add_lshl_u32 v9, v6, v11, 2
	ds_bpermute_b32 v6, v9, v0
	ds_bpermute_b32 v7, v9, v1
	;; [unrolled: 1-line block ×4, first 2 shown]
	v_cmp_gt_u32_e32 vcc, 60, v12
	s_waitcnt lgkmcnt(0)
	v_add_f64 v[0:1], v[0:1], v[6:7]
	v_cndmask_b32_e64 v6, 0, 1, vcc
	v_lshlrev_b32_e32 v6, 2, v6
	v_add_f64 v[4:5], v[4:5], v[8:9]
	v_add_lshl_u32 v9, v6, v11, 2
	ds_bpermute_b32 v6, v9, v0
	ds_bpermute_b32 v7, v9, v1
	;; [unrolled: 1-line block ×4, first 2 shown]
	v_cmp_gt_u32_e32 vcc, 62, v12
	s_waitcnt lgkmcnt(2)
	v_add_f64 v[0:1], v[0:1], v[6:7]
	v_cndmask_b32_e64 v6, 0, 1, vcc
	v_lshlrev_b32_e32 v6, 1, v6
	s_waitcnt lgkmcnt(0)
	v_add_f64 v[4:5], v[4:5], v[8:9]
	v_add_lshl_u32 v9, v6, v11, 2
	ds_bpermute_b32 v6, v9, v0
	ds_bpermute_b32 v7, v9, v1
	;; [unrolled: 1-line block ×4, first 2 shown]
	v_cmp_ne_u32_e32 vcc, 63, v12
	s_waitcnt lgkmcnt(2)
	v_add_f64 v[0:1], v[0:1], v[6:7]
	s_waitcnt lgkmcnt(0)
	v_add_f64 v[6:7], v[4:5], v[8:9]
	v_addc_co_u32_e32 v4, vcc, 0, v11, vcc
	v_lshlrev_b32_e32 v9, 2, v4
	ds_bpermute_b32 v4, v9, v0
	ds_bpermute_b32 v5, v9, v1
	ds_bpermute_b32 v8, v9, v6
	ds_bpermute_b32 v9, v9, v7
	v_cmp_eq_u32_e32 vcc, 0, v10
	s_and_b64 exec, exec, vcc
	s_cbranch_execz .LBB226_7
; %bb.6:
	v_lshlrev_b64 v[2:3], 4, v[2:3]
	v_mov_b32_e32 v11, s7
	v_add_co_u32_e32 v10, vcc, s6, v2
	v_addc_co_u32_e32 v11, vcc, v11, v3, vcc
	s_waitcnt lgkmcnt(0)
	v_add_f64 v[2:3], v[6:7], v[8:9]
	v_add_f64 v[0:1], v[0:1], v[4:5]
	global_store_dwordx4 v[10:11], v[0:3], off
.LBB226_7:
	s_endpgm
	.section	.rodata,"a",@progbits
	.p2align	6, 0x0
	.amdhsa_kernel _ZL28rocblas_dot_batched_4_kernelIiLi64ELi4ELb0E19rocblas_complex_numIdES1_PKPKS1_EviT5_lT_lS6_lS7_liPT4_
		.amdhsa_group_segment_fixed_size 0
		.amdhsa_private_segment_fixed_size 0
		.amdhsa_kernarg_size 88
		.amdhsa_user_sgpr_count 6
		.amdhsa_user_sgpr_private_segment_buffer 1
		.amdhsa_user_sgpr_dispatch_ptr 0
		.amdhsa_user_sgpr_queue_ptr 0
		.amdhsa_user_sgpr_kernarg_segment_ptr 1
		.amdhsa_user_sgpr_dispatch_id 0
		.amdhsa_user_sgpr_flat_scratch_init 0
		.amdhsa_user_sgpr_kernarg_preload_length 0
		.amdhsa_user_sgpr_kernarg_preload_offset 0
		.amdhsa_user_sgpr_private_segment_size 0
		.amdhsa_uses_dynamic_stack 0
		.amdhsa_system_sgpr_private_segment_wavefront_offset 0
		.amdhsa_system_sgpr_workgroup_id_x 1
		.amdhsa_system_sgpr_workgroup_id_y 0
		.amdhsa_system_sgpr_workgroup_id_z 0
		.amdhsa_system_sgpr_workgroup_info 0
		.amdhsa_system_vgpr_workitem_id 1
		.amdhsa_next_free_vgpr 24
		.amdhsa_next_free_sgpr 20
		.amdhsa_accum_offset 24
		.amdhsa_reserve_vcc 1
		.amdhsa_reserve_flat_scratch 0
		.amdhsa_float_round_mode_32 0
		.amdhsa_float_round_mode_16_64 0
		.amdhsa_float_denorm_mode_32 3
		.amdhsa_float_denorm_mode_16_64 3
		.amdhsa_dx10_clamp 1
		.amdhsa_ieee_mode 1
		.amdhsa_fp16_overflow 0
		.amdhsa_tg_split 0
		.amdhsa_exception_fp_ieee_invalid_op 0
		.amdhsa_exception_fp_denorm_src 0
		.amdhsa_exception_fp_ieee_div_zero 0
		.amdhsa_exception_fp_ieee_overflow 0
		.amdhsa_exception_fp_ieee_underflow 0
		.amdhsa_exception_fp_ieee_inexact 0
		.amdhsa_exception_int_div_zero 0
	.end_amdhsa_kernel
	.section	.text._ZL28rocblas_dot_batched_4_kernelIiLi64ELi4ELb0E19rocblas_complex_numIdES1_PKPKS1_EviT5_lT_lS6_lS7_liPT4_,"axG",@progbits,_ZL28rocblas_dot_batched_4_kernelIiLi64ELi4ELb0E19rocblas_complex_numIdES1_PKPKS1_EviT5_lT_lS6_lS7_liPT4_,comdat
.Lfunc_end226:
	.size	_ZL28rocblas_dot_batched_4_kernelIiLi64ELi4ELb0E19rocblas_complex_numIdES1_PKPKS1_EviT5_lT_lS6_lS7_liPT4_, .Lfunc_end226-_ZL28rocblas_dot_batched_4_kernelIiLi64ELi4ELb0E19rocblas_complex_numIdES1_PKPKS1_EviT5_lT_lS6_lS7_liPT4_
                                        ; -- End function
	.section	.AMDGPU.csdata,"",@progbits
; Kernel info:
; codeLenInByte = 968
; NumSgprs: 24
; NumVgprs: 24
; NumAgprs: 0
; TotalNumVgprs: 24
; ScratchSize: 0
; MemoryBound: 0
; FloatMode: 240
; IeeeMode: 1
; LDSByteSize: 0 bytes/workgroup (compile time only)
; SGPRBlocks: 2
; VGPRBlocks: 2
; NumSGPRsForWavesPerEU: 24
; NumVGPRsForWavesPerEU: 24
; AccumOffset: 24
; Occupancy: 8
; WaveLimiterHint : 0
; COMPUTE_PGM_RSRC2:SCRATCH_EN: 0
; COMPUTE_PGM_RSRC2:USER_SGPR: 6
; COMPUTE_PGM_RSRC2:TRAP_HANDLER: 0
; COMPUTE_PGM_RSRC2:TGID_X_EN: 1
; COMPUTE_PGM_RSRC2:TGID_Y_EN: 0
; COMPUTE_PGM_RSRC2:TGID_Z_EN: 0
; COMPUTE_PGM_RSRC2:TIDIG_COMP_CNT: 1
; COMPUTE_PGM_RSRC3_GFX90A:ACCUM_OFFSET: 5
; COMPUTE_PGM_RSRC3_GFX90A:TG_SPLIT: 0
	.section	.text._ZL26rocblas_dot_kernel_inc1by2ILb1ELi1024ELi32ELb0E19rocblas_complex_numIdEPKPKS1_S1_EviT4_llS6_lliPT5_PT3_,"axG",@progbits,_ZL26rocblas_dot_kernel_inc1by2ILb1ELi1024ELi32ELb0E19rocblas_complex_numIdEPKPKS1_S1_EviT4_llS6_lliPT5_PT3_,comdat
	.globl	_ZL26rocblas_dot_kernel_inc1by2ILb1ELi1024ELi32ELb0E19rocblas_complex_numIdEPKPKS1_S1_EviT4_llS6_lliPT5_PT3_ ; -- Begin function _ZL26rocblas_dot_kernel_inc1by2ILb1ELi1024ELi32ELb0E19rocblas_complex_numIdEPKPKS1_S1_EviT4_llS6_lliPT5_PT3_
	.p2align	8
	.type	_ZL26rocblas_dot_kernel_inc1by2ILb1ELi1024ELi32ELb0E19rocblas_complex_numIdEPKPKS1_S1_EviT4_llS6_lliPT5_PT3_,@function
_ZL26rocblas_dot_kernel_inc1by2ILb1ELi1024ELi32ELb0E19rocblas_complex_numIdEPKPKS1_S1_EviT4_llS6_lliPT5_PT3_: ; @_ZL26rocblas_dot_kernel_inc1by2ILb1ELi1024ELi32ELb0E19rocblas_complex_numIdEPKPKS1_S1_EviT4_llS6_lliPT5_PT3_
; %bb.0:
	s_mov_b32 s2, s7
	s_load_dword s10, s[4:5], 0x0
	s_load_dwordx2 s[6:7], s[4:5], 0x48
	v_pk_mov_b32 v[2:3], 0, 0
	s_mov_b32 s3, 0
	v_pk_mov_b32 v[4:5], v[2:3], v[2:3] op_sel:[0,1]
	s_waitcnt lgkmcnt(0)
	v_cmp_gt_i32_e32 vcc, s10, v0
	s_and_saveexec_b64 s[8:9], vcc
	s_cbranch_execz .LBB227_4
; %bb.1:
	s_load_dwordx4 s[12:15], s[4:5], 0x8
	s_load_dwordx4 s[16:19], s[4:5], 0x20
	s_lshl_b64 s[0:1], s[2:3], 3
	v_lshlrev_b32_e32 v2, 4, v0
	v_or_b32_e32 v1, 0x400, v0
	s_waitcnt lgkmcnt(0)
	s_add_u32 s4, s12, s0
	s_addc_u32 s5, s13, s1
	s_add_u32 s0, s16, s0
	s_addc_u32 s1, s17, s1
	s_load_dwordx2 s[0:1], s[0:1], 0x0
	s_lshl_b64 s[12:13], s[18:19], 4
	s_load_dwordx2 s[4:5], s[4:5], 0x0
	s_mov_b32 s11, s3
	s_waitcnt lgkmcnt(0)
	s_add_u32 s0, s0, s12
	s_addc_u32 s1, s1, s13
	v_mov_b32_e32 v3, s1
	v_add_co_u32_e32 v4, vcc, s0, v2
	v_addc_co_u32_e32 v3, vcc, 0, v3, vcc
	s_lshl_b64 s[0:1], s[14:15], 4
	v_add_co_u32_e32 v6, vcc, 8, v4
	s_add_u32 s0, s4, s0
	v_addc_co_u32_e32 v7, vcc, 0, v3, vcc
	s_addc_u32 s1, s5, s1
	v_mov_b32_e32 v3, s1
	v_add_co_u32_e32 v2, vcc, s0, v2
	v_addc_co_u32_e32 v3, vcc, 0, v3, vcc
	v_add_co_u32_e32 v8, vcc, 8, v2
	v_addc_co_u32_e32 v9, vcc, 0, v3, vcc
	v_pk_mov_b32 v[2:3], 0, 0
	s_mov_b64 s[4:5], 0
	v_pk_mov_b32 v[4:5], v[2:3], v[2:3] op_sel:[0,1]
.LBB227_2:                              ; =>This Inner Loop Header: Depth=1
	global_load_dwordx4 v[10:13], v[6:7], off offset:-8
	global_load_dwordx4 v[14:17], v[8:9], off offset:-8
	s_add_i32 s12, s11, 1
	s_cmp_gt_u32 s11, 30
	v_cmp_le_i32_e64 s[0:1], s10, v1
	v_add_co_u32_e32 v6, vcc, 0x4000, v6
	s_mov_b32 s11, s12
	s_cselect_b64 s[12:13], -1, 0
	v_addc_co_u32_e32 v7, vcc, 0, v7, vcc
	s_or_b64 s[0:1], s[12:13], s[0:1]
	v_add_co_u32_e32 v8, vcc, 0x4000, v8
	s_and_b64 s[0:1], exec, s[0:1]
	v_add_u32_e32 v1, 0x400, v1
	v_addc_co_u32_e32 v9, vcc, 0, v9, vcc
	s_or_b64 s[4:5], s[0:1], s[4:5]
	s_waitcnt vmcnt(0)
	v_mul_f64 v[18:19], v[12:13], v[16:17]
	v_mul_f64 v[16:17], v[10:11], v[16:17]
	v_fma_f64 v[10:11], v[10:11], v[14:15], -v[18:19]
	v_fmac_f64_e32 v[16:17], v[12:13], v[14:15]
	v_add_f64 v[4:5], v[4:5], v[10:11]
	v_add_f64 v[2:3], v[2:3], v[16:17]
	s_andn2_b64 exec, exec, s[4:5]
	s_cbranch_execnz .LBB227_2
; %bb.3:
	s_or_b64 exec, exec, s[4:5]
.LBB227_4:
	s_or_b64 exec, exec, s[8:9]
	v_and_b32_e32 v13, 63, v0
	v_cmp_gt_u32_e32 vcc, 64, v0
	v_lshlrev_b32_e32 v1, 4, v13
	s_and_saveexec_b64 s[0:1], vcc
	s_cbranch_execz .LBB227_6
; %bb.5:
	v_mov_b32_e32 v6, 0
	v_mov_b32_e32 v7, v6
	;; [unrolled: 1-line block ×4, first 2 shown]
	ds_write_b128 v1, v[6:9]
.LBB227_6:
	s_or_b64 exec, exec, s[0:1]
	v_mbcnt_lo_u32_b32 v6, -1, 0
	v_mbcnt_hi_u32_b32 v14, -1, v6
	v_and_b32_e32 v15, 63, v14
	v_cmp_gt_u32_e64 s[0:1], 32, v15
	v_cndmask_b32_e64 v6, 0, 1, s[0:1]
	v_lshlrev_b32_e32 v6, 5, v6
	v_add_lshl_u32 v9, v6, v14, 2
	ds_bpermute_b32 v6, v9, v4
	ds_bpermute_b32 v7, v9, v5
	;; [unrolled: 1-line block ×4, first 2 shown]
	v_cmp_gt_u32_e64 s[0:1], 48, v15
	s_waitcnt lgkmcnt(0)
	v_add_f64 v[4:5], v[4:5], v[6:7]
	v_cndmask_b32_e64 v6, 0, 1, s[0:1]
	v_lshlrev_b32_e32 v6, 4, v6
	v_add_f64 v[2:3], v[2:3], v[8:9]
	v_add_lshl_u32 v9, v6, v14, 2
	ds_bpermute_b32 v6, v9, v4
	ds_bpermute_b32 v7, v9, v5
	;; [unrolled: 1-line block ×4, first 2 shown]
	v_cmp_gt_u32_e64 s[0:1], 56, v15
	s_barrier
	s_waitcnt lgkmcnt(2)
	v_add_f64 v[4:5], v[4:5], v[6:7]
	v_cndmask_b32_e64 v6, 0, 1, s[0:1]
	v_lshlrev_b32_e32 v6, 3, v6
	v_add_lshl_u32 v10, v6, v14, 2
	ds_bpermute_b32 v6, v10, v4
	ds_bpermute_b32 v7, v10, v5
	s_waitcnt lgkmcnt(2)
	v_add_f64 v[2:3], v[2:3], v[8:9]
	ds_bpermute_b32 v8, v10, v2
	ds_bpermute_b32 v9, v10, v3
	v_cmp_gt_u32_e64 s[0:1], 60, v15
	s_waitcnt lgkmcnt(2)
	v_add_f64 v[4:5], v[4:5], v[6:7]
	v_cndmask_b32_e64 v6, 0, 1, s[0:1]
	v_lshlrev_b32_e32 v6, 2, v6
	s_waitcnt lgkmcnt(0)
	v_add_f64 v[2:3], v[2:3], v[8:9]
	v_add_lshl_u32 v11, v6, v14, 2
	ds_bpermute_b32 v6, v11, v4
	ds_bpermute_b32 v7, v11, v5
	ds_bpermute_b32 v8, v11, v2
	ds_bpermute_b32 v9, v11, v3
	v_cmp_gt_u32_e64 s[0:1], 62, v15
	s_waitcnt lgkmcnt(0)
	v_add_f64 v[4:5], v[4:5], v[6:7]
	v_add_f64 v[6:7], v[2:3], v[8:9]
	v_cndmask_b32_e64 v2, 0, 1, s[0:1]
	v_lshlrev_b32_e32 v2, 1, v2
	v_add_lshl_u32 v12, v2, v14, 2
	ds_bpermute_b32 v2, v12, v4
	ds_bpermute_b32 v3, v12, v5
	;; [unrolled: 1-line block ×4, first 2 shown]
	v_cmp_ne_u32_e64 s[0:1], 63, v15
	s_waitcnt lgkmcnt(2)
	v_add_f64 v[2:3], v[4:5], v[2:3]
	v_addc_co_u32_e64 v4, s[0:1], 0, v14, s[0:1]
	s_waitcnt lgkmcnt(0)
	v_add_f64 v[6:7], v[6:7], v[8:9]
	v_lshlrev_b32_e32 v14, 2, v4
	ds_bpermute_b32 v4, v14, v2
	ds_bpermute_b32 v5, v14, v3
	;; [unrolled: 1-line block ×4, first 2 shown]
	v_cmp_eq_u32_e64 s[0:1], 0, v13
	s_and_saveexec_b64 s[4:5], s[0:1]
	s_cbranch_execz .LBB227_8
; %bb.7:
	v_lshrrev_b32_e32 v13, 2, v0
	v_and_b32_e32 v13, 0xf0, v13
	s_waitcnt lgkmcnt(0)
	v_add_f64 v[6:7], v[6:7], v[8:9]
	v_add_f64 v[4:5], v[2:3], v[4:5]
	ds_write_b128 v13, v[4:7]
.LBB227_8:
	s_or_b64 exec, exec, s[4:5]
	s_waitcnt lgkmcnt(2)
	v_pk_mov_b32 v[4:5], 0, 0
	v_cmp_gt_u32_e64 s[0:1], 16, v0
	v_pk_mov_b32 v[2:3], v[4:5], v[4:5] op_sel:[0,1]
	s_waitcnt lgkmcnt(0)
	s_barrier
	s_and_saveexec_b64 s[4:5], s[0:1]
	s_cbranch_execnz .LBB227_12
; %bb.9:
	s_or_b64 exec, exec, s[4:5]
	s_and_saveexec_b64 s[0:1], vcc
	s_cbranch_execnz .LBB227_13
.LBB227_10:
	s_or_b64 exec, exec, s[0:1]
	v_cmp_eq_u32_e32 vcc, 0, v0
	s_and_saveexec_b64 s[0:1], vcc
	s_cbranch_execnz .LBB227_14
.LBB227_11:
	s_endpgm
.LBB227_12:
	ds_read_b128 v[2:5], v1
	s_or_b64 exec, exec, s[4:5]
	s_and_saveexec_b64 s[0:1], vcc
	s_cbranch_execz .LBB227_10
.LBB227_13:
	s_waitcnt lgkmcnt(0)
	ds_bpermute_b32 v6, v10, v2
	ds_bpermute_b32 v7, v10, v3
	;; [unrolled: 1-line block ×4, first 2 shown]
	s_waitcnt lgkmcnt(2)
	v_add_f64 v[2:3], v[2:3], v[6:7]
	ds_bpermute_b32 v6, v11, v2
	s_waitcnt lgkmcnt(1)
	v_add_f64 v[4:5], v[4:5], v[8:9]
	ds_bpermute_b32 v7, v11, v3
	ds_bpermute_b32 v8, v11, v4
	ds_bpermute_b32 v9, v11, v5
	s_waitcnt lgkmcnt(2)
	v_add_f64 v[2:3], v[2:3], v[6:7]
	ds_bpermute_b32 v6, v12, v2
	s_waitcnt lgkmcnt(1)
	v_add_f64 v[4:5], v[4:5], v[8:9]
	ds_bpermute_b32 v7, v12, v3
	ds_bpermute_b32 v8, v12, v4
	ds_bpermute_b32 v9, v12, v5
	;; [unrolled: 8-line block ×3, first 2 shown]
	s_waitcnt lgkmcnt(2)
	v_add_f64 v[2:3], v[2:3], v[6:7]
	s_waitcnt lgkmcnt(0)
	v_add_f64 v[4:5], v[4:5], v[8:9]
	s_or_b64 exec, exec, s[0:1]
	v_cmp_eq_u32_e32 vcc, 0, v0
	s_and_saveexec_b64 s[0:1], vcc
	s_cbranch_execz .LBB227_11
.LBB227_14:
	s_lshl_b64 s[0:1], s[2:3], 4
	s_add_u32 s0, s6, s0
	s_addc_u32 s1, s7, s1
	v_mov_b32_e32 v0, 0
	s_waitcnt lgkmcnt(0)
	global_store_dwordx4 v0, v[2:5], s[0:1]
	s_endpgm
	.section	.rodata,"a",@progbits
	.p2align	6, 0x0
	.amdhsa_kernel _ZL26rocblas_dot_kernel_inc1by2ILb1ELi1024ELi32ELb0E19rocblas_complex_numIdEPKPKS1_S1_EviT4_llS6_lliPT5_PT3_
		.amdhsa_group_segment_fixed_size 1024
		.amdhsa_private_segment_fixed_size 0
		.amdhsa_kernarg_size 80
		.amdhsa_user_sgpr_count 6
		.amdhsa_user_sgpr_private_segment_buffer 1
		.amdhsa_user_sgpr_dispatch_ptr 0
		.amdhsa_user_sgpr_queue_ptr 0
		.amdhsa_user_sgpr_kernarg_segment_ptr 1
		.amdhsa_user_sgpr_dispatch_id 0
		.amdhsa_user_sgpr_flat_scratch_init 0
		.amdhsa_user_sgpr_kernarg_preload_length 0
		.amdhsa_user_sgpr_kernarg_preload_offset 0
		.amdhsa_user_sgpr_private_segment_size 0
		.amdhsa_uses_dynamic_stack 0
		.amdhsa_system_sgpr_private_segment_wavefront_offset 0
		.amdhsa_system_sgpr_workgroup_id_x 1
		.amdhsa_system_sgpr_workgroup_id_y 0
		.amdhsa_system_sgpr_workgroup_id_z 1
		.amdhsa_system_sgpr_workgroup_info 0
		.amdhsa_system_vgpr_workitem_id 0
		.amdhsa_next_free_vgpr 20
		.amdhsa_next_free_sgpr 20
		.amdhsa_accum_offset 20
		.amdhsa_reserve_vcc 1
		.amdhsa_reserve_flat_scratch 0
		.amdhsa_float_round_mode_32 0
		.amdhsa_float_round_mode_16_64 0
		.amdhsa_float_denorm_mode_32 3
		.amdhsa_float_denorm_mode_16_64 3
		.amdhsa_dx10_clamp 1
		.amdhsa_ieee_mode 1
		.amdhsa_fp16_overflow 0
		.amdhsa_tg_split 0
		.amdhsa_exception_fp_ieee_invalid_op 0
		.amdhsa_exception_fp_denorm_src 0
		.amdhsa_exception_fp_ieee_div_zero 0
		.amdhsa_exception_fp_ieee_overflow 0
		.amdhsa_exception_fp_ieee_underflow 0
		.amdhsa_exception_fp_ieee_inexact 0
		.amdhsa_exception_int_div_zero 0
	.end_amdhsa_kernel
	.section	.text._ZL26rocblas_dot_kernel_inc1by2ILb1ELi1024ELi32ELb0E19rocblas_complex_numIdEPKPKS1_S1_EviT4_llS6_lliPT5_PT3_,"axG",@progbits,_ZL26rocblas_dot_kernel_inc1by2ILb1ELi1024ELi32ELb0E19rocblas_complex_numIdEPKPKS1_S1_EviT4_llS6_lliPT5_PT3_,comdat
.Lfunc_end227:
	.size	_ZL26rocblas_dot_kernel_inc1by2ILb1ELi1024ELi32ELb0E19rocblas_complex_numIdEPKPKS1_S1_EviT4_llS6_lliPT5_PT3_, .Lfunc_end227-_ZL26rocblas_dot_kernel_inc1by2ILb1ELi1024ELi32ELb0E19rocblas_complex_numIdEPKPKS1_S1_EviT4_llS6_lliPT5_PT3_
                                        ; -- End function
	.section	.AMDGPU.csdata,"",@progbits
; Kernel info:
; codeLenInByte = 1332
; NumSgprs: 24
; NumVgprs: 20
; NumAgprs: 0
; TotalNumVgprs: 20
; ScratchSize: 0
; MemoryBound: 0
; FloatMode: 240
; IeeeMode: 1
; LDSByteSize: 1024 bytes/workgroup (compile time only)
; SGPRBlocks: 2
; VGPRBlocks: 2
; NumSGPRsForWavesPerEU: 24
; NumVGPRsForWavesPerEU: 20
; AccumOffset: 20
; Occupancy: 8
; WaveLimiterHint : 0
; COMPUTE_PGM_RSRC2:SCRATCH_EN: 0
; COMPUTE_PGM_RSRC2:USER_SGPR: 6
; COMPUTE_PGM_RSRC2:TRAP_HANDLER: 0
; COMPUTE_PGM_RSRC2:TGID_X_EN: 1
; COMPUTE_PGM_RSRC2:TGID_Y_EN: 0
; COMPUTE_PGM_RSRC2:TGID_Z_EN: 1
; COMPUTE_PGM_RSRC2:TIDIG_COMP_CNT: 0
; COMPUTE_PGM_RSRC3_GFX90A:ACCUM_OFFSET: 4
; COMPUTE_PGM_RSRC3_GFX90A:TG_SPLIT: 0
	.section	.text._ZL18rocblas_dot_kernelIiLb1ELi1024ELi32ELb0E19rocblas_complex_numIdEPKPKS1_S1_EviT5_lT_lS6_lS7_liPT6_PT4_,"axG",@progbits,_ZL18rocblas_dot_kernelIiLb1ELi1024ELi32ELb0E19rocblas_complex_numIdEPKPKS1_S1_EviT5_lT_lS6_lS7_liPT6_PT4_,comdat
	.globl	_ZL18rocblas_dot_kernelIiLb1ELi1024ELi32ELb0E19rocblas_complex_numIdEPKPKS1_S1_EviT5_lT_lS6_lS7_liPT6_PT4_ ; -- Begin function _ZL18rocblas_dot_kernelIiLb1ELi1024ELi32ELb0E19rocblas_complex_numIdEPKPKS1_S1_EviT5_lT_lS6_lS7_liPT6_PT4_
	.p2align	8
	.type	_ZL18rocblas_dot_kernelIiLb1ELi1024ELi32ELb0E19rocblas_complex_numIdEPKPKS1_S1_EviT5_lT_lS6_lS7_liPT6_PT4_,@function
_ZL18rocblas_dot_kernelIiLb1ELi1024ELi32ELb0E19rocblas_complex_numIdEPKPKS1_S1_EviT5_lT_lS6_lS7_liPT6_PT4_: ; @_ZL18rocblas_dot_kernelIiLb1ELi1024ELi32ELb0E19rocblas_complex_numIdEPKPKS1_S1_EviT5_lT_lS6_lS7_liPT6_PT4_
; %bb.0:
	s_mov_b32 s2, s7
	s_load_dword s14, s[4:5], 0x0
	s_load_dwordx2 s[6:7], s[4:5], 0x58
	v_pk_mov_b32 v[2:3], 0, 0
	s_mov_b32 s3, 0
	v_pk_mov_b32 v[4:5], v[2:3], v[2:3] op_sel:[0,1]
	s_waitcnt lgkmcnt(0)
	v_cmp_gt_i32_e32 vcc, s14, v0
	s_and_saveexec_b64 s[8:9], vcc
	s_cbranch_execz .LBB228_4
; %bb.1:
	s_load_dwordx4 s[16:19], s[4:5], 0x8
	s_load_dword s24, s[4:5], 0x18
	s_lshl_b64 s[0:1], s[2:3], 3
	s_load_dwordx4 s[20:23], s[4:5], 0x28
	s_waitcnt lgkmcnt(0)
	s_add_u32 s10, s16, s0
	s_addc_u32 s11, s17, s1
	s_load_dword s16, s[4:5], 0x38
	s_load_dword s15, s[4:5], 0x60
	s_load_dwordx2 s[12:13], s[10:11], 0x0
	s_add_u32 s0, s20, s0
	v_mad_i64_i32 v[2:3], s[4:5], s24, v0, 0
	s_addc_u32 s1, s21, s1
	s_waitcnt lgkmcnt(0)
	s_lshl_b32 s15, s15, 10
	s_lshl_b64 s[4:5], s[18:19], 4
	s_add_u32 s4, s12, s4
	v_lshlrev_b64 v[2:3], 4, v[2:3]
	s_addc_u32 s5, s13, s5
	s_load_dwordx2 s[0:1], s[0:1], 0x0
	v_mov_b32_e32 v4, s5
	v_add_co_u32_e32 v2, vcc, s4, v2
	v_addc_co_u32_e32 v3, vcc, v4, v3, vcc
	v_add_co_u32_e32 v6, vcc, 8, v2
	v_addc_co_u32_e32 v7, vcc, 0, v3, vcc
	s_mul_hi_i32 s5, s24, s15
	s_mul_i32 s4, s24, s15
	v_mad_i64_i32 v[2:3], s[10:11], s16, v0, 0
	s_lshl_b64 s[4:5], s[4:5], 4
	s_lshl_b64 s[10:11], s[22:23], 4
	s_waitcnt lgkmcnt(0)
	s_add_u32 s0, s0, s10
	v_lshlrev_b64 v[2:3], 4, v[2:3]
	s_addc_u32 s1, s1, s11
	v_mov_b32_e32 v4, s1
	v_add_co_u32_e32 v2, vcc, s0, v2
	v_addc_co_u32_e32 v3, vcc, v4, v3, vcc
	v_add_co_u32_e32 v8, vcc, 8, v2
	s_mul_hi_i32 s1, s16, s15
	s_mul_i32 s0, s16, s15
	v_addc_co_u32_e32 v9, vcc, 0, v3, vcc
	s_lshl_b64 s[12:13], s[0:1], 4
	v_pk_mov_b32 v[2:3], 0, 0
	v_or_b32_e32 v1, s15, v0
	s_mov_b64 s[10:11], 0
	v_mov_b32_e32 v10, s5
	v_mov_b32_e32 v11, s13
	s_mov_b32 s5, s3
	v_pk_mov_b32 v[4:5], v[2:3], v[2:3] op_sel:[0,1]
.LBB228_2:                              ; =>This Inner Loop Header: Depth=1
	global_load_dwordx4 v[12:15], v[8:9], off offset:-8
	global_load_dwordx4 v[16:19], v[6:7], off offset:-8
	v_add_co_u32_e64 v6, s[0:1], s4, v6
	v_addc_co_u32_e64 v7, s[0:1], v7, v10, s[0:1]
	s_add_i32 s13, s5, 1
	v_add_co_u32_e64 v8, s[0:1], s12, v8
	v_addc_co_u32_e64 v9, s[0:1], v9, v11, s[0:1]
	s_cmp_gt_u32 s5, 30
	v_cmp_le_i32_e32 vcc, s14, v1
	s_cselect_b64 s[0:1], -1, 0
	s_or_b64 s[0:1], s[0:1], vcc
	s_and_b64 s[0:1], exec, s[0:1]
	v_add_u32_e32 v1, s15, v1
	s_mov_b32 s5, s13
	s_or_b64 s[10:11], s[0:1], s[10:11]
	s_waitcnt vmcnt(0)
	v_mul_f64 v[20:21], v[14:15], v[18:19]
	v_mul_f64 v[18:19], v[12:13], v[18:19]
	v_fma_f64 v[12:13], v[12:13], v[16:17], -v[20:21]
	v_fmac_f64_e32 v[18:19], v[14:15], v[16:17]
	v_add_f64 v[4:5], v[4:5], v[12:13]
	v_add_f64 v[2:3], v[2:3], v[18:19]
	s_andn2_b64 exec, exec, s[10:11]
	s_cbranch_execnz .LBB228_2
; %bb.3:
	s_or_b64 exec, exec, s[10:11]
.LBB228_4:
	s_or_b64 exec, exec, s[8:9]
	v_and_b32_e32 v13, 63, v0
	v_cmp_gt_u32_e32 vcc, 64, v0
	v_lshlrev_b32_e32 v1, 4, v13
	s_and_saveexec_b64 s[0:1], vcc
	s_cbranch_execz .LBB228_6
; %bb.5:
	v_mov_b32_e32 v6, 0
	v_mov_b32_e32 v7, v6
	;; [unrolled: 1-line block ×4, first 2 shown]
	ds_write_b128 v1, v[6:9]
.LBB228_6:
	s_or_b64 exec, exec, s[0:1]
	v_mbcnt_lo_u32_b32 v6, -1, 0
	v_mbcnt_hi_u32_b32 v14, -1, v6
	v_and_b32_e32 v15, 63, v14
	v_cmp_gt_u32_e64 s[0:1], 32, v15
	v_cndmask_b32_e64 v6, 0, 1, s[0:1]
	v_lshlrev_b32_e32 v6, 5, v6
	v_add_lshl_u32 v9, v6, v14, 2
	ds_bpermute_b32 v6, v9, v4
	ds_bpermute_b32 v7, v9, v5
	;; [unrolled: 1-line block ×4, first 2 shown]
	v_cmp_gt_u32_e64 s[0:1], 48, v15
	s_waitcnt lgkmcnt(0)
	v_add_f64 v[4:5], v[4:5], v[6:7]
	v_cndmask_b32_e64 v6, 0, 1, s[0:1]
	v_lshlrev_b32_e32 v6, 4, v6
	v_add_f64 v[2:3], v[2:3], v[8:9]
	v_add_lshl_u32 v9, v6, v14, 2
	ds_bpermute_b32 v6, v9, v4
	ds_bpermute_b32 v7, v9, v5
	ds_bpermute_b32 v8, v9, v2
	ds_bpermute_b32 v9, v9, v3
	v_cmp_gt_u32_e64 s[0:1], 56, v15
	s_barrier
	s_waitcnt lgkmcnt(2)
	v_add_f64 v[4:5], v[4:5], v[6:7]
	v_cndmask_b32_e64 v6, 0, 1, s[0:1]
	v_lshlrev_b32_e32 v6, 3, v6
	v_add_lshl_u32 v10, v6, v14, 2
	ds_bpermute_b32 v6, v10, v4
	ds_bpermute_b32 v7, v10, v5
	s_waitcnt lgkmcnt(2)
	v_add_f64 v[2:3], v[2:3], v[8:9]
	ds_bpermute_b32 v8, v10, v2
	ds_bpermute_b32 v9, v10, v3
	v_cmp_gt_u32_e64 s[0:1], 60, v15
	s_waitcnt lgkmcnt(2)
	v_add_f64 v[4:5], v[4:5], v[6:7]
	v_cndmask_b32_e64 v6, 0, 1, s[0:1]
	v_lshlrev_b32_e32 v6, 2, v6
	s_waitcnt lgkmcnt(0)
	v_add_f64 v[2:3], v[2:3], v[8:9]
	v_add_lshl_u32 v11, v6, v14, 2
	ds_bpermute_b32 v6, v11, v4
	ds_bpermute_b32 v7, v11, v5
	;; [unrolled: 1-line block ×4, first 2 shown]
	v_cmp_gt_u32_e64 s[0:1], 62, v15
	s_waitcnt lgkmcnt(0)
	v_add_f64 v[4:5], v[4:5], v[6:7]
	v_add_f64 v[6:7], v[2:3], v[8:9]
	v_cndmask_b32_e64 v2, 0, 1, s[0:1]
	v_lshlrev_b32_e32 v2, 1, v2
	v_add_lshl_u32 v12, v2, v14, 2
	ds_bpermute_b32 v2, v12, v4
	ds_bpermute_b32 v3, v12, v5
	;; [unrolled: 1-line block ×4, first 2 shown]
	v_cmp_ne_u32_e64 s[0:1], 63, v15
	s_waitcnt lgkmcnt(2)
	v_add_f64 v[2:3], v[4:5], v[2:3]
	v_addc_co_u32_e64 v4, s[0:1], 0, v14, s[0:1]
	s_waitcnt lgkmcnt(0)
	v_add_f64 v[6:7], v[6:7], v[8:9]
	v_lshlrev_b32_e32 v14, 2, v4
	ds_bpermute_b32 v4, v14, v2
	ds_bpermute_b32 v5, v14, v3
	;; [unrolled: 1-line block ×4, first 2 shown]
	v_cmp_eq_u32_e64 s[0:1], 0, v13
	s_and_saveexec_b64 s[4:5], s[0:1]
	s_cbranch_execz .LBB228_8
; %bb.7:
	v_lshrrev_b32_e32 v13, 2, v0
	v_and_b32_e32 v13, 0xf0, v13
	s_waitcnt lgkmcnt(0)
	v_add_f64 v[6:7], v[6:7], v[8:9]
	v_add_f64 v[4:5], v[2:3], v[4:5]
	ds_write_b128 v13, v[4:7]
.LBB228_8:
	s_or_b64 exec, exec, s[4:5]
	s_waitcnt lgkmcnt(2)
	v_pk_mov_b32 v[4:5], 0, 0
	v_cmp_gt_u32_e64 s[0:1], 16, v0
	v_pk_mov_b32 v[2:3], v[4:5], v[4:5] op_sel:[0,1]
	s_waitcnt lgkmcnt(0)
	s_barrier
	s_and_saveexec_b64 s[4:5], s[0:1]
	s_cbranch_execnz .LBB228_12
; %bb.9:
	s_or_b64 exec, exec, s[4:5]
	s_and_saveexec_b64 s[0:1], vcc
	s_cbranch_execnz .LBB228_13
.LBB228_10:
	s_or_b64 exec, exec, s[0:1]
	v_cmp_eq_u32_e32 vcc, 0, v0
	s_and_saveexec_b64 s[0:1], vcc
	s_cbranch_execnz .LBB228_14
.LBB228_11:
	s_endpgm
.LBB228_12:
	ds_read_b128 v[2:5], v1
	s_or_b64 exec, exec, s[4:5]
	s_and_saveexec_b64 s[0:1], vcc
	s_cbranch_execz .LBB228_10
.LBB228_13:
	s_waitcnt lgkmcnt(0)
	ds_bpermute_b32 v6, v10, v2
	ds_bpermute_b32 v7, v10, v3
	;; [unrolled: 1-line block ×4, first 2 shown]
	s_waitcnt lgkmcnt(2)
	v_add_f64 v[2:3], v[2:3], v[6:7]
	ds_bpermute_b32 v6, v11, v2
	s_waitcnt lgkmcnt(1)
	v_add_f64 v[4:5], v[4:5], v[8:9]
	ds_bpermute_b32 v7, v11, v3
	ds_bpermute_b32 v8, v11, v4
	ds_bpermute_b32 v9, v11, v5
	s_waitcnt lgkmcnt(2)
	v_add_f64 v[2:3], v[2:3], v[6:7]
	ds_bpermute_b32 v6, v12, v2
	s_waitcnt lgkmcnt(1)
	v_add_f64 v[4:5], v[4:5], v[8:9]
	ds_bpermute_b32 v7, v12, v3
	ds_bpermute_b32 v8, v12, v4
	ds_bpermute_b32 v9, v12, v5
	;; [unrolled: 8-line block ×3, first 2 shown]
	s_waitcnt lgkmcnt(2)
	v_add_f64 v[2:3], v[2:3], v[6:7]
	s_waitcnt lgkmcnt(0)
	v_add_f64 v[4:5], v[4:5], v[8:9]
	s_or_b64 exec, exec, s[0:1]
	v_cmp_eq_u32_e32 vcc, 0, v0
	s_and_saveexec_b64 s[0:1], vcc
	s_cbranch_execz .LBB228_11
.LBB228_14:
	s_lshl_b64 s[0:1], s[2:3], 4
	s_add_u32 s0, s6, s0
	s_addc_u32 s1, s7, s1
	v_mov_b32_e32 v0, 0
	s_waitcnt lgkmcnt(0)
	global_store_dwordx4 v0, v[2:5], s[0:1]
	s_endpgm
	.section	.rodata,"a",@progbits
	.p2align	6, 0x0
	.amdhsa_kernel _ZL18rocblas_dot_kernelIiLb1ELi1024ELi32ELb0E19rocblas_complex_numIdEPKPKS1_S1_EviT5_lT_lS6_lS7_liPT6_PT4_
		.amdhsa_group_segment_fixed_size 1024
		.amdhsa_private_segment_fixed_size 0
		.amdhsa_kernarg_size 352
		.amdhsa_user_sgpr_count 6
		.amdhsa_user_sgpr_private_segment_buffer 1
		.amdhsa_user_sgpr_dispatch_ptr 0
		.amdhsa_user_sgpr_queue_ptr 0
		.amdhsa_user_sgpr_kernarg_segment_ptr 1
		.amdhsa_user_sgpr_dispatch_id 0
		.amdhsa_user_sgpr_flat_scratch_init 0
		.amdhsa_user_sgpr_kernarg_preload_length 0
		.amdhsa_user_sgpr_kernarg_preload_offset 0
		.amdhsa_user_sgpr_private_segment_size 0
		.amdhsa_uses_dynamic_stack 0
		.amdhsa_system_sgpr_private_segment_wavefront_offset 0
		.amdhsa_system_sgpr_workgroup_id_x 1
		.amdhsa_system_sgpr_workgroup_id_y 0
		.amdhsa_system_sgpr_workgroup_id_z 1
		.amdhsa_system_sgpr_workgroup_info 0
		.amdhsa_system_vgpr_workitem_id 0
		.amdhsa_next_free_vgpr 22
		.amdhsa_next_free_sgpr 25
		.amdhsa_accum_offset 24
		.amdhsa_reserve_vcc 1
		.amdhsa_reserve_flat_scratch 0
		.amdhsa_float_round_mode_32 0
		.amdhsa_float_round_mode_16_64 0
		.amdhsa_float_denorm_mode_32 3
		.amdhsa_float_denorm_mode_16_64 3
		.amdhsa_dx10_clamp 1
		.amdhsa_ieee_mode 1
		.amdhsa_fp16_overflow 0
		.amdhsa_tg_split 0
		.amdhsa_exception_fp_ieee_invalid_op 0
		.amdhsa_exception_fp_denorm_src 0
		.amdhsa_exception_fp_ieee_div_zero 0
		.amdhsa_exception_fp_ieee_overflow 0
		.amdhsa_exception_fp_ieee_underflow 0
		.amdhsa_exception_fp_ieee_inexact 0
		.amdhsa_exception_int_div_zero 0
	.end_amdhsa_kernel
	.section	.text._ZL18rocblas_dot_kernelIiLb1ELi1024ELi32ELb0E19rocblas_complex_numIdEPKPKS1_S1_EviT5_lT_lS6_lS7_liPT6_PT4_,"axG",@progbits,_ZL18rocblas_dot_kernelIiLb1ELi1024ELi32ELb0E19rocblas_complex_numIdEPKPKS1_S1_EviT5_lT_lS6_lS7_liPT6_PT4_,comdat
.Lfunc_end228:
	.size	_ZL18rocblas_dot_kernelIiLb1ELi1024ELi32ELb0E19rocblas_complex_numIdEPKPKS1_S1_EviT5_lT_lS6_lS7_liPT6_PT4_, .Lfunc_end228-_ZL18rocblas_dot_kernelIiLb1ELi1024ELi32ELb0E19rocblas_complex_numIdEPKPKS1_S1_EviT5_lT_lS6_lS7_liPT6_PT4_
                                        ; -- End function
	.section	.AMDGPU.csdata,"",@progbits
; Kernel info:
; codeLenInByte = 1420
; NumSgprs: 29
; NumVgprs: 22
; NumAgprs: 0
; TotalNumVgprs: 22
; ScratchSize: 0
; MemoryBound: 0
; FloatMode: 240
; IeeeMode: 1
; LDSByteSize: 1024 bytes/workgroup (compile time only)
; SGPRBlocks: 3
; VGPRBlocks: 2
; NumSGPRsForWavesPerEU: 29
; NumVGPRsForWavesPerEU: 22
; AccumOffset: 24
; Occupancy: 8
; WaveLimiterHint : 0
; COMPUTE_PGM_RSRC2:SCRATCH_EN: 0
; COMPUTE_PGM_RSRC2:USER_SGPR: 6
; COMPUTE_PGM_RSRC2:TRAP_HANDLER: 0
; COMPUTE_PGM_RSRC2:TGID_X_EN: 1
; COMPUTE_PGM_RSRC2:TGID_Y_EN: 0
; COMPUTE_PGM_RSRC2:TGID_Z_EN: 1
; COMPUTE_PGM_RSRC2:TIDIG_COMP_CNT: 0
; COMPUTE_PGM_RSRC3_GFX90A:ACCUM_OFFSET: 5
; COMPUTE_PGM_RSRC3_GFX90A:TG_SPLIT: 0
	.section	.text._ZL24rocblas_dot_kernel_magsqIiLb1ELi1024ELi32ELb0E19rocblas_complex_numIdEPKPKS1_S1_EviT5_lT_liPT6_PT4_,"axG",@progbits,_ZL24rocblas_dot_kernel_magsqIiLb1ELi1024ELi32ELb0E19rocblas_complex_numIdEPKPKS1_S1_EviT5_lT_liPT6_PT4_,comdat
	.globl	_ZL24rocblas_dot_kernel_magsqIiLb1ELi1024ELi32ELb0E19rocblas_complex_numIdEPKPKS1_S1_EviT5_lT_liPT6_PT4_ ; -- Begin function _ZL24rocblas_dot_kernel_magsqIiLb1ELi1024ELi32ELb0E19rocblas_complex_numIdEPKPKS1_S1_EviT5_lT_liPT6_PT4_
	.p2align	8
	.type	_ZL24rocblas_dot_kernel_magsqIiLb1ELi1024ELi32ELb0E19rocblas_complex_numIdEPKPKS1_S1_EviT5_lT_liPT6_PT4_,@function
_ZL24rocblas_dot_kernel_magsqIiLb1ELi1024ELi32ELb0E19rocblas_complex_numIdEPKPKS1_S1_EviT5_lT_liPT6_PT4_: ; @_ZL24rocblas_dot_kernel_magsqIiLb1ELi1024ELi32ELb0E19rocblas_complex_numIdEPKPKS1_S1_EviT5_lT_liPT6_PT4_
; %bb.0:
	s_mov_b32 s2, s7
	s_load_dword s12, s[4:5], 0x0
	s_load_dwordx2 s[6:7], s[4:5], 0x38
	v_pk_mov_b32 v[2:3], 0, 0
	s_mov_b32 s3, 0
	v_pk_mov_b32 v[4:5], v[2:3], v[2:3] op_sel:[0,1]
	s_waitcnt lgkmcnt(0)
	v_cmp_gt_i32_e32 vcc, s12, v0
	s_and_saveexec_b64 s[8:9], vcc
	s_cbranch_execz .LBB229_4
; %bb.1:
	s_load_dwordx4 s[16:19], s[4:5], 0x8
	s_load_dword s10, s[4:5], 0x40
	s_load_dword s11, s[4:5], 0x18
	s_lshl_b64 s[0:1], s[2:3], 3
	s_waitcnt lgkmcnt(0)
	s_add_u32 s0, s16, s0
	s_addc_u32 s1, s17, s1
	s_load_dwordx2 s[0:1], s[0:1], 0x0
	v_mad_i64_i32 v[2:3], s[4:5], s11, v0, 0
	s_lshl_b32 s13, s10, 10
	s_lshl_b64 s[4:5], s[18:19], 4
	s_waitcnt lgkmcnt(0)
	s_add_u32 s0, s0, s4
	v_lshlrev_b64 v[2:3], 4, v[2:3]
	s_addc_u32 s1, s1, s5
	v_mov_b32_e32 v4, s1
	v_add_co_u32_e32 v6, vcc, s0, v2
	s_mul_hi_i32 s1, s11, s13
	s_mul_i32 s0, s11, s13
	v_addc_co_u32_e32 v7, vcc, v4, v3, vcc
	s_lshl_b64 s[10:11], s[0:1], 4
	v_pk_mov_b32 v[2:3], 0, 0
	v_or_b32_e32 v1, s13, v0
	s_mov_b64 s[4:5], 0
	v_mov_b32_e32 v8, s11
	s_mov_b32 s11, s3
	v_pk_mov_b32 v[4:5], v[2:3], v[2:3] op_sel:[0,1]
.LBB229_2:                              ; =>This Inner Loop Header: Depth=1
	global_load_dwordx4 v[10:13], v[6:7], off
	s_add_i32 s14, s11, 1
	v_add_co_u32_e64 v6, s[0:1], s10, v6
	v_addc_co_u32_e64 v7, s[0:1], v7, v8, s[0:1]
	s_cmp_gt_u32 s11, 30
	v_cmp_le_i32_e32 vcc, s12, v1
	s_cselect_b64 s[0:1], -1, 0
	s_or_b64 s[0:1], s[0:1], vcc
	s_and_b64 s[0:1], exec, s[0:1]
	v_add_u32_e32 v1, s13, v1
	s_mov_b32 s11, s14
	s_or_b64 s[4:5], s[0:1], s[4:5]
	s_waitcnt vmcnt(0)
	v_mul_f64 v[14:15], v[12:13], v[12:13]
	v_mul_f64 v[12:13], v[10:11], v[12:13]
	v_fma_f64 v[10:11], v[10:11], v[10:11], -v[14:15]
	v_fmac_f64_e32 v[2:3], 2.0, v[12:13]
	v_add_f64 v[4:5], v[4:5], v[10:11]
	s_andn2_b64 exec, exec, s[4:5]
	s_cbranch_execnz .LBB229_2
; %bb.3:
	s_or_b64 exec, exec, s[4:5]
.LBB229_4:
	s_or_b64 exec, exec, s[8:9]
	v_and_b32_e32 v13, 63, v0
	v_cmp_gt_u32_e32 vcc, 64, v0
	v_lshlrev_b32_e32 v1, 4, v13
	s_and_saveexec_b64 s[0:1], vcc
	s_cbranch_execz .LBB229_6
; %bb.5:
	v_mov_b32_e32 v6, 0
	v_mov_b32_e32 v7, v6
	;; [unrolled: 1-line block ×4, first 2 shown]
	ds_write_b128 v1, v[6:9]
.LBB229_6:
	s_or_b64 exec, exec, s[0:1]
	v_mbcnt_lo_u32_b32 v6, -1, 0
	v_mbcnt_hi_u32_b32 v14, -1, v6
	v_and_b32_e32 v15, 63, v14
	v_cmp_gt_u32_e64 s[0:1], 32, v15
	v_cndmask_b32_e64 v6, 0, 1, s[0:1]
	v_lshlrev_b32_e32 v6, 5, v6
	v_add_lshl_u32 v9, v6, v14, 2
	ds_bpermute_b32 v6, v9, v4
	ds_bpermute_b32 v7, v9, v5
	;; [unrolled: 1-line block ×4, first 2 shown]
	v_cmp_gt_u32_e64 s[0:1], 48, v15
	s_waitcnt lgkmcnt(0)
	v_add_f64 v[4:5], v[4:5], v[6:7]
	v_cndmask_b32_e64 v6, 0, 1, s[0:1]
	v_lshlrev_b32_e32 v6, 4, v6
	v_add_f64 v[2:3], v[2:3], v[8:9]
	v_add_lshl_u32 v9, v6, v14, 2
	ds_bpermute_b32 v6, v9, v4
	ds_bpermute_b32 v7, v9, v5
	ds_bpermute_b32 v8, v9, v2
	ds_bpermute_b32 v9, v9, v3
	v_cmp_gt_u32_e64 s[0:1], 56, v15
	s_barrier
	s_waitcnt lgkmcnt(2)
	v_add_f64 v[4:5], v[4:5], v[6:7]
	v_cndmask_b32_e64 v6, 0, 1, s[0:1]
	v_lshlrev_b32_e32 v6, 3, v6
	v_add_lshl_u32 v10, v6, v14, 2
	ds_bpermute_b32 v6, v10, v4
	ds_bpermute_b32 v7, v10, v5
	s_waitcnt lgkmcnt(2)
	v_add_f64 v[2:3], v[2:3], v[8:9]
	ds_bpermute_b32 v8, v10, v2
	ds_bpermute_b32 v9, v10, v3
	v_cmp_gt_u32_e64 s[0:1], 60, v15
	s_waitcnt lgkmcnt(2)
	v_add_f64 v[4:5], v[4:5], v[6:7]
	v_cndmask_b32_e64 v6, 0, 1, s[0:1]
	v_lshlrev_b32_e32 v6, 2, v6
	s_waitcnt lgkmcnt(0)
	v_add_f64 v[2:3], v[2:3], v[8:9]
	v_add_lshl_u32 v11, v6, v14, 2
	ds_bpermute_b32 v6, v11, v4
	ds_bpermute_b32 v7, v11, v5
	;; [unrolled: 1-line block ×4, first 2 shown]
	v_cmp_gt_u32_e64 s[0:1], 62, v15
	s_waitcnt lgkmcnt(0)
	v_add_f64 v[4:5], v[4:5], v[6:7]
	v_add_f64 v[6:7], v[2:3], v[8:9]
	v_cndmask_b32_e64 v2, 0, 1, s[0:1]
	v_lshlrev_b32_e32 v2, 1, v2
	v_add_lshl_u32 v12, v2, v14, 2
	ds_bpermute_b32 v2, v12, v4
	ds_bpermute_b32 v3, v12, v5
	;; [unrolled: 1-line block ×4, first 2 shown]
	v_cmp_ne_u32_e64 s[0:1], 63, v15
	s_waitcnt lgkmcnt(2)
	v_add_f64 v[2:3], v[4:5], v[2:3]
	v_addc_co_u32_e64 v4, s[0:1], 0, v14, s[0:1]
	s_waitcnt lgkmcnt(0)
	v_add_f64 v[6:7], v[6:7], v[8:9]
	v_lshlrev_b32_e32 v14, 2, v4
	ds_bpermute_b32 v4, v14, v2
	ds_bpermute_b32 v5, v14, v3
	;; [unrolled: 1-line block ×4, first 2 shown]
	v_cmp_eq_u32_e64 s[0:1], 0, v13
	s_and_saveexec_b64 s[4:5], s[0:1]
	s_cbranch_execz .LBB229_8
; %bb.7:
	v_lshrrev_b32_e32 v13, 2, v0
	v_and_b32_e32 v13, 0xf0, v13
	s_waitcnt lgkmcnt(0)
	v_add_f64 v[6:7], v[6:7], v[8:9]
	v_add_f64 v[4:5], v[2:3], v[4:5]
	ds_write_b128 v13, v[4:7]
.LBB229_8:
	s_or_b64 exec, exec, s[4:5]
	s_waitcnt lgkmcnt(2)
	v_pk_mov_b32 v[4:5], 0, 0
	v_cmp_gt_u32_e64 s[0:1], 16, v0
	v_pk_mov_b32 v[2:3], v[4:5], v[4:5] op_sel:[0,1]
	s_waitcnt lgkmcnt(0)
	s_barrier
	s_and_saveexec_b64 s[4:5], s[0:1]
	s_cbranch_execnz .LBB229_12
; %bb.9:
	s_or_b64 exec, exec, s[4:5]
	s_and_saveexec_b64 s[0:1], vcc
	s_cbranch_execnz .LBB229_13
.LBB229_10:
	s_or_b64 exec, exec, s[0:1]
	v_cmp_eq_u32_e32 vcc, 0, v0
	s_and_saveexec_b64 s[0:1], vcc
	s_cbranch_execnz .LBB229_14
.LBB229_11:
	s_endpgm
.LBB229_12:
	ds_read_b128 v[2:5], v1
	s_or_b64 exec, exec, s[4:5]
	s_and_saveexec_b64 s[0:1], vcc
	s_cbranch_execz .LBB229_10
.LBB229_13:
	s_waitcnt lgkmcnt(0)
	ds_bpermute_b32 v6, v10, v2
	ds_bpermute_b32 v7, v10, v3
	;; [unrolled: 1-line block ×4, first 2 shown]
	s_waitcnt lgkmcnt(2)
	v_add_f64 v[2:3], v[2:3], v[6:7]
	ds_bpermute_b32 v6, v11, v2
	s_waitcnt lgkmcnt(1)
	v_add_f64 v[4:5], v[4:5], v[8:9]
	ds_bpermute_b32 v7, v11, v3
	ds_bpermute_b32 v8, v11, v4
	ds_bpermute_b32 v9, v11, v5
	s_waitcnt lgkmcnt(2)
	v_add_f64 v[2:3], v[2:3], v[6:7]
	ds_bpermute_b32 v6, v12, v2
	s_waitcnt lgkmcnt(1)
	v_add_f64 v[4:5], v[4:5], v[8:9]
	ds_bpermute_b32 v7, v12, v3
	ds_bpermute_b32 v8, v12, v4
	ds_bpermute_b32 v9, v12, v5
	;; [unrolled: 8-line block ×3, first 2 shown]
	s_waitcnt lgkmcnt(2)
	v_add_f64 v[2:3], v[2:3], v[6:7]
	s_waitcnt lgkmcnt(0)
	v_add_f64 v[4:5], v[4:5], v[8:9]
	s_or_b64 exec, exec, s[0:1]
	v_cmp_eq_u32_e32 vcc, 0, v0
	s_and_saveexec_b64 s[0:1], vcc
	s_cbranch_execz .LBB229_11
.LBB229_14:
	s_lshl_b64 s[0:1], s[2:3], 4
	s_add_u32 s0, s6, s0
	s_addc_u32 s1, s7, s1
	v_mov_b32_e32 v0, 0
	s_waitcnt lgkmcnt(0)
	global_store_dwordx4 v0, v[2:5], s[0:1]
	s_endpgm
	.section	.rodata,"a",@progbits
	.p2align	6, 0x0
	.amdhsa_kernel _ZL24rocblas_dot_kernel_magsqIiLb1ELi1024ELi32ELb0E19rocblas_complex_numIdEPKPKS1_S1_EviT5_lT_liPT6_PT4_
		.amdhsa_group_segment_fixed_size 1024
		.amdhsa_private_segment_fixed_size 0
		.amdhsa_kernarg_size 320
		.amdhsa_user_sgpr_count 6
		.amdhsa_user_sgpr_private_segment_buffer 1
		.amdhsa_user_sgpr_dispatch_ptr 0
		.amdhsa_user_sgpr_queue_ptr 0
		.amdhsa_user_sgpr_kernarg_segment_ptr 1
		.amdhsa_user_sgpr_dispatch_id 0
		.amdhsa_user_sgpr_flat_scratch_init 0
		.amdhsa_user_sgpr_kernarg_preload_length 0
		.amdhsa_user_sgpr_kernarg_preload_offset 0
		.amdhsa_user_sgpr_private_segment_size 0
		.amdhsa_uses_dynamic_stack 0
		.amdhsa_system_sgpr_private_segment_wavefront_offset 0
		.amdhsa_system_sgpr_workgroup_id_x 1
		.amdhsa_system_sgpr_workgroup_id_y 0
		.amdhsa_system_sgpr_workgroup_id_z 1
		.amdhsa_system_sgpr_workgroup_info 0
		.amdhsa_system_vgpr_workitem_id 0
		.amdhsa_next_free_vgpr 16
		.amdhsa_next_free_sgpr 20
		.amdhsa_accum_offset 16
		.amdhsa_reserve_vcc 1
		.amdhsa_reserve_flat_scratch 0
		.amdhsa_float_round_mode_32 0
		.amdhsa_float_round_mode_16_64 0
		.amdhsa_float_denorm_mode_32 3
		.amdhsa_float_denorm_mode_16_64 3
		.amdhsa_dx10_clamp 1
		.amdhsa_ieee_mode 1
		.amdhsa_fp16_overflow 0
		.amdhsa_tg_split 0
		.amdhsa_exception_fp_ieee_invalid_op 0
		.amdhsa_exception_fp_denorm_src 0
		.amdhsa_exception_fp_ieee_div_zero 0
		.amdhsa_exception_fp_ieee_overflow 0
		.amdhsa_exception_fp_ieee_underflow 0
		.amdhsa_exception_fp_ieee_inexact 0
		.amdhsa_exception_int_div_zero 0
	.end_amdhsa_kernel
	.section	.text._ZL24rocblas_dot_kernel_magsqIiLb1ELi1024ELi32ELb0E19rocblas_complex_numIdEPKPKS1_S1_EviT5_lT_liPT6_PT4_,"axG",@progbits,_ZL24rocblas_dot_kernel_magsqIiLb1ELi1024ELi32ELb0E19rocblas_complex_numIdEPKPKS1_S1_EviT5_lT_liPT6_PT4_,comdat
.Lfunc_end229:
	.size	_ZL24rocblas_dot_kernel_magsqIiLb1ELi1024ELi32ELb0E19rocblas_complex_numIdEPKPKS1_S1_EviT5_lT_liPT6_PT4_, .Lfunc_end229-_ZL24rocblas_dot_kernel_magsqIiLb1ELi1024ELi32ELb0E19rocblas_complex_numIdEPKPKS1_S1_EviT5_lT_liPT6_PT4_
                                        ; -- End function
	.section	.AMDGPU.csdata,"",@progbits
; Kernel info:
; codeLenInByte = 1280
; NumSgprs: 24
; NumVgprs: 16
; NumAgprs: 0
; TotalNumVgprs: 16
; ScratchSize: 0
; MemoryBound: 0
; FloatMode: 240
; IeeeMode: 1
; LDSByteSize: 1024 bytes/workgroup (compile time only)
; SGPRBlocks: 2
; VGPRBlocks: 1
; NumSGPRsForWavesPerEU: 24
; NumVGPRsForWavesPerEU: 16
; AccumOffset: 16
; Occupancy: 8
; WaveLimiterHint : 0
; COMPUTE_PGM_RSRC2:SCRATCH_EN: 0
; COMPUTE_PGM_RSRC2:USER_SGPR: 6
; COMPUTE_PGM_RSRC2:TRAP_HANDLER: 0
; COMPUTE_PGM_RSRC2:TGID_X_EN: 1
; COMPUTE_PGM_RSRC2:TGID_Y_EN: 0
; COMPUTE_PGM_RSRC2:TGID_Z_EN: 1
; COMPUTE_PGM_RSRC2:TIDIG_COMP_CNT: 0
; COMPUTE_PGM_RSRC3_GFX90A:ACCUM_OFFSET: 3
; COMPUTE_PGM_RSRC3_GFX90A:TG_SPLIT: 0
	.section	.text._ZL38rocblas_dot_kernel_gfx942_float_doubleIiLi1024E19rocblas_complex_numIdEPKPKS1_S1_EviT2_lT_lS6_lS7_lPT3_PT1_,"axG",@progbits,_ZL38rocblas_dot_kernel_gfx942_float_doubleIiLi1024E19rocblas_complex_numIdEPKPKS1_S1_EviT2_lT_lS6_lS7_lPT3_PT1_,comdat
	.globl	_ZL38rocblas_dot_kernel_gfx942_float_doubleIiLi1024E19rocblas_complex_numIdEPKPKS1_S1_EviT2_lT_lS6_lS7_lPT3_PT1_ ; -- Begin function _ZL38rocblas_dot_kernel_gfx942_float_doubleIiLi1024E19rocblas_complex_numIdEPKPKS1_S1_EviT2_lT_lS6_lS7_lPT3_PT1_
	.p2align	8
	.type	_ZL38rocblas_dot_kernel_gfx942_float_doubleIiLi1024E19rocblas_complex_numIdEPKPKS1_S1_EviT2_lT_lS6_lS7_lPT3_PT1_,@function
_ZL38rocblas_dot_kernel_gfx942_float_doubleIiLi1024E19rocblas_complex_numIdEPKPKS1_S1_EviT2_lT_lS6_lS7_lPT3_PT1_: ; @_ZL38rocblas_dot_kernel_gfx942_float_doubleIiLi1024E19rocblas_complex_numIdEPKPKS1_S1_EviT2_lT_lS6_lS7_lPT3_PT1_
; %bb.0:
	s_endpgm
	.section	.rodata,"a",@progbits
	.p2align	6, 0x0
	.amdhsa_kernel _ZL38rocblas_dot_kernel_gfx942_float_doubleIiLi1024E19rocblas_complex_numIdEPKPKS1_S1_EviT2_lT_lS6_lS7_lPT3_PT1_
		.amdhsa_group_segment_fixed_size 0
		.amdhsa_private_segment_fixed_size 0
		.amdhsa_kernarg_size 88
		.amdhsa_user_sgpr_count 6
		.amdhsa_user_sgpr_private_segment_buffer 1
		.amdhsa_user_sgpr_dispatch_ptr 0
		.amdhsa_user_sgpr_queue_ptr 0
		.amdhsa_user_sgpr_kernarg_segment_ptr 1
		.amdhsa_user_sgpr_dispatch_id 0
		.amdhsa_user_sgpr_flat_scratch_init 0
		.amdhsa_user_sgpr_kernarg_preload_length 0
		.amdhsa_user_sgpr_kernarg_preload_offset 0
		.amdhsa_user_sgpr_private_segment_size 0
		.amdhsa_uses_dynamic_stack 0
		.amdhsa_system_sgpr_private_segment_wavefront_offset 0
		.amdhsa_system_sgpr_workgroup_id_x 1
		.amdhsa_system_sgpr_workgroup_id_y 0
		.amdhsa_system_sgpr_workgroup_id_z 0
		.amdhsa_system_sgpr_workgroup_info 0
		.amdhsa_system_vgpr_workitem_id 0
		.amdhsa_next_free_vgpr 1
		.amdhsa_next_free_sgpr 0
		.amdhsa_accum_offset 4
		.amdhsa_reserve_vcc 0
		.amdhsa_reserve_flat_scratch 0
		.amdhsa_float_round_mode_32 0
		.amdhsa_float_round_mode_16_64 0
		.amdhsa_float_denorm_mode_32 3
		.amdhsa_float_denorm_mode_16_64 3
		.amdhsa_dx10_clamp 1
		.amdhsa_ieee_mode 1
		.amdhsa_fp16_overflow 0
		.amdhsa_tg_split 0
		.amdhsa_exception_fp_ieee_invalid_op 0
		.amdhsa_exception_fp_denorm_src 0
		.amdhsa_exception_fp_ieee_div_zero 0
		.amdhsa_exception_fp_ieee_overflow 0
		.amdhsa_exception_fp_ieee_underflow 0
		.amdhsa_exception_fp_ieee_inexact 0
		.amdhsa_exception_int_div_zero 0
	.end_amdhsa_kernel
	.section	.text._ZL38rocblas_dot_kernel_gfx942_float_doubleIiLi1024E19rocblas_complex_numIdEPKPKS1_S1_EviT2_lT_lS6_lS7_lPT3_PT1_,"axG",@progbits,_ZL38rocblas_dot_kernel_gfx942_float_doubleIiLi1024E19rocblas_complex_numIdEPKPKS1_S1_EviT2_lT_lS6_lS7_lPT3_PT1_,comdat
.Lfunc_end230:
	.size	_ZL38rocblas_dot_kernel_gfx942_float_doubleIiLi1024E19rocblas_complex_numIdEPKPKS1_S1_EviT2_lT_lS6_lS7_lPT3_PT1_, .Lfunc_end230-_ZL38rocblas_dot_kernel_gfx942_float_doubleIiLi1024E19rocblas_complex_numIdEPKPKS1_S1_EviT2_lT_lS6_lS7_lPT3_PT1_
                                        ; -- End function
	.section	.AMDGPU.csdata,"",@progbits
; Kernel info:
; codeLenInByte = 4
; NumSgprs: 4
; NumVgprs: 0
; NumAgprs: 0
; TotalNumVgprs: 0
; ScratchSize: 0
; MemoryBound: 0
; FloatMode: 240
; IeeeMode: 1
; LDSByteSize: 0 bytes/workgroup (compile time only)
; SGPRBlocks: 0
; VGPRBlocks: 0
; NumSGPRsForWavesPerEU: 4
; NumVGPRsForWavesPerEU: 1
; AccumOffset: 4
; Occupancy: 8
; WaveLimiterHint : 0
; COMPUTE_PGM_RSRC2:SCRATCH_EN: 0
; COMPUTE_PGM_RSRC2:USER_SGPR: 6
; COMPUTE_PGM_RSRC2:TRAP_HANDLER: 0
; COMPUTE_PGM_RSRC2:TGID_X_EN: 1
; COMPUTE_PGM_RSRC2:TGID_Y_EN: 0
; COMPUTE_PGM_RSRC2:TGID_Z_EN: 0
; COMPUTE_PGM_RSRC2:TIDIG_COMP_CNT: 0
; COMPUTE_PGM_RSRC3_GFX90A:ACCUM_OFFSET: 0
; COMPUTE_PGM_RSRC3_GFX90A:TG_SPLIT: 0
	.section	.text._ZL23rocblas_dot_kernel_inc1ILb0ELi512ELi2ELb0E19rocblas_complex_numIdEPKPKS1_S1_EviT4_llS6_lliPT5_PT3_,"axG",@progbits,_ZL23rocblas_dot_kernel_inc1ILb0ELi512ELi2ELb0E19rocblas_complex_numIdEPKPKS1_S1_EviT4_llS6_lliPT5_PT3_,comdat
	.globl	_ZL23rocblas_dot_kernel_inc1ILb0ELi512ELi2ELb0E19rocblas_complex_numIdEPKPKS1_S1_EviT4_llS6_lliPT5_PT3_ ; -- Begin function _ZL23rocblas_dot_kernel_inc1ILb0ELi512ELi2ELb0E19rocblas_complex_numIdEPKPKS1_S1_EviT4_llS6_lliPT5_PT3_
	.p2align	8
	.type	_ZL23rocblas_dot_kernel_inc1ILb0ELi512ELi2ELb0E19rocblas_complex_numIdEPKPKS1_S1_EviT4_llS6_lliPT5_PT3_,@function
_ZL23rocblas_dot_kernel_inc1ILb0ELi512ELi2ELb0E19rocblas_complex_numIdEPKPKS1_S1_EviT4_llS6_lliPT5_PT3_: ; @_ZL23rocblas_dot_kernel_inc1ILb0ELi512ELi2ELb0E19rocblas_complex_numIdEPKPKS1_S1_EviT4_llS6_lliPT5_PT3_
; %bb.0:
	s_load_dword s8, s[4:5], 0x0
	s_load_dword s10, s[4:5], 0x50
	v_lshl_or_b32 v6, s6, 9, v0
	v_pk_mov_b32 v[4:5], 0, 0
	s_mov_b32 s2, s7
	s_mov_b32 s3, 0
	s_waitcnt lgkmcnt(0)
	v_cmp_gt_i32_e32 vcc, s8, v6
	v_pk_mov_b32 v[2:3], v[4:5], v[4:5] op_sel:[0,1]
	s_and_saveexec_b64 s[0:1], vcc
	s_cbranch_execz .LBB231_4
; %bb.1:
	s_load_dwordx4 s[12:15], s[4:5], 0x8
	s_load_dwordx4 s[16:19], s[4:5], 0x20
	s_lshl_b64 s[20:21], s[2:3], 3
	v_ashrrev_i32_e32 v7, 31, v6
	v_lshlrev_b64 v[2:3], 4, v[6:7]
	s_waitcnt lgkmcnt(0)
	s_add_u32 s12, s12, s20
	s_addc_u32 s13, s13, s21
	s_load_dwordx2 s[12:13], s[12:13], 0x0
	s_lshl_b64 s[14:15], s[14:15], 4
	s_waitcnt lgkmcnt(0)
	s_add_u32 s7, s12, s14
	s_addc_u32 s11, s13, s15
	s_add_u32 s12, s16, s20
	s_addc_u32 s13, s17, s21
	s_load_dwordx2 s[12:13], s[12:13], 0x0
	s_lshl_b64 s[14:15], s[18:19], 4
	v_mov_b32_e32 v1, s11
	s_waitcnt lgkmcnt(0)
	s_add_u32 s12, s12, s14
	s_addc_u32 s13, s13, s15
	v_mov_b32_e32 v4, s13
	v_add_co_u32_e32 v6, vcc, s12, v2
	v_addc_co_u32_e32 v7, vcc, v4, v3, vcc
	v_add_co_u32_e32 v12, vcc, s7, v2
	v_addc_co_u32_e32 v13, vcc, v1, v3, vcc
	global_load_dwordx4 v[2:5], v[12:13], off
	global_load_dwordx4 v[8:11], v[6:7], off
	s_add_i32 s9, s6, s10
	v_lshl_or_b32 v6, s9, 9, v0
	v_cmp_gt_i32_e32 vcc, s8, v6
	s_waitcnt vmcnt(0)
	v_mul_f64 v[12:13], v[10:11], v[4:5]
	v_mul_f64 v[14:15], v[8:9], v[4:5]
	v_fma_f64 v[4:5], v[8:9], v[2:3], -v[12:13]
	v_fmac_f64_e32 v[14:15], v[10:11], v[2:3]
	v_add_f64 v[4:5], v[4:5], 0
	v_add_f64 v[2:3], v[14:15], 0
	s_and_saveexec_b64 s[8:9], vcc
	s_cbranch_execz .LBB231_3
; %bb.2:
	v_ashrrev_i32_e32 v7, 31, v6
	v_lshlrev_b64 v[10:11], 4, v[6:7]
	v_mov_b32_e32 v1, s13
	v_add_co_u32_e32 v6, vcc, s12, v10
	v_addc_co_u32_e32 v7, vcc, v1, v11, vcc
	v_mov_b32_e32 v1, s11
	v_add_co_u32_e32 v10, vcc, s7, v10
	v_addc_co_u32_e32 v11, vcc, v1, v11, vcc
	global_load_dwordx4 v[6:9], v[6:7], off
	s_nop 0
	global_load_dwordx4 v[10:13], v[10:11], off
	s_waitcnt vmcnt(0)
	v_mul_f64 v[14:15], v[6:7], v[12:13]
	v_mul_f64 v[12:13], v[8:9], v[12:13]
	v_fmac_f64_e32 v[14:15], v[8:9], v[10:11]
	v_fma_f64 v[6:7], v[6:7], v[10:11], -v[12:13]
	v_add_f64 v[2:3], v[2:3], v[14:15]
	v_add_f64 v[4:5], v[4:5], v[6:7]
.LBB231_3:
	s_or_b64 exec, exec, s[8:9]
.LBB231_4:
	s_or_b64 exec, exec, s[0:1]
	v_and_b32_e32 v10, 63, v0
	v_cmp_gt_u32_e32 vcc, 64, v0
	v_lshlrev_b32_e32 v1, 4, v10
	s_and_saveexec_b64 s[0:1], vcc
	s_cbranch_execz .LBB231_6
; %bb.5:
	v_mov_b32_e32 v6, 0
	v_mov_b32_e32 v7, v6
	;; [unrolled: 1-line block ×4, first 2 shown]
	ds_write_b128 v1, v[6:9]
.LBB231_6:
	s_or_b64 exec, exec, s[0:1]
	v_mbcnt_lo_u32_b32 v6, -1, 0
	v_mbcnt_hi_u32_b32 v13, -1, v6
	v_and_b32_e32 v14, 63, v13
	v_cmp_gt_u32_e64 s[0:1], 32, v14
	v_cndmask_b32_e64 v6, 0, 1, s[0:1]
	v_lshlrev_b32_e32 v6, 5, v6
	v_add_lshl_u32 v9, v6, v13, 2
	ds_bpermute_b32 v6, v9, v4
	ds_bpermute_b32 v7, v9, v5
	;; [unrolled: 1-line block ×4, first 2 shown]
	v_cmp_gt_u32_e64 s[0:1], 48, v14
	s_waitcnt lgkmcnt(0)
	v_add_f64 v[4:5], v[4:5], v[6:7]
	v_cndmask_b32_e64 v6, 0, 1, s[0:1]
	v_lshlrev_b32_e32 v6, 4, v6
	v_add_f64 v[2:3], v[2:3], v[8:9]
	v_add_lshl_u32 v9, v6, v13, 2
	ds_bpermute_b32 v6, v9, v4
	ds_bpermute_b32 v7, v9, v5
	;; [unrolled: 1-line block ×4, first 2 shown]
	v_cmp_gt_u32_e64 s[0:1], 56, v14
	s_barrier
	s_waitcnt lgkmcnt(2)
	v_add_f64 v[4:5], v[4:5], v[6:7]
	v_cndmask_b32_e64 v6, 0, 1, s[0:1]
	v_lshlrev_b32_e32 v6, 3, v6
	s_waitcnt lgkmcnt(0)
	v_add_f64 v[2:3], v[2:3], v[8:9]
	v_add_lshl_u32 v9, v6, v13, 2
	ds_bpermute_b32 v6, v9, v4
	ds_bpermute_b32 v7, v9, v5
	;; [unrolled: 1-line block ×4, first 2 shown]
	v_cmp_gt_u32_e64 s[0:1], 60, v14
	s_waitcnt lgkmcnt(0)
	v_add_f64 v[4:5], v[4:5], v[6:7]
	v_cndmask_b32_e64 v6, 0, 1, s[0:1]
	v_lshlrev_b32_e32 v6, 2, v6
	v_add_f64 v[2:3], v[2:3], v[8:9]
	v_add_lshl_u32 v11, v6, v13, 2
	ds_bpermute_b32 v6, v11, v4
	ds_bpermute_b32 v7, v11, v5
	;; [unrolled: 1-line block ×4, first 2 shown]
	v_cmp_gt_u32_e64 s[0:1], 62, v14
	s_waitcnt lgkmcnt(2)
	v_add_f64 v[4:5], v[4:5], v[6:7]
	s_waitcnt lgkmcnt(0)
	v_add_f64 v[6:7], v[2:3], v[8:9]
	v_cndmask_b32_e64 v2, 0, 1, s[0:1]
	v_lshlrev_b32_e32 v2, 1, v2
	v_add_lshl_u32 v12, v2, v13, 2
	ds_bpermute_b32 v2, v12, v4
	ds_bpermute_b32 v3, v12, v5
	;; [unrolled: 1-line block ×4, first 2 shown]
	v_cmp_ne_u32_e64 s[0:1], 63, v14
	s_waitcnt lgkmcnt(2)
	v_add_f64 v[2:3], v[4:5], v[2:3]
	v_addc_co_u32_e64 v4, s[0:1], 0, v13, s[0:1]
	s_waitcnt lgkmcnt(0)
	v_add_f64 v[6:7], v[6:7], v[8:9]
	v_lshlrev_b32_e32 v13, 2, v4
	ds_bpermute_b32 v4, v13, v2
	ds_bpermute_b32 v5, v13, v3
	;; [unrolled: 1-line block ×4, first 2 shown]
	v_cmp_eq_u32_e64 s[0:1], 0, v10
	s_and_saveexec_b64 s[8:9], s[0:1]
	s_cbranch_execz .LBB231_8
; %bb.7:
	v_lshrrev_b32_e32 v10, 2, v0
	v_and_b32_e32 v10, 0x70, v10
	s_waitcnt lgkmcnt(0)
	v_add_f64 v[6:7], v[6:7], v[8:9]
	v_add_f64 v[4:5], v[2:3], v[4:5]
	ds_write_b128 v10, v[4:7]
.LBB231_8:
	s_or_b64 exec, exec, s[8:9]
	s_waitcnt lgkmcnt(2)
	v_pk_mov_b32 v[4:5], 0, 0
	v_cmp_gt_u32_e64 s[0:1], 8, v0
	v_pk_mov_b32 v[2:3], v[4:5], v[4:5] op_sel:[0,1]
	s_waitcnt lgkmcnt(0)
	s_barrier
	s_and_saveexec_b64 s[8:9], s[0:1]
	s_cbranch_execnz .LBB231_12
; %bb.9:
	s_or_b64 exec, exec, s[8:9]
	s_and_saveexec_b64 s[0:1], vcc
	s_cbranch_execnz .LBB231_13
.LBB231_10:
	s_or_b64 exec, exec, s[0:1]
	v_cmp_eq_u32_e32 vcc, 0, v0
	s_and_saveexec_b64 s[0:1], vcc
	s_cbranch_execnz .LBB231_14
.LBB231_11:
	s_endpgm
.LBB231_12:
	ds_read_b128 v[2:5], v1
	s_or_b64 exec, exec, s[8:9]
	s_and_saveexec_b64 s[0:1], vcc
	s_cbranch_execz .LBB231_10
.LBB231_13:
	s_waitcnt lgkmcnt(0)
	ds_bpermute_b32 v6, v11, v2
	ds_bpermute_b32 v7, v11, v3
	;; [unrolled: 1-line block ×4, first 2 shown]
	s_waitcnt lgkmcnt(2)
	v_add_f64 v[2:3], v[2:3], v[6:7]
	ds_bpermute_b32 v6, v12, v2
	s_waitcnt lgkmcnt(1)
	v_add_f64 v[4:5], v[4:5], v[8:9]
	ds_bpermute_b32 v7, v12, v3
	ds_bpermute_b32 v8, v12, v4
	;; [unrolled: 1-line block ×3, first 2 shown]
	s_waitcnt lgkmcnt(2)
	v_add_f64 v[2:3], v[2:3], v[6:7]
	ds_bpermute_b32 v6, v13, v2
	s_waitcnt lgkmcnt(1)
	v_add_f64 v[4:5], v[4:5], v[8:9]
	ds_bpermute_b32 v7, v13, v3
	ds_bpermute_b32 v8, v13, v4
	;; [unrolled: 1-line block ×3, first 2 shown]
	s_waitcnt lgkmcnt(2)
	v_add_f64 v[2:3], v[2:3], v[6:7]
	s_waitcnt lgkmcnt(0)
	v_add_f64 v[4:5], v[4:5], v[8:9]
	s_or_b64 exec, exec, s[0:1]
	v_cmp_eq_u32_e32 vcc, 0, v0
	s_and_saveexec_b64 s[0:1], vcc
	s_cbranch_execz .LBB231_11
.LBB231_14:
	s_cmp_lg_u32 s10, 1
	s_cbranch_scc0 .LBB231_16
; %bb.15:
	s_load_dwordx2 s[0:1], s[4:5], 0x40
	s_mul_hi_u32 s9, s10, s2
	s_mul_i32 s8, s10, s2
	s_lshl_b64 s[8:9], s[8:9], 4
	s_mov_b32 s7, 0
	s_waitcnt lgkmcnt(0)
	s_add_u32 s8, s0, s8
	s_addc_u32 s9, s1, s9
	s_lshl_b64 s[0:1], s[6:7], 4
	s_add_u32 s0, s8, s0
	s_addc_u32 s1, s9, s1
	s_cbranch_execz .LBB231_17
	s_branch .LBB231_18
.LBB231_16:
                                        ; implicit-def: $sgpr0_sgpr1
.LBB231_17:
	s_load_dwordx2 s[0:1], s[4:5], 0x48
	s_lshl_b64 s[2:3], s[2:3], 4
	s_waitcnt lgkmcnt(0)
	s_add_u32 s0, s0, s2
	s_addc_u32 s1, s1, s3
.LBB231_18:
	v_mov_b32_e32 v0, 0
	s_waitcnt lgkmcnt(0)
	global_store_dwordx4 v0, v[2:5], s[0:1]
	s_endpgm
	.section	.rodata,"a",@progbits
	.p2align	6, 0x0
	.amdhsa_kernel _ZL23rocblas_dot_kernel_inc1ILb0ELi512ELi2ELb0E19rocblas_complex_numIdEPKPKS1_S1_EviT4_llS6_lliPT5_PT3_
		.amdhsa_group_segment_fixed_size 1024
		.amdhsa_private_segment_fixed_size 0
		.amdhsa_kernarg_size 336
		.amdhsa_user_sgpr_count 6
		.amdhsa_user_sgpr_private_segment_buffer 1
		.amdhsa_user_sgpr_dispatch_ptr 0
		.amdhsa_user_sgpr_queue_ptr 0
		.amdhsa_user_sgpr_kernarg_segment_ptr 1
		.amdhsa_user_sgpr_dispatch_id 0
		.amdhsa_user_sgpr_flat_scratch_init 0
		.amdhsa_user_sgpr_kernarg_preload_length 0
		.amdhsa_user_sgpr_kernarg_preload_offset 0
		.amdhsa_user_sgpr_private_segment_size 0
		.amdhsa_uses_dynamic_stack 0
		.amdhsa_system_sgpr_private_segment_wavefront_offset 0
		.amdhsa_system_sgpr_workgroup_id_x 1
		.amdhsa_system_sgpr_workgroup_id_y 0
		.amdhsa_system_sgpr_workgroup_id_z 1
		.amdhsa_system_sgpr_workgroup_info 0
		.amdhsa_system_vgpr_workitem_id 0
		.amdhsa_next_free_vgpr 16
		.amdhsa_next_free_sgpr 22
		.amdhsa_accum_offset 16
		.amdhsa_reserve_vcc 1
		.amdhsa_reserve_flat_scratch 0
		.amdhsa_float_round_mode_32 0
		.amdhsa_float_round_mode_16_64 0
		.amdhsa_float_denorm_mode_32 3
		.amdhsa_float_denorm_mode_16_64 3
		.amdhsa_dx10_clamp 1
		.amdhsa_ieee_mode 1
		.amdhsa_fp16_overflow 0
		.amdhsa_tg_split 0
		.amdhsa_exception_fp_ieee_invalid_op 0
		.amdhsa_exception_fp_denorm_src 0
		.amdhsa_exception_fp_ieee_div_zero 0
		.amdhsa_exception_fp_ieee_overflow 0
		.amdhsa_exception_fp_ieee_underflow 0
		.amdhsa_exception_fp_ieee_inexact 0
		.amdhsa_exception_int_div_zero 0
	.end_amdhsa_kernel
	.section	.text._ZL23rocblas_dot_kernel_inc1ILb0ELi512ELi2ELb0E19rocblas_complex_numIdEPKPKS1_S1_EviT4_llS6_lliPT5_PT3_,"axG",@progbits,_ZL23rocblas_dot_kernel_inc1ILb0ELi512ELi2ELb0E19rocblas_complex_numIdEPKPKS1_S1_EviT4_llS6_lliPT5_PT3_,comdat
.Lfunc_end231:
	.size	_ZL23rocblas_dot_kernel_inc1ILb0ELi512ELi2ELb0E19rocblas_complex_numIdEPKPKS1_S1_EviT4_llS6_lliPT5_PT3_, .Lfunc_end231-_ZL23rocblas_dot_kernel_inc1ILb0ELi512ELi2ELb0E19rocblas_complex_numIdEPKPKS1_S1_EviT4_llS6_lliPT5_PT3_
                                        ; -- End function
	.section	.AMDGPU.csdata,"",@progbits
; Kernel info:
; codeLenInByte = 1376
; NumSgprs: 26
; NumVgprs: 16
; NumAgprs: 0
; TotalNumVgprs: 16
; ScratchSize: 0
; MemoryBound: 0
; FloatMode: 240
; IeeeMode: 1
; LDSByteSize: 1024 bytes/workgroup (compile time only)
; SGPRBlocks: 3
; VGPRBlocks: 1
; NumSGPRsForWavesPerEU: 26
; NumVGPRsForWavesPerEU: 16
; AccumOffset: 16
; Occupancy: 8
; WaveLimiterHint : 1
; COMPUTE_PGM_RSRC2:SCRATCH_EN: 0
; COMPUTE_PGM_RSRC2:USER_SGPR: 6
; COMPUTE_PGM_RSRC2:TRAP_HANDLER: 0
; COMPUTE_PGM_RSRC2:TGID_X_EN: 1
; COMPUTE_PGM_RSRC2:TGID_Y_EN: 0
; COMPUTE_PGM_RSRC2:TGID_Z_EN: 1
; COMPUTE_PGM_RSRC2:TIDIG_COMP_CNT: 0
; COMPUTE_PGM_RSRC3_GFX90A:ACCUM_OFFSET: 3
; COMPUTE_PGM_RSRC3_GFX90A:TG_SPLIT: 0
	.section	.text._ZL18rocblas_dot_kernelIiLb0ELi512ELi2ELb0E19rocblas_complex_numIdEPKPKS1_S1_EviT5_lT_lS6_lS7_liPT6_PT4_,"axG",@progbits,_ZL18rocblas_dot_kernelIiLb0ELi512ELi2ELb0E19rocblas_complex_numIdEPKPKS1_S1_EviT5_lT_lS6_lS7_liPT6_PT4_,comdat
	.globl	_ZL18rocblas_dot_kernelIiLb0ELi512ELi2ELb0E19rocblas_complex_numIdEPKPKS1_S1_EviT5_lT_lS6_lS7_liPT6_PT4_ ; -- Begin function _ZL18rocblas_dot_kernelIiLb0ELi512ELi2ELb0E19rocblas_complex_numIdEPKPKS1_S1_EviT5_lT_lS6_lS7_liPT6_PT4_
	.p2align	8
	.type	_ZL18rocblas_dot_kernelIiLb0ELi512ELi2ELb0E19rocblas_complex_numIdEPKPKS1_S1_EviT5_lT_lS6_lS7_liPT6_PT4_,@function
_ZL18rocblas_dot_kernelIiLb0ELi512ELi2ELb0E19rocblas_complex_numIdEPKPKS1_S1_EviT5_lT_lS6_lS7_liPT6_PT4_: ; @_ZL18rocblas_dot_kernelIiLb0ELi512ELi2ELb0E19rocblas_complex_numIdEPKPKS1_S1_EviT5_lT_lS6_lS7_liPT6_PT4_
; %bb.0:
	s_load_dword s8, s[4:5], 0x0
	s_load_dword s10, s[4:5], 0x60
	v_lshl_or_b32 v1, s6, 9, v0
	v_pk_mov_b32 v[4:5], 0, 0
	s_mov_b32 s2, s7
	s_mov_b32 s3, 0
	s_waitcnt lgkmcnt(0)
	v_cmp_gt_i32_e32 vcc, s8, v1
	v_pk_mov_b32 v[2:3], v[4:5], v[4:5] op_sel:[0,1]
	s_and_saveexec_b64 s[0:1], vcc
	s_cbranch_execz .LBB232_4
; %bb.1:
	s_load_dwordx4 s[12:15], s[4:5], 0x8
	s_load_dword s7, s[4:5], 0x18
	s_lshl_b64 s[20:21], s[2:3], 3
	s_waitcnt lgkmcnt(0)
	s_add_u32 s22, s12, s20
	s_addc_u32 s23, s13, s21
	s_load_dwordx2 s[24:25], s[22:23], 0x0
	s_load_dwordx4 s[16:19], s[4:5], 0x28
	s_load_dword s13, s[4:5], 0x38
	s_lshl_b64 s[14:15], s[14:15], 4
	s_waitcnt lgkmcnt(0)
	s_add_u32 s11, s24, s14
	s_addc_u32 s12, s25, s15
	s_add_u32 s14, s16, s20
	s_addc_u32 s15, s17, s21
	s_load_dwordx2 s[14:15], s[14:15], 0x0
	v_mad_i64_i32 v[2:3], s[16:17], v1, s13, 0
	s_lshl_b64 s[16:17], s[18:19], 4
	v_lshlrev_b64 v[2:3], 4, v[2:3]
	s_waitcnt lgkmcnt(0)
	s_add_u32 s14, s14, s16
	s_addc_u32 s15, s15, s17
	v_mov_b32_e32 v4, s15
	v_add_co_u32_e32 v10, vcc, s14, v2
	v_addc_co_u32_e32 v11, vcc, v4, v3, vcc
	v_mad_i64_i32 v[2:3], s[16:17], v1, s7, 0
	v_lshlrev_b64 v[2:3], 4, v[2:3]
	v_mov_b32_e32 v1, s12
	v_add_co_u32_e32 v12, vcc, s11, v2
	v_addc_co_u32_e32 v13, vcc, v1, v3, vcc
	global_load_dwordx4 v[2:5], v[12:13], off
	global_load_dwordx4 v[6:9], v[10:11], off
	s_add_i32 s9, s6, s10
	v_lshl_or_b32 v1, s9, 9, v0
	v_cmp_gt_i32_e32 vcc, s8, v1
	s_waitcnt vmcnt(0)
	v_mul_f64 v[10:11], v[8:9], v[4:5]
	v_mul_f64 v[12:13], v[6:7], v[4:5]
	v_fma_f64 v[4:5], v[6:7], v[2:3], -v[10:11]
	v_fmac_f64_e32 v[12:13], v[8:9], v[2:3]
	v_add_f64 v[4:5], v[4:5], 0
	v_add_f64 v[2:3], v[12:13], 0
	s_and_saveexec_b64 s[8:9], vcc
	s_cbranch_execz .LBB232_3
; %bb.2:
	v_mad_i64_i32 v[6:7], s[16:17], v1, s13, 0
	v_lshlrev_b64 v[6:7], 4, v[6:7]
	v_mov_b32_e32 v8, s15
	v_add_co_u32_e32 v6, vcc, s14, v6
	v_mad_i64_i32 v[10:11], s[14:15], v1, s7, 0
	v_addc_co_u32_e32 v7, vcc, v8, v7, vcc
	v_lshlrev_b64 v[10:11], 4, v[10:11]
	v_mov_b32_e32 v1, s12
	v_add_co_u32_e32 v10, vcc, s11, v10
	v_addc_co_u32_e32 v11, vcc, v1, v11, vcc
	global_load_dwordx4 v[6:9], v[6:7], off
	s_nop 0
	global_load_dwordx4 v[10:13], v[10:11], off
	s_waitcnt vmcnt(0)
	v_mul_f64 v[14:15], v[6:7], v[12:13]
	v_mul_f64 v[12:13], v[8:9], v[12:13]
	v_fmac_f64_e32 v[14:15], v[8:9], v[10:11]
	v_fma_f64 v[6:7], v[6:7], v[10:11], -v[12:13]
	v_add_f64 v[2:3], v[2:3], v[14:15]
	v_add_f64 v[4:5], v[4:5], v[6:7]
.LBB232_3:
	s_or_b64 exec, exec, s[8:9]
.LBB232_4:
	s_or_b64 exec, exec, s[0:1]
	v_and_b32_e32 v10, 63, v0
	v_cmp_gt_u32_e32 vcc, 64, v0
	v_lshlrev_b32_e32 v1, 4, v10
	s_and_saveexec_b64 s[0:1], vcc
	s_cbranch_execz .LBB232_6
; %bb.5:
	v_mov_b32_e32 v6, 0
	v_mov_b32_e32 v7, v6
	v_mov_b32_e32 v8, v6
	v_mov_b32_e32 v9, v6
	ds_write_b128 v1, v[6:9]
.LBB232_6:
	s_or_b64 exec, exec, s[0:1]
	v_mbcnt_lo_u32_b32 v6, -1, 0
	v_mbcnt_hi_u32_b32 v13, -1, v6
	v_and_b32_e32 v14, 63, v13
	v_cmp_gt_u32_e64 s[0:1], 32, v14
	v_cndmask_b32_e64 v6, 0, 1, s[0:1]
	v_lshlrev_b32_e32 v6, 5, v6
	v_add_lshl_u32 v9, v6, v13, 2
	ds_bpermute_b32 v6, v9, v4
	ds_bpermute_b32 v7, v9, v5
	;; [unrolled: 1-line block ×4, first 2 shown]
	v_cmp_gt_u32_e64 s[0:1], 48, v14
	s_waitcnt lgkmcnt(0)
	v_add_f64 v[4:5], v[4:5], v[6:7]
	v_cndmask_b32_e64 v6, 0, 1, s[0:1]
	v_lshlrev_b32_e32 v6, 4, v6
	v_add_f64 v[2:3], v[2:3], v[8:9]
	v_add_lshl_u32 v9, v6, v13, 2
	ds_bpermute_b32 v6, v9, v4
	ds_bpermute_b32 v7, v9, v5
	;; [unrolled: 1-line block ×4, first 2 shown]
	v_cmp_gt_u32_e64 s[0:1], 56, v14
	s_barrier
	s_waitcnt lgkmcnt(2)
	v_add_f64 v[4:5], v[4:5], v[6:7]
	v_cndmask_b32_e64 v6, 0, 1, s[0:1]
	v_lshlrev_b32_e32 v6, 3, v6
	s_waitcnt lgkmcnt(0)
	v_add_f64 v[2:3], v[2:3], v[8:9]
	v_add_lshl_u32 v9, v6, v13, 2
	ds_bpermute_b32 v6, v9, v4
	ds_bpermute_b32 v7, v9, v5
	;; [unrolled: 1-line block ×4, first 2 shown]
	v_cmp_gt_u32_e64 s[0:1], 60, v14
	s_waitcnt lgkmcnt(0)
	v_add_f64 v[4:5], v[4:5], v[6:7]
	v_cndmask_b32_e64 v6, 0, 1, s[0:1]
	v_lshlrev_b32_e32 v6, 2, v6
	v_add_f64 v[2:3], v[2:3], v[8:9]
	v_add_lshl_u32 v11, v6, v13, 2
	ds_bpermute_b32 v6, v11, v4
	ds_bpermute_b32 v7, v11, v5
	;; [unrolled: 1-line block ×4, first 2 shown]
	v_cmp_gt_u32_e64 s[0:1], 62, v14
	s_waitcnt lgkmcnt(2)
	v_add_f64 v[4:5], v[4:5], v[6:7]
	s_waitcnt lgkmcnt(0)
	v_add_f64 v[6:7], v[2:3], v[8:9]
	v_cndmask_b32_e64 v2, 0, 1, s[0:1]
	v_lshlrev_b32_e32 v2, 1, v2
	v_add_lshl_u32 v12, v2, v13, 2
	ds_bpermute_b32 v2, v12, v4
	ds_bpermute_b32 v3, v12, v5
	;; [unrolled: 1-line block ×4, first 2 shown]
	v_cmp_ne_u32_e64 s[0:1], 63, v14
	s_waitcnt lgkmcnt(2)
	v_add_f64 v[2:3], v[4:5], v[2:3]
	v_addc_co_u32_e64 v4, s[0:1], 0, v13, s[0:1]
	s_waitcnt lgkmcnt(0)
	v_add_f64 v[6:7], v[6:7], v[8:9]
	v_lshlrev_b32_e32 v13, 2, v4
	ds_bpermute_b32 v4, v13, v2
	ds_bpermute_b32 v5, v13, v3
	;; [unrolled: 1-line block ×4, first 2 shown]
	v_cmp_eq_u32_e64 s[0:1], 0, v10
	s_and_saveexec_b64 s[8:9], s[0:1]
	s_cbranch_execz .LBB232_8
; %bb.7:
	v_lshrrev_b32_e32 v10, 2, v0
	v_and_b32_e32 v10, 0x70, v10
	s_waitcnt lgkmcnt(0)
	v_add_f64 v[6:7], v[6:7], v[8:9]
	v_add_f64 v[4:5], v[2:3], v[4:5]
	ds_write_b128 v10, v[4:7]
.LBB232_8:
	s_or_b64 exec, exec, s[8:9]
	s_waitcnt lgkmcnt(2)
	v_pk_mov_b32 v[4:5], 0, 0
	v_cmp_gt_u32_e64 s[0:1], 8, v0
	v_pk_mov_b32 v[2:3], v[4:5], v[4:5] op_sel:[0,1]
	s_waitcnt lgkmcnt(0)
	s_barrier
	s_and_saveexec_b64 s[8:9], s[0:1]
	s_cbranch_execnz .LBB232_12
; %bb.9:
	s_or_b64 exec, exec, s[8:9]
	s_and_saveexec_b64 s[0:1], vcc
	s_cbranch_execnz .LBB232_13
.LBB232_10:
	s_or_b64 exec, exec, s[0:1]
	v_cmp_eq_u32_e32 vcc, 0, v0
	s_and_saveexec_b64 s[0:1], vcc
	s_cbranch_execnz .LBB232_14
.LBB232_11:
	s_endpgm
.LBB232_12:
	ds_read_b128 v[2:5], v1
	s_or_b64 exec, exec, s[8:9]
	s_and_saveexec_b64 s[0:1], vcc
	s_cbranch_execz .LBB232_10
.LBB232_13:
	s_waitcnt lgkmcnt(0)
	ds_bpermute_b32 v6, v11, v2
	ds_bpermute_b32 v7, v11, v3
	;; [unrolled: 1-line block ×4, first 2 shown]
	s_waitcnt lgkmcnt(2)
	v_add_f64 v[2:3], v[2:3], v[6:7]
	ds_bpermute_b32 v6, v12, v2
	s_waitcnt lgkmcnt(1)
	v_add_f64 v[4:5], v[4:5], v[8:9]
	ds_bpermute_b32 v7, v12, v3
	ds_bpermute_b32 v8, v12, v4
	;; [unrolled: 1-line block ×3, first 2 shown]
	s_waitcnt lgkmcnt(2)
	v_add_f64 v[2:3], v[2:3], v[6:7]
	ds_bpermute_b32 v6, v13, v2
	s_waitcnt lgkmcnt(1)
	v_add_f64 v[4:5], v[4:5], v[8:9]
	ds_bpermute_b32 v7, v13, v3
	ds_bpermute_b32 v8, v13, v4
	;; [unrolled: 1-line block ×3, first 2 shown]
	s_waitcnt lgkmcnt(2)
	v_add_f64 v[2:3], v[2:3], v[6:7]
	s_waitcnt lgkmcnt(0)
	v_add_f64 v[4:5], v[4:5], v[8:9]
	s_or_b64 exec, exec, s[0:1]
	v_cmp_eq_u32_e32 vcc, 0, v0
	s_and_saveexec_b64 s[0:1], vcc
	s_cbranch_execz .LBB232_11
.LBB232_14:
	s_cmp_lg_u32 s10, 1
	s_cbranch_scc0 .LBB232_16
; %bb.15:
	s_load_dwordx2 s[0:1], s[4:5], 0x50
	s_mul_hi_u32 s9, s10, s2
	s_mul_i32 s8, s10, s2
	s_lshl_b64 s[8:9], s[8:9], 4
	s_mov_b32 s7, 0
	s_waitcnt lgkmcnt(0)
	s_add_u32 s8, s0, s8
	s_addc_u32 s9, s1, s9
	s_lshl_b64 s[0:1], s[6:7], 4
	s_add_u32 s0, s8, s0
	s_addc_u32 s1, s9, s1
	s_cbranch_execz .LBB232_17
	s_branch .LBB232_18
.LBB232_16:
                                        ; implicit-def: $sgpr0_sgpr1
.LBB232_17:
	s_load_dwordx2 s[0:1], s[4:5], 0x58
	s_lshl_b64 s[2:3], s[2:3], 4
	s_waitcnt lgkmcnt(0)
	s_add_u32 s0, s0, s2
	s_addc_u32 s1, s1, s3
.LBB232_18:
	v_mov_b32_e32 v0, 0
	s_waitcnt lgkmcnt(0)
	global_store_dwordx4 v0, v[2:5], s[0:1]
	s_endpgm
	.section	.rodata,"a",@progbits
	.p2align	6, 0x0
	.amdhsa_kernel _ZL18rocblas_dot_kernelIiLb0ELi512ELi2ELb0E19rocblas_complex_numIdEPKPKS1_S1_EviT5_lT_lS6_lS7_liPT6_PT4_
		.amdhsa_group_segment_fixed_size 1024
		.amdhsa_private_segment_fixed_size 0
		.amdhsa_kernarg_size 352
		.amdhsa_user_sgpr_count 6
		.amdhsa_user_sgpr_private_segment_buffer 1
		.amdhsa_user_sgpr_dispatch_ptr 0
		.amdhsa_user_sgpr_queue_ptr 0
		.amdhsa_user_sgpr_kernarg_segment_ptr 1
		.amdhsa_user_sgpr_dispatch_id 0
		.amdhsa_user_sgpr_flat_scratch_init 0
		.amdhsa_user_sgpr_kernarg_preload_length 0
		.amdhsa_user_sgpr_kernarg_preload_offset 0
		.amdhsa_user_sgpr_private_segment_size 0
		.amdhsa_uses_dynamic_stack 0
		.amdhsa_system_sgpr_private_segment_wavefront_offset 0
		.amdhsa_system_sgpr_workgroup_id_x 1
		.amdhsa_system_sgpr_workgroup_id_y 0
		.amdhsa_system_sgpr_workgroup_id_z 1
		.amdhsa_system_sgpr_workgroup_info 0
		.amdhsa_system_vgpr_workitem_id 0
		.amdhsa_next_free_vgpr 16
		.amdhsa_next_free_sgpr 26
		.amdhsa_accum_offset 16
		.amdhsa_reserve_vcc 1
		.amdhsa_reserve_flat_scratch 0
		.amdhsa_float_round_mode_32 0
		.amdhsa_float_round_mode_16_64 0
		.amdhsa_float_denorm_mode_32 3
		.amdhsa_float_denorm_mode_16_64 3
		.amdhsa_dx10_clamp 1
		.amdhsa_ieee_mode 1
		.amdhsa_fp16_overflow 0
		.amdhsa_tg_split 0
		.amdhsa_exception_fp_ieee_invalid_op 0
		.amdhsa_exception_fp_denorm_src 0
		.amdhsa_exception_fp_ieee_div_zero 0
		.amdhsa_exception_fp_ieee_overflow 0
		.amdhsa_exception_fp_ieee_underflow 0
		.amdhsa_exception_fp_ieee_inexact 0
		.amdhsa_exception_int_div_zero 0
	.end_amdhsa_kernel
	.section	.text._ZL18rocblas_dot_kernelIiLb0ELi512ELi2ELb0E19rocblas_complex_numIdEPKPKS1_S1_EviT5_lT_lS6_lS7_liPT6_PT4_,"axG",@progbits,_ZL18rocblas_dot_kernelIiLb0ELi512ELi2ELb0E19rocblas_complex_numIdEPKPKS1_S1_EviT5_lT_lS6_lS7_liPT6_PT4_,comdat
.Lfunc_end232:
	.size	_ZL18rocblas_dot_kernelIiLb0ELi512ELi2ELb0E19rocblas_complex_numIdEPKPKS1_S1_EviT5_lT_lS6_lS7_liPT6_PT4_, .Lfunc_end232-_ZL18rocblas_dot_kernelIiLb0ELi512ELi2ELb0E19rocblas_complex_numIdEPKPKS1_S1_EviT5_lT_lS6_lS7_liPT6_PT4_
                                        ; -- End function
	.section	.AMDGPU.csdata,"",@progbits
; Kernel info:
; codeLenInByte = 1432
; NumSgprs: 30
; NumVgprs: 16
; NumAgprs: 0
; TotalNumVgprs: 16
; ScratchSize: 0
; MemoryBound: 0
; FloatMode: 240
; IeeeMode: 1
; LDSByteSize: 1024 bytes/workgroup (compile time only)
; SGPRBlocks: 3
; VGPRBlocks: 1
; NumSGPRsForWavesPerEU: 30
; NumVGPRsForWavesPerEU: 16
; AccumOffset: 16
; Occupancy: 8
; WaveLimiterHint : 1
; COMPUTE_PGM_RSRC2:SCRATCH_EN: 0
; COMPUTE_PGM_RSRC2:USER_SGPR: 6
; COMPUTE_PGM_RSRC2:TRAP_HANDLER: 0
; COMPUTE_PGM_RSRC2:TGID_X_EN: 1
; COMPUTE_PGM_RSRC2:TGID_Y_EN: 0
; COMPUTE_PGM_RSRC2:TGID_Z_EN: 1
; COMPUTE_PGM_RSRC2:TIDIG_COMP_CNT: 0
; COMPUTE_PGM_RSRC3_GFX90A:ACCUM_OFFSET: 3
; COMPUTE_PGM_RSRC3_GFX90A:TG_SPLIT: 0
	.section	.text._ZL24rocblas_dot_kernel_magsqIiLb0ELi512ELi2ELb0E19rocblas_complex_numIdEPKPKS1_S1_EviT5_lT_liPT6_PT4_,"axG",@progbits,_ZL24rocblas_dot_kernel_magsqIiLb0ELi512ELi2ELb0E19rocblas_complex_numIdEPKPKS1_S1_EviT5_lT_liPT6_PT4_,comdat
	.globl	_ZL24rocblas_dot_kernel_magsqIiLb0ELi512ELi2ELb0E19rocblas_complex_numIdEPKPKS1_S1_EviT5_lT_liPT6_PT4_ ; -- Begin function _ZL24rocblas_dot_kernel_magsqIiLb0ELi512ELi2ELb0E19rocblas_complex_numIdEPKPKS1_S1_EviT5_lT_liPT6_PT4_
	.p2align	8
	.type	_ZL24rocblas_dot_kernel_magsqIiLb0ELi512ELi2ELb0E19rocblas_complex_numIdEPKPKS1_S1_EviT5_lT_liPT6_PT4_,@function
_ZL24rocblas_dot_kernel_magsqIiLb0ELi512ELi2ELb0E19rocblas_complex_numIdEPKPKS1_S1_EviT5_lT_liPT6_PT4_: ; @_ZL24rocblas_dot_kernel_magsqIiLb0ELi512ELi2ELb0E19rocblas_complex_numIdEPKPKS1_S1_EviT5_lT_liPT6_PT4_
; %bb.0:
	s_mov_b32 s2, s7
	s_load_dword s7, s[4:5], 0x0
	s_load_dword s10, s[4:5], 0x40
	v_lshl_or_b32 v1, s6, 9, v0
	v_pk_mov_b32 v[4:5], 0, 0
	s_mov_b32 s3, 0
	s_waitcnt lgkmcnt(0)
	v_cmp_gt_i32_e32 vcc, s7, v1
	v_pk_mov_b32 v[2:3], v[4:5], v[4:5] op_sel:[0,1]
	s_and_saveexec_b64 s[0:1], vcc
	s_cbranch_execz .LBB233_4
; %bb.1:
	s_load_dwordx4 s[12:15], s[4:5], 0x8
	s_load_dword s11, s[4:5], 0x18
	s_lshl_b64 s[8:9], s[2:3], 3
	s_waitcnt lgkmcnt(0)
	s_add_u32 s8, s12, s8
	s_addc_u32 s9, s13, s9
	s_load_dwordx2 s[8:9], s[8:9], 0x0
	v_mad_i64_i32 v[2:3], s[12:13], v1, s11, 0
	s_lshl_b64 s[12:13], s[14:15], 4
	v_lshlrev_b64 v[2:3], 4, v[2:3]
	s_waitcnt lgkmcnt(0)
	s_add_u32 s12, s8, s12
	s_addc_u32 s13, s9, s13
	v_mov_b32_e32 v1, s13
	v_add_co_u32_e32 v2, vcc, s12, v2
	v_addc_co_u32_e32 v3, vcc, v1, v3, vcc
	global_load_dwordx4 v[2:5], v[2:3], off
	s_add_i32 s8, s6, s10
	v_lshl_or_b32 v1, s8, 9, v0
	v_cmp_gt_i32_e32 vcc, s7, v1
	s_waitcnt vmcnt(0)
	v_mul_f64 v[6:7], v[4:5], v[4:5]
	v_mul_f64 v[8:9], v[2:3], v[4:5]
	v_fma_f64 v[4:5], v[2:3], v[2:3], -v[6:7]
	v_fma_f64 v[2:3], v[8:9], 2.0, 0
	s_and_saveexec_b64 s[8:9], vcc
	s_cbranch_execz .LBB233_3
; %bb.2:
	v_mad_i64_i32 v[6:7], s[14:15], v1, s11, 0
	v_lshlrev_b64 v[6:7], 4, v[6:7]
	v_mov_b32_e32 v1, s13
	v_add_co_u32_e32 v6, vcc, s12, v6
	v_addc_co_u32_e32 v7, vcc, v1, v7, vcc
	global_load_dwordx4 v[6:9], v[6:7], off
	s_waitcnt vmcnt(0)
	v_mul_f64 v[10:11], v[6:7], v[8:9]
	v_mul_f64 v[8:9], v[8:9], v[8:9]
	v_fma_f64 v[6:7], v[6:7], v[6:7], -v[8:9]
	v_fmac_f64_e32 v[2:3], 2.0, v[10:11]
	v_add_f64 v[4:5], v[4:5], v[6:7]
.LBB233_3:
	s_or_b64 exec, exec, s[8:9]
.LBB233_4:
	s_or_b64 exec, exec, s[0:1]
	v_and_b32_e32 v10, 63, v0
	v_cmp_gt_u32_e32 vcc, 64, v0
	v_lshlrev_b32_e32 v1, 4, v10
	s_and_saveexec_b64 s[0:1], vcc
	s_cbranch_execz .LBB233_6
; %bb.5:
	v_mov_b32_e32 v6, 0
	v_mov_b32_e32 v7, v6
	;; [unrolled: 1-line block ×4, first 2 shown]
	ds_write_b128 v1, v[6:9]
.LBB233_6:
	s_or_b64 exec, exec, s[0:1]
	v_mbcnt_lo_u32_b32 v6, -1, 0
	v_mbcnt_hi_u32_b32 v13, -1, v6
	v_and_b32_e32 v14, 63, v13
	v_cmp_gt_u32_e64 s[0:1], 32, v14
	v_cndmask_b32_e64 v6, 0, 1, s[0:1]
	v_lshlrev_b32_e32 v6, 5, v6
	v_add_lshl_u32 v9, v6, v13, 2
	ds_bpermute_b32 v6, v9, v4
	ds_bpermute_b32 v7, v9, v5
	ds_bpermute_b32 v8, v9, v2
	ds_bpermute_b32 v9, v9, v3
	v_cmp_gt_u32_e64 s[0:1], 48, v14
	s_waitcnt lgkmcnt(0)
	v_add_f64 v[4:5], v[4:5], v[6:7]
	v_cndmask_b32_e64 v6, 0, 1, s[0:1]
	v_lshlrev_b32_e32 v6, 4, v6
	v_add_f64 v[2:3], v[2:3], v[8:9]
	v_add_lshl_u32 v9, v6, v13, 2
	ds_bpermute_b32 v6, v9, v4
	ds_bpermute_b32 v7, v9, v5
	;; [unrolled: 1-line block ×4, first 2 shown]
	v_cmp_gt_u32_e64 s[0:1], 56, v14
	s_barrier
	s_waitcnt lgkmcnt(2)
	v_add_f64 v[4:5], v[4:5], v[6:7]
	v_cndmask_b32_e64 v6, 0, 1, s[0:1]
	v_lshlrev_b32_e32 v6, 3, v6
	s_waitcnt lgkmcnt(0)
	v_add_f64 v[2:3], v[2:3], v[8:9]
	v_add_lshl_u32 v9, v6, v13, 2
	ds_bpermute_b32 v6, v9, v4
	ds_bpermute_b32 v7, v9, v5
	;; [unrolled: 1-line block ×4, first 2 shown]
	v_cmp_gt_u32_e64 s[0:1], 60, v14
	s_waitcnt lgkmcnt(0)
	v_add_f64 v[4:5], v[4:5], v[6:7]
	v_cndmask_b32_e64 v6, 0, 1, s[0:1]
	v_lshlrev_b32_e32 v6, 2, v6
	v_add_f64 v[2:3], v[2:3], v[8:9]
	v_add_lshl_u32 v11, v6, v13, 2
	ds_bpermute_b32 v6, v11, v4
	ds_bpermute_b32 v7, v11, v5
	;; [unrolled: 1-line block ×4, first 2 shown]
	v_cmp_gt_u32_e64 s[0:1], 62, v14
	s_waitcnt lgkmcnt(2)
	v_add_f64 v[4:5], v[4:5], v[6:7]
	s_waitcnt lgkmcnt(0)
	v_add_f64 v[6:7], v[2:3], v[8:9]
	v_cndmask_b32_e64 v2, 0, 1, s[0:1]
	v_lshlrev_b32_e32 v2, 1, v2
	v_add_lshl_u32 v12, v2, v13, 2
	ds_bpermute_b32 v2, v12, v4
	ds_bpermute_b32 v3, v12, v5
	;; [unrolled: 1-line block ×4, first 2 shown]
	v_cmp_ne_u32_e64 s[0:1], 63, v14
	s_waitcnt lgkmcnt(2)
	v_add_f64 v[2:3], v[4:5], v[2:3]
	v_addc_co_u32_e64 v4, s[0:1], 0, v13, s[0:1]
	s_waitcnt lgkmcnt(0)
	v_add_f64 v[6:7], v[6:7], v[8:9]
	v_lshlrev_b32_e32 v13, 2, v4
	ds_bpermute_b32 v4, v13, v2
	ds_bpermute_b32 v5, v13, v3
	;; [unrolled: 1-line block ×4, first 2 shown]
	v_cmp_eq_u32_e64 s[0:1], 0, v10
	s_and_saveexec_b64 s[8:9], s[0:1]
	s_cbranch_execz .LBB233_8
; %bb.7:
	v_lshrrev_b32_e32 v10, 2, v0
	v_and_b32_e32 v10, 0x70, v10
	s_waitcnt lgkmcnt(0)
	v_add_f64 v[6:7], v[6:7], v[8:9]
	v_add_f64 v[4:5], v[2:3], v[4:5]
	ds_write_b128 v10, v[4:7]
.LBB233_8:
	s_or_b64 exec, exec, s[8:9]
	s_waitcnt lgkmcnt(2)
	v_pk_mov_b32 v[4:5], 0, 0
	v_cmp_gt_u32_e64 s[0:1], 8, v0
	v_pk_mov_b32 v[2:3], v[4:5], v[4:5] op_sel:[0,1]
	s_waitcnt lgkmcnt(0)
	s_barrier
	s_and_saveexec_b64 s[8:9], s[0:1]
	s_cbranch_execnz .LBB233_12
; %bb.9:
	s_or_b64 exec, exec, s[8:9]
	s_and_saveexec_b64 s[0:1], vcc
	s_cbranch_execnz .LBB233_13
.LBB233_10:
	s_or_b64 exec, exec, s[0:1]
	v_cmp_eq_u32_e32 vcc, 0, v0
	s_and_saveexec_b64 s[0:1], vcc
	s_cbranch_execnz .LBB233_14
.LBB233_11:
	s_endpgm
.LBB233_12:
	ds_read_b128 v[2:5], v1
	s_or_b64 exec, exec, s[8:9]
	s_and_saveexec_b64 s[0:1], vcc
	s_cbranch_execz .LBB233_10
.LBB233_13:
	s_waitcnt lgkmcnt(0)
	ds_bpermute_b32 v6, v11, v2
	ds_bpermute_b32 v7, v11, v3
	;; [unrolled: 1-line block ×4, first 2 shown]
	s_waitcnt lgkmcnt(2)
	v_add_f64 v[2:3], v[2:3], v[6:7]
	ds_bpermute_b32 v6, v12, v2
	s_waitcnt lgkmcnt(1)
	v_add_f64 v[4:5], v[4:5], v[8:9]
	ds_bpermute_b32 v7, v12, v3
	ds_bpermute_b32 v8, v12, v4
	;; [unrolled: 1-line block ×3, first 2 shown]
	s_waitcnt lgkmcnt(2)
	v_add_f64 v[2:3], v[2:3], v[6:7]
	ds_bpermute_b32 v6, v13, v2
	s_waitcnt lgkmcnt(1)
	v_add_f64 v[4:5], v[4:5], v[8:9]
	ds_bpermute_b32 v7, v13, v3
	ds_bpermute_b32 v8, v13, v4
	;; [unrolled: 1-line block ×3, first 2 shown]
	s_waitcnt lgkmcnt(2)
	v_add_f64 v[2:3], v[2:3], v[6:7]
	s_waitcnt lgkmcnt(0)
	v_add_f64 v[4:5], v[4:5], v[8:9]
	s_or_b64 exec, exec, s[0:1]
	v_cmp_eq_u32_e32 vcc, 0, v0
	s_and_saveexec_b64 s[0:1], vcc
	s_cbranch_execz .LBB233_11
.LBB233_14:
	s_cmp_lg_u32 s10, 1
	s_cbranch_scc0 .LBB233_16
; %bb.15:
	s_load_dwordx2 s[0:1], s[4:5], 0x30
	s_mul_hi_u32 s9, s10, s2
	s_mul_i32 s8, s10, s2
	s_lshl_b64 s[8:9], s[8:9], 4
	s_mov_b32 s7, 0
	s_waitcnt lgkmcnt(0)
	s_add_u32 s8, s0, s8
	s_addc_u32 s9, s1, s9
	s_lshl_b64 s[0:1], s[6:7], 4
	s_add_u32 s0, s8, s0
	s_addc_u32 s1, s9, s1
	s_cbranch_execz .LBB233_17
	s_branch .LBB233_18
.LBB233_16:
                                        ; implicit-def: $sgpr0_sgpr1
.LBB233_17:
	s_load_dwordx2 s[0:1], s[4:5], 0x38
	s_lshl_b64 s[2:3], s[2:3], 4
	s_waitcnt lgkmcnt(0)
	s_add_u32 s0, s0, s2
	s_addc_u32 s1, s1, s3
.LBB233_18:
	v_mov_b32_e32 v0, 0
	s_waitcnt lgkmcnt(0)
	global_store_dwordx4 v0, v[2:5], s[0:1]
	s_endpgm
	.section	.rodata,"a",@progbits
	.p2align	6, 0x0
	.amdhsa_kernel _ZL24rocblas_dot_kernel_magsqIiLb0ELi512ELi2ELb0E19rocblas_complex_numIdEPKPKS1_S1_EviT5_lT_liPT6_PT4_
		.amdhsa_group_segment_fixed_size 1024
		.amdhsa_private_segment_fixed_size 0
		.amdhsa_kernarg_size 320
		.amdhsa_user_sgpr_count 6
		.amdhsa_user_sgpr_private_segment_buffer 1
		.amdhsa_user_sgpr_dispatch_ptr 0
		.amdhsa_user_sgpr_queue_ptr 0
		.amdhsa_user_sgpr_kernarg_segment_ptr 1
		.amdhsa_user_sgpr_dispatch_id 0
		.amdhsa_user_sgpr_flat_scratch_init 0
		.amdhsa_user_sgpr_kernarg_preload_length 0
		.amdhsa_user_sgpr_kernarg_preload_offset 0
		.amdhsa_user_sgpr_private_segment_size 0
		.amdhsa_uses_dynamic_stack 0
		.amdhsa_system_sgpr_private_segment_wavefront_offset 0
		.amdhsa_system_sgpr_workgroup_id_x 1
		.amdhsa_system_sgpr_workgroup_id_y 0
		.amdhsa_system_sgpr_workgroup_id_z 1
		.amdhsa_system_sgpr_workgroup_info 0
		.amdhsa_system_vgpr_workitem_id 0
		.amdhsa_next_free_vgpr 15
		.amdhsa_next_free_sgpr 16
		.amdhsa_accum_offset 16
		.amdhsa_reserve_vcc 1
		.amdhsa_reserve_flat_scratch 0
		.amdhsa_float_round_mode_32 0
		.amdhsa_float_round_mode_16_64 0
		.amdhsa_float_denorm_mode_32 3
		.amdhsa_float_denorm_mode_16_64 3
		.amdhsa_dx10_clamp 1
		.amdhsa_ieee_mode 1
		.amdhsa_fp16_overflow 0
		.amdhsa_tg_split 0
		.amdhsa_exception_fp_ieee_invalid_op 0
		.amdhsa_exception_fp_denorm_src 0
		.amdhsa_exception_fp_ieee_div_zero 0
		.amdhsa_exception_fp_ieee_overflow 0
		.amdhsa_exception_fp_ieee_underflow 0
		.amdhsa_exception_fp_ieee_inexact 0
		.amdhsa_exception_int_div_zero 0
	.end_amdhsa_kernel
	.section	.text._ZL24rocblas_dot_kernel_magsqIiLb0ELi512ELi2ELb0E19rocblas_complex_numIdEPKPKS1_S1_EviT5_lT_liPT6_PT4_,"axG",@progbits,_ZL24rocblas_dot_kernel_magsqIiLb0ELi512ELi2ELb0E19rocblas_complex_numIdEPKPKS1_S1_EviT5_lT_liPT6_PT4_,comdat
.Lfunc_end233:
	.size	_ZL24rocblas_dot_kernel_magsqIiLb0ELi512ELi2ELb0E19rocblas_complex_numIdEPKPKS1_S1_EviT5_lT_liPT6_PT4_, .Lfunc_end233-_ZL24rocblas_dot_kernel_magsqIiLb0ELi512ELi2ELb0E19rocblas_complex_numIdEPKPKS1_S1_EviT5_lT_liPT6_PT4_
                                        ; -- End function
	.section	.AMDGPU.csdata,"",@progbits
; Kernel info:
; codeLenInByte = 1288
; NumSgprs: 20
; NumVgprs: 15
; NumAgprs: 0
; TotalNumVgprs: 15
; ScratchSize: 0
; MemoryBound: 0
; FloatMode: 240
; IeeeMode: 1
; LDSByteSize: 1024 bytes/workgroup (compile time only)
; SGPRBlocks: 2
; VGPRBlocks: 1
; NumSGPRsForWavesPerEU: 20
; NumVGPRsForWavesPerEU: 15
; AccumOffset: 16
; Occupancy: 8
; WaveLimiterHint : 1
; COMPUTE_PGM_RSRC2:SCRATCH_EN: 0
; COMPUTE_PGM_RSRC2:USER_SGPR: 6
; COMPUTE_PGM_RSRC2:TRAP_HANDLER: 0
; COMPUTE_PGM_RSRC2:TGID_X_EN: 1
; COMPUTE_PGM_RSRC2:TGID_Y_EN: 0
; COMPUTE_PGM_RSRC2:TGID_Z_EN: 1
; COMPUTE_PGM_RSRC2:TIDIG_COMP_CNT: 0
; COMPUTE_PGM_RSRC3_GFX90A:ACCUM_OFFSET: 3
; COMPUTE_PGM_RSRC3_GFX90A:TG_SPLIT: 0
	.section	.text._ZL28rocblas_dot_batched_4_kernelIlLi32ELi4ELb0E19rocblas_complex_numIdES1_PKPKS1_EviT5_lT_lS6_lS7_liPT4_,"axG",@progbits,_ZL28rocblas_dot_batched_4_kernelIlLi32ELi4ELb0E19rocblas_complex_numIdES1_PKPKS1_EviT5_lT_lS6_lS7_liPT4_,comdat
	.globl	_ZL28rocblas_dot_batched_4_kernelIlLi32ELi4ELb0E19rocblas_complex_numIdES1_PKPKS1_EviT5_lT_lS6_lS7_liPT4_ ; -- Begin function _ZL28rocblas_dot_batched_4_kernelIlLi32ELi4ELb0E19rocblas_complex_numIdES1_PKPKS1_EviT5_lT_lS6_lS7_liPT4_
	.p2align	8
	.type	_ZL28rocblas_dot_batched_4_kernelIlLi32ELi4ELb0E19rocblas_complex_numIdES1_PKPKS1_EviT5_lT_lS6_lS7_liPT4_,@function
_ZL28rocblas_dot_batched_4_kernelIlLi32ELi4ELb0E19rocblas_complex_numIdES1_PKPKS1_EviT5_lT_lS6_lS7_liPT4_: ; @_ZL28rocblas_dot_batched_4_kernelIlLi32ELi4ELb0E19rocblas_complex_numIdES1_PKPKS1_EviT5_lT_lS6_lS7_liPT4_
; %bb.0:
	s_load_dword s0, s[4:5], 0x48
	v_bfe_u32 v1, v0, 10, 10
	v_lshl_add_u32 v2, s6, 2, v1
	s_waitcnt lgkmcnt(0)
	v_cmp_gt_u32_e32 vcc, s0, v2
	s_and_saveexec_b64 s[0:1], vcc
	s_cbranch_execz .LBB234_7
; %bb.1:
	s_load_dword s14, s[4:5], 0x0
	s_load_dwordx2 s[6:7], s[4:5], 0x50
	v_and_b32_e32 v10, 0x3ff, v0
	v_pk_mov_b32 v[0:1], 0, 0
	v_mov_b32_e32 v3, 0
	s_waitcnt lgkmcnt(0)
	v_cmp_gt_i32_e32 vcc, s14, v10
	v_pk_mov_b32 v[4:5], v[0:1], v[0:1] op_sel:[0,1]
	s_and_saveexec_b64 s[12:13], vcc
	s_cbranch_execz .LBB234_5
; %bb.2:
	s_load_dwordx2 s[16:17], s[4:5], 0x8
	s_load_dwordx2 s[18:19], s[4:5], 0x28
	v_lshlrev_b64 v[0:1], 3, v[2:3]
	s_load_dwordx4 s[0:3], s[4:5], 0x10
	s_load_dwordx4 s[8:11], s[4:5], 0x30
	s_mov_b64 s[4:5], 0
	s_waitcnt lgkmcnt(0)
	v_mov_b32_e32 v6, s17
	v_mov_b32_e32 v5, s19
	v_add_co_u32_e32 v4, vcc, s18, v0
	v_addc_co_u32_e32 v5, vcc, v5, v1, vcc
	global_load_dwordx2 v[4:5], v[4:5], off
	v_add_co_u32_e32 v0, vcc, s16, v0
	v_addc_co_u32_e32 v1, vcc, v6, v1, vcc
	global_load_dwordx2 v[6:7], v[0:1], off
	v_mad_u64_u32 v[8:9], s[16:17], s10, v10, 0
	v_mov_b32_e32 v16, v9
	s_lshl_b64 s[16:17], s[8:9], 4
	s_lshl_b64 s[8:9], s[10:11], 9
	v_mad_u64_u32 v[14:15], s[18:19], s2, v10, 0
	v_mad_u64_u32 v[16:17], s[10:11], s11, v10, v[16:17]
	v_mov_b32_e32 v18, v15
	v_mov_b32_e32 v9, v16
	s_lshl_b64 s[18:19], s[0:1], 4
	s_lshl_b64 s[0:1], s[2:3], 9
	v_mad_u64_u32 v[18:19], s[2:3], s3, v10, v[18:19]
	v_lshlrev_b64 v[8:9], 4, v[8:9]
	v_mov_b32_e32 v20, s17
	v_mov_b32_e32 v15, v18
	v_add_co_u32_e32 v8, vcc, s16, v8
	v_lshlrev_b64 v[14:15], 4, v[14:15]
	v_addc_co_u32_e32 v9, vcc, v9, v20, vcc
	v_mov_b32_e32 v21, s19
	v_add_co_u32_e32 v14, vcc, s18, v14
	v_addc_co_u32_e32 v15, vcc, v15, v21, vcc
	v_pk_mov_b32 v[0:1], 0, 0
	v_mov_b32_e32 v11, v10
	v_mov_b32_e32 v12, s9
	;; [unrolled: 1-line block ×3, first 2 shown]
	s_waitcnt vmcnt(1)
	v_add_co_u32_e32 v4, vcc, v8, v4
	v_addc_co_u32_e32 v5, vcc, v9, v5, vcc
	s_waitcnt vmcnt(0)
	v_add_co_u32_e32 v8, vcc, v14, v6
	v_addc_co_u32_e32 v9, vcc, v15, v7, vcc
	v_add_co_u32_e32 v6, vcc, 8, v4
	v_addc_co_u32_e32 v7, vcc, 0, v5, vcc
	;; [unrolled: 2-line block ×3, first 2 shown]
	v_pk_mov_b32 v[4:5], v[0:1], v[0:1] op_sel:[0,1]
.LBB234_3:                              ; =>This Inner Loop Header: Depth=1
	global_load_dwordx4 v[14:17], v[8:9], off offset:-8
	global_load_dwordx4 v[18:21], v[6:7], off offset:-8
	v_add_co_u32_e32 v6, vcc, s8, v6
	v_addc_co_u32_e32 v7, vcc, v7, v12, vcc
	v_add_co_u32_e32 v8, vcc, s0, v8
	v_add_u32_e32 v11, 32, v11
	v_addc_co_u32_e32 v9, vcc, v9, v13, vcc
	v_cmp_le_i32_e32 vcc, s14, v11
	s_or_b64 s[4:5], vcc, s[4:5]
	s_waitcnt vmcnt(0)
	v_mul_f64 v[22:23], v[16:17], v[20:21]
	v_mul_f64 v[20:21], v[14:15], v[20:21]
	v_fma_f64 v[14:15], v[14:15], v[18:19], -v[22:23]
	v_fmac_f64_e32 v[20:21], v[16:17], v[18:19]
	v_add_f64 v[0:1], v[0:1], v[14:15]
	v_add_f64 v[4:5], v[4:5], v[20:21]
	s_andn2_b64 exec, exec, s[4:5]
	s_cbranch_execnz .LBB234_3
; %bb.4:
	s_or_b64 exec, exec, s[4:5]
.LBB234_5:
	s_or_b64 exec, exec, s[12:13]
	v_mbcnt_lo_u32_b32 v6, -1, 0
	v_mbcnt_hi_u32_b32 v11, -1, v6
	v_and_b32_e32 v12, 63, v11
	v_cmp_gt_u32_e32 vcc, 48, v12
	v_cndmask_b32_e64 v6, 0, 1, vcc
	v_lshlrev_b32_e32 v6, 4, v6
	v_add_lshl_u32 v9, v6, v11, 2
	ds_bpermute_b32 v6, v9, v0
	ds_bpermute_b32 v7, v9, v1
	ds_bpermute_b32 v8, v9, v4
	ds_bpermute_b32 v9, v9, v5
	v_cmp_gt_u32_e32 vcc, 56, v12
	s_waitcnt lgkmcnt(0)
	v_add_f64 v[0:1], v[0:1], v[6:7]
	v_cndmask_b32_e64 v6, 0, 1, vcc
	v_lshlrev_b32_e32 v6, 3, v6
	v_add_f64 v[4:5], v[4:5], v[8:9]
	v_add_lshl_u32 v9, v6, v11, 2
	ds_bpermute_b32 v6, v9, v0
	ds_bpermute_b32 v7, v9, v1
	;; [unrolled: 1-line block ×4, first 2 shown]
	v_cmp_gt_u32_e32 vcc, 60, v12
	s_barrier
	s_waitcnt lgkmcnt(2)
	v_add_f64 v[0:1], v[0:1], v[6:7]
	v_cndmask_b32_e64 v6, 0, 1, vcc
	v_lshlrev_b32_e32 v6, 2, v6
	s_waitcnt lgkmcnt(0)
	v_add_f64 v[4:5], v[4:5], v[8:9]
	v_add_lshl_u32 v9, v6, v11, 2
	ds_bpermute_b32 v6, v9, v0
	ds_bpermute_b32 v7, v9, v1
	;; [unrolled: 1-line block ×4, first 2 shown]
	v_cmp_gt_u32_e32 vcc, 62, v12
	s_waitcnt lgkmcnt(0)
	v_add_f64 v[0:1], v[0:1], v[6:7]
	v_cndmask_b32_e64 v6, 0, 1, vcc
	v_lshlrev_b32_e32 v6, 1, v6
	v_add_f64 v[4:5], v[4:5], v[8:9]
	v_add_lshl_u32 v9, v6, v11, 2
	ds_bpermute_b32 v6, v9, v0
	ds_bpermute_b32 v7, v9, v1
	;; [unrolled: 1-line block ×4, first 2 shown]
	v_cmp_ne_u32_e32 vcc, 63, v12
	s_waitcnt lgkmcnt(2)
	v_add_f64 v[0:1], v[0:1], v[6:7]
	s_waitcnt lgkmcnt(0)
	v_add_f64 v[6:7], v[4:5], v[8:9]
	v_addc_co_u32_e32 v4, vcc, 0, v11, vcc
	v_lshlrev_b32_e32 v9, 2, v4
	ds_bpermute_b32 v4, v9, v0
	ds_bpermute_b32 v5, v9, v1
	;; [unrolled: 1-line block ×4, first 2 shown]
	v_cmp_eq_u32_e32 vcc, 0, v10
	s_and_b64 exec, exec, vcc
	s_cbranch_execz .LBB234_7
; %bb.6:
	v_lshlrev_b64 v[2:3], 4, v[2:3]
	v_mov_b32_e32 v11, s7
	v_add_co_u32_e32 v10, vcc, s6, v2
	v_addc_co_u32_e32 v11, vcc, v11, v3, vcc
	s_waitcnt lgkmcnt(0)
	v_add_f64 v[2:3], v[6:7], v[8:9]
	v_add_f64 v[0:1], v[0:1], v[4:5]
	global_store_dwordx4 v[10:11], v[0:3], off
.LBB234_7:
	s_endpgm
	.section	.rodata,"a",@progbits
	.p2align	6, 0x0
	.amdhsa_kernel _ZL28rocblas_dot_batched_4_kernelIlLi32ELi4ELb0E19rocblas_complex_numIdES1_PKPKS1_EviT5_lT_lS6_lS7_liPT4_
		.amdhsa_group_segment_fixed_size 0
		.amdhsa_private_segment_fixed_size 0
		.amdhsa_kernarg_size 88
		.amdhsa_user_sgpr_count 6
		.amdhsa_user_sgpr_private_segment_buffer 1
		.amdhsa_user_sgpr_dispatch_ptr 0
		.amdhsa_user_sgpr_queue_ptr 0
		.amdhsa_user_sgpr_kernarg_segment_ptr 1
		.amdhsa_user_sgpr_dispatch_id 0
		.amdhsa_user_sgpr_flat_scratch_init 0
		.amdhsa_user_sgpr_kernarg_preload_length 0
		.amdhsa_user_sgpr_kernarg_preload_offset 0
		.amdhsa_user_sgpr_private_segment_size 0
		.amdhsa_uses_dynamic_stack 0
		.amdhsa_system_sgpr_private_segment_wavefront_offset 0
		.amdhsa_system_sgpr_workgroup_id_x 1
		.amdhsa_system_sgpr_workgroup_id_y 0
		.amdhsa_system_sgpr_workgroup_id_z 0
		.amdhsa_system_sgpr_workgroup_info 0
		.amdhsa_system_vgpr_workitem_id 1
		.amdhsa_next_free_vgpr 24
		.amdhsa_next_free_sgpr 20
		.amdhsa_accum_offset 24
		.amdhsa_reserve_vcc 1
		.amdhsa_reserve_flat_scratch 0
		.amdhsa_float_round_mode_32 0
		.amdhsa_float_round_mode_16_64 0
		.amdhsa_float_denorm_mode_32 3
		.amdhsa_float_denorm_mode_16_64 3
		.amdhsa_dx10_clamp 1
		.amdhsa_ieee_mode 1
		.amdhsa_fp16_overflow 0
		.amdhsa_tg_split 0
		.amdhsa_exception_fp_ieee_invalid_op 0
		.amdhsa_exception_fp_denorm_src 0
		.amdhsa_exception_fp_ieee_div_zero 0
		.amdhsa_exception_fp_ieee_overflow 0
		.amdhsa_exception_fp_ieee_underflow 0
		.amdhsa_exception_fp_ieee_inexact 0
		.amdhsa_exception_int_div_zero 0
	.end_amdhsa_kernel
	.section	.text._ZL28rocblas_dot_batched_4_kernelIlLi32ELi4ELb0E19rocblas_complex_numIdES1_PKPKS1_EviT5_lT_lS6_lS7_liPT4_,"axG",@progbits,_ZL28rocblas_dot_batched_4_kernelIlLi32ELi4ELb0E19rocblas_complex_numIdES1_PKPKS1_EviT5_lT_lS6_lS7_liPT4_,comdat
.Lfunc_end234:
	.size	_ZL28rocblas_dot_batched_4_kernelIlLi32ELi4ELb0E19rocblas_complex_numIdES1_PKPKS1_EviT5_lT_lS6_lS7_liPT4_, .Lfunc_end234-_ZL28rocblas_dot_batched_4_kernelIlLi32ELi4ELb0E19rocblas_complex_numIdES1_PKPKS1_EviT5_lT_lS6_lS7_liPT4_
                                        ; -- End function
	.section	.AMDGPU.csdata,"",@progbits
; Kernel info:
; codeLenInByte = 912
; NumSgprs: 24
; NumVgprs: 24
; NumAgprs: 0
; TotalNumVgprs: 24
; ScratchSize: 0
; MemoryBound: 0
; FloatMode: 240
; IeeeMode: 1
; LDSByteSize: 0 bytes/workgroup (compile time only)
; SGPRBlocks: 2
; VGPRBlocks: 2
; NumSGPRsForWavesPerEU: 24
; NumVGPRsForWavesPerEU: 24
; AccumOffset: 24
; Occupancy: 8
; WaveLimiterHint : 0
; COMPUTE_PGM_RSRC2:SCRATCH_EN: 0
; COMPUTE_PGM_RSRC2:USER_SGPR: 6
; COMPUTE_PGM_RSRC2:TRAP_HANDLER: 0
; COMPUTE_PGM_RSRC2:TGID_X_EN: 1
; COMPUTE_PGM_RSRC2:TGID_Y_EN: 0
; COMPUTE_PGM_RSRC2:TGID_Z_EN: 0
; COMPUTE_PGM_RSRC2:TIDIG_COMP_CNT: 1
; COMPUTE_PGM_RSRC3_GFX90A:ACCUM_OFFSET: 5
; COMPUTE_PGM_RSRC3_GFX90A:TG_SPLIT: 0
	.section	.text._ZL28rocblas_dot_batched_4_kernelIlLi64ELi4ELb0E19rocblas_complex_numIdES1_PKPKS1_EviT5_lT_lS6_lS7_liPT4_,"axG",@progbits,_ZL28rocblas_dot_batched_4_kernelIlLi64ELi4ELb0E19rocblas_complex_numIdES1_PKPKS1_EviT5_lT_lS6_lS7_liPT4_,comdat
	.globl	_ZL28rocblas_dot_batched_4_kernelIlLi64ELi4ELb0E19rocblas_complex_numIdES1_PKPKS1_EviT5_lT_lS6_lS7_liPT4_ ; -- Begin function _ZL28rocblas_dot_batched_4_kernelIlLi64ELi4ELb0E19rocblas_complex_numIdES1_PKPKS1_EviT5_lT_lS6_lS7_liPT4_
	.p2align	8
	.type	_ZL28rocblas_dot_batched_4_kernelIlLi64ELi4ELb0E19rocblas_complex_numIdES1_PKPKS1_EviT5_lT_lS6_lS7_liPT4_,@function
_ZL28rocblas_dot_batched_4_kernelIlLi64ELi4ELb0E19rocblas_complex_numIdES1_PKPKS1_EviT5_lT_lS6_lS7_liPT4_: ; @_ZL28rocblas_dot_batched_4_kernelIlLi64ELi4ELb0E19rocblas_complex_numIdES1_PKPKS1_EviT5_lT_lS6_lS7_liPT4_
; %bb.0:
	s_load_dword s0, s[4:5], 0x48
	v_bfe_u32 v1, v0, 10, 10
	v_lshl_add_u32 v2, s6, 2, v1
	s_waitcnt lgkmcnt(0)
	v_cmp_gt_u32_e32 vcc, s0, v2
	s_and_saveexec_b64 s[0:1], vcc
	s_cbranch_execz .LBB235_7
; %bb.1:
	s_load_dword s14, s[4:5], 0x0
	s_load_dwordx2 s[6:7], s[4:5], 0x50
	v_and_b32_e32 v10, 0x3ff, v0
	v_pk_mov_b32 v[0:1], 0, 0
	v_mov_b32_e32 v3, 0
	s_waitcnt lgkmcnt(0)
	v_cmp_gt_i32_e32 vcc, s14, v10
	v_pk_mov_b32 v[4:5], v[0:1], v[0:1] op_sel:[0,1]
	s_and_saveexec_b64 s[12:13], vcc
	s_cbranch_execz .LBB235_5
; %bb.2:
	s_load_dwordx2 s[16:17], s[4:5], 0x8
	s_load_dwordx2 s[18:19], s[4:5], 0x28
	v_lshlrev_b64 v[0:1], 3, v[2:3]
	s_load_dwordx4 s[0:3], s[4:5], 0x10
	s_load_dwordx4 s[8:11], s[4:5], 0x30
	s_mov_b64 s[4:5], 0
	s_waitcnt lgkmcnt(0)
	v_mov_b32_e32 v6, s17
	v_mov_b32_e32 v5, s19
	v_add_co_u32_e32 v4, vcc, s18, v0
	v_addc_co_u32_e32 v5, vcc, v5, v1, vcc
	global_load_dwordx2 v[4:5], v[4:5], off
	v_add_co_u32_e32 v0, vcc, s16, v0
	v_addc_co_u32_e32 v1, vcc, v6, v1, vcc
	global_load_dwordx2 v[6:7], v[0:1], off
	v_mad_u64_u32 v[8:9], s[16:17], s10, v10, 0
	v_mov_b32_e32 v16, v9
	s_lshl_b64 s[16:17], s[8:9], 4
	s_lshl_b64 s[8:9], s[10:11], 10
	v_mad_u64_u32 v[14:15], s[18:19], s2, v10, 0
	v_mad_u64_u32 v[16:17], s[10:11], s11, v10, v[16:17]
	v_mov_b32_e32 v18, v15
	v_mov_b32_e32 v9, v16
	s_lshl_b64 s[18:19], s[0:1], 4
	s_lshl_b64 s[0:1], s[2:3], 10
	v_mad_u64_u32 v[18:19], s[2:3], s3, v10, v[18:19]
	v_lshlrev_b64 v[8:9], 4, v[8:9]
	v_mov_b32_e32 v20, s17
	v_mov_b32_e32 v15, v18
	v_add_co_u32_e32 v8, vcc, s16, v8
	v_lshlrev_b64 v[14:15], 4, v[14:15]
	v_addc_co_u32_e32 v9, vcc, v9, v20, vcc
	v_mov_b32_e32 v21, s19
	v_add_co_u32_e32 v14, vcc, s18, v14
	v_addc_co_u32_e32 v15, vcc, v15, v21, vcc
	v_pk_mov_b32 v[0:1], 0, 0
	v_mov_b32_e32 v11, v10
	v_mov_b32_e32 v12, s9
	;; [unrolled: 1-line block ×3, first 2 shown]
	s_waitcnt vmcnt(1)
	v_add_co_u32_e32 v4, vcc, v8, v4
	v_addc_co_u32_e32 v5, vcc, v9, v5, vcc
	s_waitcnt vmcnt(0)
	v_add_co_u32_e32 v8, vcc, v14, v6
	v_addc_co_u32_e32 v9, vcc, v15, v7, vcc
	v_add_co_u32_e32 v6, vcc, 8, v4
	v_addc_co_u32_e32 v7, vcc, 0, v5, vcc
	;; [unrolled: 2-line block ×3, first 2 shown]
	v_pk_mov_b32 v[4:5], v[0:1], v[0:1] op_sel:[0,1]
.LBB235_3:                              ; =>This Inner Loop Header: Depth=1
	global_load_dwordx4 v[14:17], v[8:9], off offset:-8
	global_load_dwordx4 v[18:21], v[6:7], off offset:-8
	v_add_co_u32_e32 v6, vcc, s8, v6
	v_addc_co_u32_e32 v7, vcc, v7, v12, vcc
	v_add_co_u32_e32 v8, vcc, s0, v8
	v_add_u32_e32 v11, 64, v11
	v_addc_co_u32_e32 v9, vcc, v9, v13, vcc
	v_cmp_le_i32_e32 vcc, s14, v11
	s_or_b64 s[4:5], vcc, s[4:5]
	s_waitcnt vmcnt(0)
	v_mul_f64 v[22:23], v[16:17], v[20:21]
	v_mul_f64 v[20:21], v[14:15], v[20:21]
	v_fma_f64 v[14:15], v[14:15], v[18:19], -v[22:23]
	v_fmac_f64_e32 v[20:21], v[16:17], v[18:19]
	v_add_f64 v[0:1], v[0:1], v[14:15]
	v_add_f64 v[4:5], v[4:5], v[20:21]
	s_andn2_b64 exec, exec, s[4:5]
	s_cbranch_execnz .LBB235_3
; %bb.4:
	s_or_b64 exec, exec, s[4:5]
.LBB235_5:
	s_or_b64 exec, exec, s[12:13]
	v_mbcnt_lo_u32_b32 v6, -1, 0
	v_mbcnt_hi_u32_b32 v11, -1, v6
	v_and_b32_e32 v12, 63, v11
	v_cmp_gt_u32_e32 vcc, 32, v12
	v_cndmask_b32_e64 v6, 0, 1, vcc
	v_lshlrev_b32_e32 v6, 5, v6
	v_add_lshl_u32 v9, v6, v11, 2
	ds_bpermute_b32 v6, v9, v0
	ds_bpermute_b32 v7, v9, v1
	;; [unrolled: 1-line block ×4, first 2 shown]
	v_cmp_gt_u32_e32 vcc, 48, v12
	s_waitcnt lgkmcnt(0)
	v_add_f64 v[0:1], v[0:1], v[6:7]
	v_cndmask_b32_e64 v6, 0, 1, vcc
	v_lshlrev_b32_e32 v6, 4, v6
	v_add_f64 v[4:5], v[4:5], v[8:9]
	v_add_lshl_u32 v9, v6, v11, 2
	ds_bpermute_b32 v6, v9, v0
	ds_bpermute_b32 v7, v9, v1
	;; [unrolled: 1-line block ×4, first 2 shown]
	v_cmp_gt_u32_e32 vcc, 56, v12
	s_barrier
	s_waitcnt lgkmcnt(2)
	v_add_f64 v[0:1], v[0:1], v[6:7]
	v_cndmask_b32_e64 v6, 0, 1, vcc
	v_lshlrev_b32_e32 v6, 3, v6
	s_waitcnt lgkmcnt(0)
	v_add_f64 v[4:5], v[4:5], v[8:9]
	v_add_lshl_u32 v9, v6, v11, 2
	ds_bpermute_b32 v6, v9, v0
	ds_bpermute_b32 v7, v9, v1
	;; [unrolled: 1-line block ×4, first 2 shown]
	v_cmp_gt_u32_e32 vcc, 60, v12
	s_waitcnt lgkmcnt(0)
	v_add_f64 v[0:1], v[0:1], v[6:7]
	v_cndmask_b32_e64 v6, 0, 1, vcc
	v_lshlrev_b32_e32 v6, 2, v6
	v_add_f64 v[4:5], v[4:5], v[8:9]
	v_add_lshl_u32 v9, v6, v11, 2
	ds_bpermute_b32 v6, v9, v0
	ds_bpermute_b32 v7, v9, v1
	;; [unrolled: 1-line block ×4, first 2 shown]
	v_cmp_gt_u32_e32 vcc, 62, v12
	s_waitcnt lgkmcnt(2)
	v_add_f64 v[0:1], v[0:1], v[6:7]
	v_cndmask_b32_e64 v6, 0, 1, vcc
	v_lshlrev_b32_e32 v6, 1, v6
	s_waitcnt lgkmcnt(0)
	v_add_f64 v[4:5], v[4:5], v[8:9]
	v_add_lshl_u32 v9, v6, v11, 2
	ds_bpermute_b32 v6, v9, v0
	ds_bpermute_b32 v7, v9, v1
	;; [unrolled: 1-line block ×4, first 2 shown]
	v_cmp_ne_u32_e32 vcc, 63, v12
	s_waitcnt lgkmcnt(2)
	v_add_f64 v[0:1], v[0:1], v[6:7]
	s_waitcnt lgkmcnt(0)
	v_add_f64 v[6:7], v[4:5], v[8:9]
	v_addc_co_u32_e32 v4, vcc, 0, v11, vcc
	v_lshlrev_b32_e32 v9, 2, v4
	ds_bpermute_b32 v4, v9, v0
	ds_bpermute_b32 v5, v9, v1
	;; [unrolled: 1-line block ×4, first 2 shown]
	v_cmp_eq_u32_e32 vcc, 0, v10
	s_and_b64 exec, exec, vcc
	s_cbranch_execz .LBB235_7
; %bb.6:
	v_lshlrev_b64 v[2:3], 4, v[2:3]
	v_mov_b32_e32 v11, s7
	v_add_co_u32_e32 v10, vcc, s6, v2
	v_addc_co_u32_e32 v11, vcc, v11, v3, vcc
	s_waitcnt lgkmcnt(0)
	v_add_f64 v[2:3], v[6:7], v[8:9]
	v_add_f64 v[0:1], v[0:1], v[4:5]
	global_store_dwordx4 v[10:11], v[0:3], off
.LBB235_7:
	s_endpgm
	.section	.rodata,"a",@progbits
	.p2align	6, 0x0
	.amdhsa_kernel _ZL28rocblas_dot_batched_4_kernelIlLi64ELi4ELb0E19rocblas_complex_numIdES1_PKPKS1_EviT5_lT_lS6_lS7_liPT4_
		.amdhsa_group_segment_fixed_size 0
		.amdhsa_private_segment_fixed_size 0
		.amdhsa_kernarg_size 88
		.amdhsa_user_sgpr_count 6
		.amdhsa_user_sgpr_private_segment_buffer 1
		.amdhsa_user_sgpr_dispatch_ptr 0
		.amdhsa_user_sgpr_queue_ptr 0
		.amdhsa_user_sgpr_kernarg_segment_ptr 1
		.amdhsa_user_sgpr_dispatch_id 0
		.amdhsa_user_sgpr_flat_scratch_init 0
		.amdhsa_user_sgpr_kernarg_preload_length 0
		.amdhsa_user_sgpr_kernarg_preload_offset 0
		.amdhsa_user_sgpr_private_segment_size 0
		.amdhsa_uses_dynamic_stack 0
		.amdhsa_system_sgpr_private_segment_wavefront_offset 0
		.amdhsa_system_sgpr_workgroup_id_x 1
		.amdhsa_system_sgpr_workgroup_id_y 0
		.amdhsa_system_sgpr_workgroup_id_z 0
		.amdhsa_system_sgpr_workgroup_info 0
		.amdhsa_system_vgpr_workitem_id 1
		.amdhsa_next_free_vgpr 24
		.amdhsa_next_free_sgpr 20
		.amdhsa_accum_offset 24
		.amdhsa_reserve_vcc 1
		.amdhsa_reserve_flat_scratch 0
		.amdhsa_float_round_mode_32 0
		.amdhsa_float_round_mode_16_64 0
		.amdhsa_float_denorm_mode_32 3
		.amdhsa_float_denorm_mode_16_64 3
		.amdhsa_dx10_clamp 1
		.amdhsa_ieee_mode 1
		.amdhsa_fp16_overflow 0
		.amdhsa_tg_split 0
		.amdhsa_exception_fp_ieee_invalid_op 0
		.amdhsa_exception_fp_denorm_src 0
		.amdhsa_exception_fp_ieee_div_zero 0
		.amdhsa_exception_fp_ieee_overflow 0
		.amdhsa_exception_fp_ieee_underflow 0
		.amdhsa_exception_fp_ieee_inexact 0
		.amdhsa_exception_int_div_zero 0
	.end_amdhsa_kernel
	.section	.text._ZL28rocblas_dot_batched_4_kernelIlLi64ELi4ELb0E19rocblas_complex_numIdES1_PKPKS1_EviT5_lT_lS6_lS7_liPT4_,"axG",@progbits,_ZL28rocblas_dot_batched_4_kernelIlLi64ELi4ELb0E19rocblas_complex_numIdES1_PKPKS1_EviT5_lT_lS6_lS7_liPT4_,comdat
.Lfunc_end235:
	.size	_ZL28rocblas_dot_batched_4_kernelIlLi64ELi4ELb0E19rocblas_complex_numIdES1_PKPKS1_EviT5_lT_lS6_lS7_liPT4_, .Lfunc_end235-_ZL28rocblas_dot_batched_4_kernelIlLi64ELi4ELb0E19rocblas_complex_numIdES1_PKPKS1_EviT5_lT_lS6_lS7_liPT4_
                                        ; -- End function
	.section	.AMDGPU.csdata,"",@progbits
; Kernel info:
; codeLenInByte = 992
; NumSgprs: 24
; NumVgprs: 24
; NumAgprs: 0
; TotalNumVgprs: 24
; ScratchSize: 0
; MemoryBound: 0
; FloatMode: 240
; IeeeMode: 1
; LDSByteSize: 0 bytes/workgroup (compile time only)
; SGPRBlocks: 2
; VGPRBlocks: 2
; NumSGPRsForWavesPerEU: 24
; NumVGPRsForWavesPerEU: 24
; AccumOffset: 24
; Occupancy: 8
; WaveLimiterHint : 0
; COMPUTE_PGM_RSRC2:SCRATCH_EN: 0
; COMPUTE_PGM_RSRC2:USER_SGPR: 6
; COMPUTE_PGM_RSRC2:TRAP_HANDLER: 0
; COMPUTE_PGM_RSRC2:TGID_X_EN: 1
; COMPUTE_PGM_RSRC2:TGID_Y_EN: 0
; COMPUTE_PGM_RSRC2:TGID_Z_EN: 0
; COMPUTE_PGM_RSRC2:TIDIG_COMP_CNT: 1
; COMPUTE_PGM_RSRC3_GFX90A:ACCUM_OFFSET: 5
; COMPUTE_PGM_RSRC3_GFX90A:TG_SPLIT: 0
	.section	.text._ZL18rocblas_dot_kernelIlLb1ELi1024ELi32ELb0E19rocblas_complex_numIdEPKPKS1_S1_EviT5_lT_lS6_lS7_liPT6_PT4_,"axG",@progbits,_ZL18rocblas_dot_kernelIlLb1ELi1024ELi32ELb0E19rocblas_complex_numIdEPKPKS1_S1_EviT5_lT_lS6_lS7_liPT6_PT4_,comdat
	.globl	_ZL18rocblas_dot_kernelIlLb1ELi1024ELi32ELb0E19rocblas_complex_numIdEPKPKS1_S1_EviT5_lT_lS6_lS7_liPT6_PT4_ ; -- Begin function _ZL18rocblas_dot_kernelIlLb1ELi1024ELi32ELb0E19rocblas_complex_numIdEPKPKS1_S1_EviT5_lT_lS6_lS7_liPT6_PT4_
	.p2align	8
	.type	_ZL18rocblas_dot_kernelIlLb1ELi1024ELi32ELb0E19rocblas_complex_numIdEPKPKS1_S1_EviT5_lT_lS6_lS7_liPT6_PT4_,@function
_ZL18rocblas_dot_kernelIlLb1ELi1024ELi32ELb0E19rocblas_complex_numIdEPKPKS1_S1_EviT5_lT_lS6_lS7_liPT6_PT4_: ; @_ZL18rocblas_dot_kernelIlLb1ELi1024ELi32ELb0E19rocblas_complex_numIdEPKPKS1_S1_EviT5_lT_lS6_lS7_liPT6_PT4_
; %bb.0:
	s_load_dword s16, s[4:5], 0x0
	s_load_dwordx2 s[12:13], s[4:5], 0x58
	v_pk_mov_b32 v[2:3], 0, 0
	s_mov_b32 s6, s7
	s_mov_b32 s7, 0
	s_waitcnt lgkmcnt(0)
	v_cmp_gt_i32_e32 vcc, s16, v0
	v_pk_mov_b32 v[4:5], v[2:3], v[2:3] op_sel:[0,1]
	s_and_saveexec_b64 s[14:15], vcc
	s_cbranch_execz .LBB236_4
; %bb.1:
	s_load_dwordx2 s[18:19], s[4:5], 0x8
	s_load_dwordx4 s[8:11], s[4:5], 0x10
	s_load_dwordx2 s[20:21], s[4:5], 0x28
	s_load_dwordx4 s[0:3], s[4:5], 0x30
	s_lshl_b64 s[22:23], s[6:7], 3
	s_waitcnt lgkmcnt(0)
	s_add_u32 s18, s18, s22
	s_addc_u32 s19, s19, s23
	s_load_dword s17, s[4:5], 0x60
	s_load_dwordx2 s[24:25], s[18:19], 0x0
	s_add_u32 s4, s20, s22
	s_addc_u32 s5, s21, s23
	s_load_dwordx2 s[18:19], s[4:5], 0x0
	v_mad_u64_u32 v[2:3], s[4:5], s10, v0, 0
	v_mov_b32_e32 v4, v3
	v_mad_u64_u32 v[4:5], s[4:5], s11, v0, v[4:5]
	s_waitcnt lgkmcnt(0)
	s_lshl_b32 s17, s17, 10
	s_lshl_b64 s[4:5], s[8:9], 4
	v_mov_b32_e32 v3, v4
	s_add_u32 s4, s24, s4
	v_lshlrev_b64 v[2:3], 4, v[2:3]
	s_addc_u32 s5, s25, s5
	v_mov_b32_e32 v4, s5
	v_add_co_u32_e32 v2, vcc, s4, v2
	v_addc_co_u32_e32 v3, vcc, v4, v3, vcc
	s_ashr_i32 s20, s17, 31
	v_add_co_u32_e32 v6, vcc, 8, v2
	s_mul_i32 s4, s10, s20
	s_mul_hi_u32 s5, s10, s17
	v_addc_co_u32_e32 v7, vcc, 0, v3, vcc
	s_add_i32 s4, s5, s4
	s_mul_i32 s5, s11, s17
	v_mad_u64_u32 v[2:3], s[8:9], s2, v0, 0
	s_add_i32 s5, s4, s5
	s_mul_i32 s4, s10, s17
	v_mov_b32_e32 v4, v3
	s_lshl_b64 s[4:5], s[4:5], 4
	v_mad_u64_u32 v[4:5], s[8:9], s3, v0, v[4:5]
	s_lshl_b64 s[0:1], s[0:1], 4
	v_mov_b32_e32 v3, v4
	s_add_u32 s0, s18, s0
	v_lshlrev_b64 v[2:3], 4, v[2:3]
	s_addc_u32 s1, s19, s1
	v_mov_b32_e32 v4, s1
	v_add_co_u32_e32 v2, vcc, s0, v2
	s_mul_i32 s0, s2, s20
	s_mul_hi_u32 s1, s2, s17
	v_addc_co_u32_e32 v3, vcc, v4, v3, vcc
	s_add_i32 s0, s1, s0
	s_mul_i32 s1, s3, s17
	v_add_co_u32_e32 v8, vcc, 8, v2
	s_add_i32 s1, s0, s1
	s_mul_i32 s0, s2, s17
	v_addc_co_u32_e32 v9, vcc, 0, v3, vcc
	s_lshl_b64 s[8:9], s[0:1], 4
	v_pk_mov_b32 v[2:3], 0, 0
	v_or_b32_e32 v1, s17, v0
	s_mov_b64 s[2:3], 0
	v_mov_b32_e32 v10, s5
	v_mov_b32_e32 v11, s9
	s_mov_b32 s5, s7
	v_pk_mov_b32 v[4:5], v[2:3], v[2:3] op_sel:[0,1]
.LBB236_2:                              ; =>This Inner Loop Header: Depth=1
	global_load_dwordx4 v[12:15], v[8:9], off offset:-8
	global_load_dwordx4 v[16:19], v[6:7], off offset:-8
	v_add_co_u32_e64 v6, s[0:1], s4, v6
	v_addc_co_u32_e64 v7, s[0:1], v7, v10, s[0:1]
	s_add_i32 s9, s5, 1
	v_add_co_u32_e64 v8, s[0:1], s8, v8
	v_addc_co_u32_e64 v9, s[0:1], v9, v11, s[0:1]
	s_cmp_gt_u32 s5, 30
	v_cmp_le_i32_e32 vcc, s16, v1
	s_cselect_b64 s[0:1], -1, 0
	s_or_b64 s[0:1], s[0:1], vcc
	s_and_b64 s[0:1], exec, s[0:1]
	v_add_u32_e32 v1, s17, v1
	s_mov_b32 s5, s9
	s_or_b64 s[2:3], s[0:1], s[2:3]
	s_waitcnt vmcnt(0)
	v_mul_f64 v[20:21], v[14:15], v[18:19]
	v_mul_f64 v[18:19], v[12:13], v[18:19]
	v_fma_f64 v[12:13], v[12:13], v[16:17], -v[20:21]
	v_fmac_f64_e32 v[18:19], v[14:15], v[16:17]
	v_add_f64 v[4:5], v[4:5], v[12:13]
	v_add_f64 v[2:3], v[2:3], v[18:19]
	s_andn2_b64 exec, exec, s[2:3]
	s_cbranch_execnz .LBB236_2
; %bb.3:
	s_or_b64 exec, exec, s[2:3]
.LBB236_4:
	s_or_b64 exec, exec, s[14:15]
	v_and_b32_e32 v13, 63, v0
	v_cmp_gt_u32_e32 vcc, 64, v0
	v_lshlrev_b32_e32 v1, 4, v13
	s_and_saveexec_b64 s[0:1], vcc
	s_cbranch_execz .LBB236_6
; %bb.5:
	v_mov_b32_e32 v6, 0
	v_mov_b32_e32 v7, v6
	;; [unrolled: 1-line block ×4, first 2 shown]
	ds_write_b128 v1, v[6:9]
.LBB236_6:
	s_or_b64 exec, exec, s[0:1]
	v_mbcnt_lo_u32_b32 v6, -1, 0
	v_mbcnt_hi_u32_b32 v14, -1, v6
	v_and_b32_e32 v15, 63, v14
	v_cmp_gt_u32_e64 s[0:1], 32, v15
	v_cndmask_b32_e64 v6, 0, 1, s[0:1]
	v_lshlrev_b32_e32 v6, 5, v6
	v_add_lshl_u32 v9, v6, v14, 2
	ds_bpermute_b32 v6, v9, v4
	ds_bpermute_b32 v7, v9, v5
	;; [unrolled: 1-line block ×4, first 2 shown]
	v_cmp_gt_u32_e64 s[0:1], 48, v15
	s_waitcnt lgkmcnt(0)
	v_add_f64 v[4:5], v[4:5], v[6:7]
	v_cndmask_b32_e64 v6, 0, 1, s[0:1]
	v_lshlrev_b32_e32 v6, 4, v6
	v_add_f64 v[2:3], v[2:3], v[8:9]
	v_add_lshl_u32 v9, v6, v14, 2
	ds_bpermute_b32 v6, v9, v4
	ds_bpermute_b32 v7, v9, v5
	;; [unrolled: 1-line block ×4, first 2 shown]
	v_cmp_gt_u32_e64 s[0:1], 56, v15
	s_barrier
	s_waitcnt lgkmcnt(2)
	v_add_f64 v[4:5], v[4:5], v[6:7]
	v_cndmask_b32_e64 v6, 0, 1, s[0:1]
	v_lshlrev_b32_e32 v6, 3, v6
	v_add_lshl_u32 v10, v6, v14, 2
	ds_bpermute_b32 v6, v10, v4
	ds_bpermute_b32 v7, v10, v5
	s_waitcnt lgkmcnt(2)
	v_add_f64 v[2:3], v[2:3], v[8:9]
	ds_bpermute_b32 v8, v10, v2
	ds_bpermute_b32 v9, v10, v3
	v_cmp_gt_u32_e64 s[0:1], 60, v15
	s_waitcnt lgkmcnt(2)
	v_add_f64 v[4:5], v[4:5], v[6:7]
	v_cndmask_b32_e64 v6, 0, 1, s[0:1]
	v_lshlrev_b32_e32 v6, 2, v6
	s_waitcnt lgkmcnt(0)
	v_add_f64 v[2:3], v[2:3], v[8:9]
	v_add_lshl_u32 v11, v6, v14, 2
	ds_bpermute_b32 v6, v11, v4
	ds_bpermute_b32 v7, v11, v5
	;; [unrolled: 1-line block ×4, first 2 shown]
	v_cmp_gt_u32_e64 s[0:1], 62, v15
	s_waitcnt lgkmcnt(0)
	v_add_f64 v[4:5], v[4:5], v[6:7]
	v_add_f64 v[6:7], v[2:3], v[8:9]
	v_cndmask_b32_e64 v2, 0, 1, s[0:1]
	v_lshlrev_b32_e32 v2, 1, v2
	v_add_lshl_u32 v12, v2, v14, 2
	ds_bpermute_b32 v2, v12, v4
	ds_bpermute_b32 v3, v12, v5
	;; [unrolled: 1-line block ×4, first 2 shown]
	v_cmp_ne_u32_e64 s[0:1], 63, v15
	s_waitcnt lgkmcnt(2)
	v_add_f64 v[2:3], v[4:5], v[2:3]
	v_addc_co_u32_e64 v4, s[0:1], 0, v14, s[0:1]
	s_waitcnt lgkmcnt(0)
	v_add_f64 v[6:7], v[6:7], v[8:9]
	v_lshlrev_b32_e32 v14, 2, v4
	ds_bpermute_b32 v4, v14, v2
	ds_bpermute_b32 v5, v14, v3
	;; [unrolled: 1-line block ×4, first 2 shown]
	v_cmp_eq_u32_e64 s[0:1], 0, v13
	s_and_saveexec_b64 s[2:3], s[0:1]
	s_cbranch_execz .LBB236_8
; %bb.7:
	v_lshrrev_b32_e32 v13, 2, v0
	v_and_b32_e32 v13, 0xf0, v13
	s_waitcnt lgkmcnt(0)
	v_add_f64 v[6:7], v[6:7], v[8:9]
	v_add_f64 v[4:5], v[2:3], v[4:5]
	ds_write_b128 v13, v[4:7]
.LBB236_8:
	s_or_b64 exec, exec, s[2:3]
	s_waitcnt lgkmcnt(2)
	v_pk_mov_b32 v[4:5], 0, 0
	v_cmp_gt_u32_e64 s[0:1], 16, v0
	v_pk_mov_b32 v[2:3], v[4:5], v[4:5] op_sel:[0,1]
	s_waitcnt lgkmcnt(0)
	s_barrier
	s_and_saveexec_b64 s[2:3], s[0:1]
	s_cbranch_execnz .LBB236_12
; %bb.9:
	s_or_b64 exec, exec, s[2:3]
	s_and_saveexec_b64 s[0:1], vcc
	s_cbranch_execnz .LBB236_13
.LBB236_10:
	s_or_b64 exec, exec, s[0:1]
	v_cmp_eq_u32_e32 vcc, 0, v0
	s_and_saveexec_b64 s[0:1], vcc
	s_cbranch_execnz .LBB236_14
.LBB236_11:
	s_endpgm
.LBB236_12:
	ds_read_b128 v[2:5], v1
	s_or_b64 exec, exec, s[2:3]
	s_and_saveexec_b64 s[0:1], vcc
	s_cbranch_execz .LBB236_10
.LBB236_13:
	s_waitcnt lgkmcnt(0)
	ds_bpermute_b32 v6, v10, v2
	ds_bpermute_b32 v7, v10, v3
	;; [unrolled: 1-line block ×4, first 2 shown]
	s_waitcnt lgkmcnt(2)
	v_add_f64 v[2:3], v[2:3], v[6:7]
	ds_bpermute_b32 v6, v11, v2
	s_waitcnt lgkmcnt(1)
	v_add_f64 v[4:5], v[4:5], v[8:9]
	ds_bpermute_b32 v7, v11, v3
	ds_bpermute_b32 v8, v11, v4
	ds_bpermute_b32 v9, v11, v5
	s_waitcnt lgkmcnt(2)
	v_add_f64 v[2:3], v[2:3], v[6:7]
	ds_bpermute_b32 v6, v12, v2
	s_waitcnt lgkmcnt(1)
	v_add_f64 v[4:5], v[4:5], v[8:9]
	ds_bpermute_b32 v7, v12, v3
	ds_bpermute_b32 v8, v12, v4
	ds_bpermute_b32 v9, v12, v5
	;; [unrolled: 8-line block ×3, first 2 shown]
	s_waitcnt lgkmcnt(2)
	v_add_f64 v[2:3], v[2:3], v[6:7]
	s_waitcnt lgkmcnt(0)
	v_add_f64 v[4:5], v[4:5], v[8:9]
	s_or_b64 exec, exec, s[0:1]
	v_cmp_eq_u32_e32 vcc, 0, v0
	s_and_saveexec_b64 s[0:1], vcc
	s_cbranch_execz .LBB236_11
.LBB236_14:
	s_lshl_b64 s[0:1], s[6:7], 4
	s_add_u32 s0, s12, s0
	s_addc_u32 s1, s13, s1
	v_mov_b32_e32 v0, 0
	s_waitcnt lgkmcnt(0)
	global_store_dwordx4 v0, v[2:5], s[0:1]
	s_endpgm
	.section	.rodata,"a",@progbits
	.p2align	6, 0x0
	.amdhsa_kernel _ZL18rocblas_dot_kernelIlLb1ELi1024ELi32ELb0E19rocblas_complex_numIdEPKPKS1_S1_EviT5_lT_lS6_lS7_liPT6_PT4_
		.amdhsa_group_segment_fixed_size 1024
		.amdhsa_private_segment_fixed_size 0
		.amdhsa_kernarg_size 352
		.amdhsa_user_sgpr_count 6
		.amdhsa_user_sgpr_private_segment_buffer 1
		.amdhsa_user_sgpr_dispatch_ptr 0
		.amdhsa_user_sgpr_queue_ptr 0
		.amdhsa_user_sgpr_kernarg_segment_ptr 1
		.amdhsa_user_sgpr_dispatch_id 0
		.amdhsa_user_sgpr_flat_scratch_init 0
		.amdhsa_user_sgpr_kernarg_preload_length 0
		.amdhsa_user_sgpr_kernarg_preload_offset 0
		.amdhsa_user_sgpr_private_segment_size 0
		.amdhsa_uses_dynamic_stack 0
		.amdhsa_system_sgpr_private_segment_wavefront_offset 0
		.amdhsa_system_sgpr_workgroup_id_x 1
		.amdhsa_system_sgpr_workgroup_id_y 0
		.amdhsa_system_sgpr_workgroup_id_z 1
		.amdhsa_system_sgpr_workgroup_info 0
		.amdhsa_system_vgpr_workitem_id 0
		.amdhsa_next_free_vgpr 22
		.amdhsa_next_free_sgpr 26
		.amdhsa_accum_offset 24
		.amdhsa_reserve_vcc 1
		.amdhsa_reserve_flat_scratch 0
		.amdhsa_float_round_mode_32 0
		.amdhsa_float_round_mode_16_64 0
		.amdhsa_float_denorm_mode_32 3
		.amdhsa_float_denorm_mode_16_64 3
		.amdhsa_dx10_clamp 1
		.amdhsa_ieee_mode 1
		.amdhsa_fp16_overflow 0
		.amdhsa_tg_split 0
		.amdhsa_exception_fp_ieee_invalid_op 0
		.amdhsa_exception_fp_denorm_src 0
		.amdhsa_exception_fp_ieee_div_zero 0
		.amdhsa_exception_fp_ieee_overflow 0
		.amdhsa_exception_fp_ieee_underflow 0
		.amdhsa_exception_fp_ieee_inexact 0
		.amdhsa_exception_int_div_zero 0
	.end_amdhsa_kernel
	.section	.text._ZL18rocblas_dot_kernelIlLb1ELi1024ELi32ELb0E19rocblas_complex_numIdEPKPKS1_S1_EviT5_lT_lS6_lS7_liPT6_PT4_,"axG",@progbits,_ZL18rocblas_dot_kernelIlLb1ELi1024ELi32ELb0E19rocblas_complex_numIdEPKPKS1_S1_EviT5_lT_lS6_lS7_liPT6_PT4_,comdat
.Lfunc_end236:
	.size	_ZL18rocblas_dot_kernelIlLb1ELi1024ELi32ELb0E19rocblas_complex_numIdEPKPKS1_S1_EviT5_lT_lS6_lS7_liPT6_PT4_, .Lfunc_end236-_ZL18rocblas_dot_kernelIlLb1ELi1024ELi32ELb0E19rocblas_complex_numIdEPKPKS1_S1_EviT5_lT_lS6_lS7_liPT6_PT4_
                                        ; -- End function
	.section	.AMDGPU.csdata,"",@progbits
; Kernel info:
; codeLenInByte = 1484
; NumSgprs: 30
; NumVgprs: 22
; NumAgprs: 0
; TotalNumVgprs: 22
; ScratchSize: 0
; MemoryBound: 0
; FloatMode: 240
; IeeeMode: 1
; LDSByteSize: 1024 bytes/workgroup (compile time only)
; SGPRBlocks: 3
; VGPRBlocks: 2
; NumSGPRsForWavesPerEU: 30
; NumVGPRsForWavesPerEU: 22
; AccumOffset: 24
; Occupancy: 8
; WaveLimiterHint : 0
; COMPUTE_PGM_RSRC2:SCRATCH_EN: 0
; COMPUTE_PGM_RSRC2:USER_SGPR: 6
; COMPUTE_PGM_RSRC2:TRAP_HANDLER: 0
; COMPUTE_PGM_RSRC2:TGID_X_EN: 1
; COMPUTE_PGM_RSRC2:TGID_Y_EN: 0
; COMPUTE_PGM_RSRC2:TGID_Z_EN: 1
; COMPUTE_PGM_RSRC2:TIDIG_COMP_CNT: 0
; COMPUTE_PGM_RSRC3_GFX90A:ACCUM_OFFSET: 5
; COMPUTE_PGM_RSRC3_GFX90A:TG_SPLIT: 0
	.section	.text._ZL24rocblas_dot_kernel_magsqIlLb1ELi1024ELi32ELb0E19rocblas_complex_numIdEPKPKS1_S1_EviT5_lT_liPT6_PT4_,"axG",@progbits,_ZL24rocblas_dot_kernel_magsqIlLb1ELi1024ELi32ELb0E19rocblas_complex_numIdEPKPKS1_S1_EviT5_lT_liPT6_PT4_,comdat
	.globl	_ZL24rocblas_dot_kernel_magsqIlLb1ELi1024ELi32ELb0E19rocblas_complex_numIdEPKPKS1_S1_EviT5_lT_liPT6_PT4_ ; -- Begin function _ZL24rocblas_dot_kernel_magsqIlLb1ELi1024ELi32ELb0E19rocblas_complex_numIdEPKPKS1_S1_EviT5_lT_liPT6_PT4_
	.p2align	8
	.type	_ZL24rocblas_dot_kernel_magsqIlLb1ELi1024ELi32ELb0E19rocblas_complex_numIdEPKPKS1_S1_EviT5_lT_liPT6_PT4_,@function
_ZL24rocblas_dot_kernel_magsqIlLb1ELi1024ELi32ELb0E19rocblas_complex_numIdEPKPKS1_S1_EviT5_lT_liPT6_PT4_: ; @_ZL24rocblas_dot_kernel_magsqIlLb1ELi1024ELi32ELb0E19rocblas_complex_numIdEPKPKS1_S1_EviT5_lT_liPT6_PT4_
; %bb.0:
	s_mov_b32 s2, s7
	s_load_dword s12, s[4:5], 0x0
	s_load_dwordx2 s[6:7], s[4:5], 0x38
	v_pk_mov_b32 v[2:3], 0, 0
	s_mov_b32 s3, 0
	v_pk_mov_b32 v[4:5], v[2:3], v[2:3] op_sel:[0,1]
	s_waitcnt lgkmcnt(0)
	v_cmp_gt_i32_e32 vcc, s12, v0
	s_and_saveexec_b64 s[8:9], vcc
	s_cbranch_execz .LBB237_4
; %bb.1:
	s_load_dwordx2 s[0:1], s[4:5], 0x8
	s_load_dword s10, s[4:5], 0x40
	s_load_dwordx4 s[16:19], s[4:5], 0x10
	s_lshl_b64 s[4:5], s[2:3], 3
	s_waitcnt lgkmcnt(0)
	s_add_u32 s0, s0, s4
	s_addc_u32 s1, s1, s5
	s_load_dwordx2 s[0:1], s[0:1], 0x0
	v_mad_u64_u32 v[2:3], s[4:5], s18, v0, 0
	v_mov_b32_e32 v4, v3
	v_mad_u64_u32 v[4:5], s[4:5], s19, v0, v[4:5]
	s_lshl_b32 s13, s10, 10
	v_mov_b32_e32 v3, v4
	s_lshl_b64 s[4:5], s[16:17], 4
	v_lshlrev_b64 v[2:3], 4, v[2:3]
	s_waitcnt lgkmcnt(0)
	s_add_u32 s0, s0, s4
	s_addc_u32 s1, s1, s5
	v_add_co_u32_e32 v6, vcc, s0, v2
	s_ashr_i32 s0, s13, 31
	v_mov_b32_e32 v4, s1
	s_mul_i32 s0, s18, s0
	s_mul_hi_u32 s1, s18, s13
	s_add_i32 s0, s1, s0
	s_mul_i32 s1, s19, s13
	s_add_i32 s1, s0, s1
	s_mul_i32 s0, s18, s13
	v_addc_co_u32_e32 v7, vcc, v4, v3, vcc
	s_lshl_b64 s[10:11], s[0:1], 4
	v_pk_mov_b32 v[2:3], 0, 0
	v_or_b32_e32 v1, s13, v0
	s_mov_b64 s[4:5], 0
	v_mov_b32_e32 v8, s11
	s_mov_b32 s11, s3
	v_pk_mov_b32 v[4:5], v[2:3], v[2:3] op_sel:[0,1]
.LBB237_2:                              ; =>This Inner Loop Header: Depth=1
	global_load_dwordx4 v[10:13], v[6:7], off
	s_add_i32 s14, s11, 1
	v_add_co_u32_e64 v6, s[0:1], s10, v6
	v_addc_co_u32_e64 v7, s[0:1], v7, v8, s[0:1]
	s_cmp_gt_u32 s11, 30
	v_cmp_le_i32_e32 vcc, s12, v1
	s_cselect_b64 s[0:1], -1, 0
	s_or_b64 s[0:1], s[0:1], vcc
	s_and_b64 s[0:1], exec, s[0:1]
	v_add_u32_e32 v1, s13, v1
	s_mov_b32 s11, s14
	s_or_b64 s[4:5], s[0:1], s[4:5]
	s_waitcnt vmcnt(0)
	v_mul_f64 v[14:15], v[12:13], v[12:13]
	v_mul_f64 v[12:13], v[10:11], v[12:13]
	v_fma_f64 v[10:11], v[10:11], v[10:11], -v[14:15]
	v_fmac_f64_e32 v[2:3], 2.0, v[12:13]
	v_add_f64 v[4:5], v[4:5], v[10:11]
	s_andn2_b64 exec, exec, s[4:5]
	s_cbranch_execnz .LBB237_2
; %bb.3:
	s_or_b64 exec, exec, s[4:5]
.LBB237_4:
	s_or_b64 exec, exec, s[8:9]
	v_and_b32_e32 v13, 63, v0
	v_cmp_gt_u32_e32 vcc, 64, v0
	v_lshlrev_b32_e32 v1, 4, v13
	s_and_saveexec_b64 s[0:1], vcc
	s_cbranch_execz .LBB237_6
; %bb.5:
	v_mov_b32_e32 v6, 0
	v_mov_b32_e32 v7, v6
	;; [unrolled: 1-line block ×4, first 2 shown]
	ds_write_b128 v1, v[6:9]
.LBB237_6:
	s_or_b64 exec, exec, s[0:1]
	v_mbcnt_lo_u32_b32 v6, -1, 0
	v_mbcnt_hi_u32_b32 v14, -1, v6
	v_and_b32_e32 v15, 63, v14
	v_cmp_gt_u32_e64 s[0:1], 32, v15
	v_cndmask_b32_e64 v6, 0, 1, s[0:1]
	v_lshlrev_b32_e32 v6, 5, v6
	v_add_lshl_u32 v9, v6, v14, 2
	ds_bpermute_b32 v6, v9, v4
	ds_bpermute_b32 v7, v9, v5
	;; [unrolled: 1-line block ×4, first 2 shown]
	v_cmp_gt_u32_e64 s[0:1], 48, v15
	s_waitcnt lgkmcnt(0)
	v_add_f64 v[4:5], v[4:5], v[6:7]
	v_cndmask_b32_e64 v6, 0, 1, s[0:1]
	v_lshlrev_b32_e32 v6, 4, v6
	v_add_f64 v[2:3], v[2:3], v[8:9]
	v_add_lshl_u32 v9, v6, v14, 2
	ds_bpermute_b32 v6, v9, v4
	ds_bpermute_b32 v7, v9, v5
	;; [unrolled: 1-line block ×4, first 2 shown]
	v_cmp_gt_u32_e64 s[0:1], 56, v15
	s_barrier
	s_waitcnt lgkmcnt(2)
	v_add_f64 v[4:5], v[4:5], v[6:7]
	v_cndmask_b32_e64 v6, 0, 1, s[0:1]
	v_lshlrev_b32_e32 v6, 3, v6
	v_add_lshl_u32 v10, v6, v14, 2
	ds_bpermute_b32 v6, v10, v4
	ds_bpermute_b32 v7, v10, v5
	s_waitcnt lgkmcnt(2)
	v_add_f64 v[2:3], v[2:3], v[8:9]
	ds_bpermute_b32 v8, v10, v2
	ds_bpermute_b32 v9, v10, v3
	v_cmp_gt_u32_e64 s[0:1], 60, v15
	s_waitcnt lgkmcnt(2)
	v_add_f64 v[4:5], v[4:5], v[6:7]
	v_cndmask_b32_e64 v6, 0, 1, s[0:1]
	v_lshlrev_b32_e32 v6, 2, v6
	s_waitcnt lgkmcnt(0)
	v_add_f64 v[2:3], v[2:3], v[8:9]
	v_add_lshl_u32 v11, v6, v14, 2
	ds_bpermute_b32 v6, v11, v4
	ds_bpermute_b32 v7, v11, v5
	;; [unrolled: 1-line block ×4, first 2 shown]
	v_cmp_gt_u32_e64 s[0:1], 62, v15
	s_waitcnt lgkmcnt(0)
	v_add_f64 v[4:5], v[4:5], v[6:7]
	v_add_f64 v[6:7], v[2:3], v[8:9]
	v_cndmask_b32_e64 v2, 0, 1, s[0:1]
	v_lshlrev_b32_e32 v2, 1, v2
	v_add_lshl_u32 v12, v2, v14, 2
	ds_bpermute_b32 v2, v12, v4
	ds_bpermute_b32 v3, v12, v5
	;; [unrolled: 1-line block ×4, first 2 shown]
	v_cmp_ne_u32_e64 s[0:1], 63, v15
	s_waitcnt lgkmcnt(2)
	v_add_f64 v[2:3], v[4:5], v[2:3]
	v_addc_co_u32_e64 v4, s[0:1], 0, v14, s[0:1]
	s_waitcnt lgkmcnt(0)
	v_add_f64 v[6:7], v[6:7], v[8:9]
	v_lshlrev_b32_e32 v14, 2, v4
	ds_bpermute_b32 v4, v14, v2
	ds_bpermute_b32 v5, v14, v3
	;; [unrolled: 1-line block ×4, first 2 shown]
	v_cmp_eq_u32_e64 s[0:1], 0, v13
	s_and_saveexec_b64 s[4:5], s[0:1]
	s_cbranch_execz .LBB237_8
; %bb.7:
	v_lshrrev_b32_e32 v13, 2, v0
	v_and_b32_e32 v13, 0xf0, v13
	s_waitcnt lgkmcnt(0)
	v_add_f64 v[6:7], v[6:7], v[8:9]
	v_add_f64 v[4:5], v[2:3], v[4:5]
	ds_write_b128 v13, v[4:7]
.LBB237_8:
	s_or_b64 exec, exec, s[4:5]
	s_waitcnt lgkmcnt(2)
	v_pk_mov_b32 v[4:5], 0, 0
	v_cmp_gt_u32_e64 s[0:1], 16, v0
	v_pk_mov_b32 v[2:3], v[4:5], v[4:5] op_sel:[0,1]
	s_waitcnt lgkmcnt(0)
	s_barrier
	s_and_saveexec_b64 s[4:5], s[0:1]
	s_cbranch_execnz .LBB237_12
; %bb.9:
	s_or_b64 exec, exec, s[4:5]
	s_and_saveexec_b64 s[0:1], vcc
	s_cbranch_execnz .LBB237_13
.LBB237_10:
	s_or_b64 exec, exec, s[0:1]
	v_cmp_eq_u32_e32 vcc, 0, v0
	s_and_saveexec_b64 s[0:1], vcc
	s_cbranch_execnz .LBB237_14
.LBB237_11:
	s_endpgm
.LBB237_12:
	ds_read_b128 v[2:5], v1
	s_or_b64 exec, exec, s[4:5]
	s_and_saveexec_b64 s[0:1], vcc
	s_cbranch_execz .LBB237_10
.LBB237_13:
	s_waitcnt lgkmcnt(0)
	ds_bpermute_b32 v6, v10, v2
	ds_bpermute_b32 v7, v10, v3
	;; [unrolled: 1-line block ×4, first 2 shown]
	s_waitcnt lgkmcnt(2)
	v_add_f64 v[2:3], v[2:3], v[6:7]
	ds_bpermute_b32 v6, v11, v2
	s_waitcnt lgkmcnt(1)
	v_add_f64 v[4:5], v[4:5], v[8:9]
	ds_bpermute_b32 v7, v11, v3
	ds_bpermute_b32 v8, v11, v4
	ds_bpermute_b32 v9, v11, v5
	s_waitcnt lgkmcnt(2)
	v_add_f64 v[2:3], v[2:3], v[6:7]
	ds_bpermute_b32 v6, v12, v2
	s_waitcnt lgkmcnt(1)
	v_add_f64 v[4:5], v[4:5], v[8:9]
	ds_bpermute_b32 v7, v12, v3
	ds_bpermute_b32 v8, v12, v4
	ds_bpermute_b32 v9, v12, v5
	;; [unrolled: 8-line block ×3, first 2 shown]
	s_waitcnt lgkmcnt(2)
	v_add_f64 v[2:3], v[2:3], v[6:7]
	s_waitcnt lgkmcnt(0)
	v_add_f64 v[4:5], v[4:5], v[8:9]
	s_or_b64 exec, exec, s[0:1]
	v_cmp_eq_u32_e32 vcc, 0, v0
	s_and_saveexec_b64 s[0:1], vcc
	s_cbranch_execz .LBB237_11
.LBB237_14:
	s_lshl_b64 s[0:1], s[2:3], 4
	s_add_u32 s0, s6, s0
	s_addc_u32 s1, s7, s1
	v_mov_b32_e32 v0, 0
	s_waitcnt lgkmcnt(0)
	global_store_dwordx4 v0, v[2:5], s[0:1]
	s_endpgm
	.section	.rodata,"a",@progbits
	.p2align	6, 0x0
	.amdhsa_kernel _ZL24rocblas_dot_kernel_magsqIlLb1ELi1024ELi32ELb0E19rocblas_complex_numIdEPKPKS1_S1_EviT5_lT_liPT6_PT4_
		.amdhsa_group_segment_fixed_size 1024
		.amdhsa_private_segment_fixed_size 0
		.amdhsa_kernarg_size 320
		.amdhsa_user_sgpr_count 6
		.amdhsa_user_sgpr_private_segment_buffer 1
		.amdhsa_user_sgpr_dispatch_ptr 0
		.amdhsa_user_sgpr_queue_ptr 0
		.amdhsa_user_sgpr_kernarg_segment_ptr 1
		.amdhsa_user_sgpr_dispatch_id 0
		.amdhsa_user_sgpr_flat_scratch_init 0
		.amdhsa_user_sgpr_kernarg_preload_length 0
		.amdhsa_user_sgpr_kernarg_preload_offset 0
		.amdhsa_user_sgpr_private_segment_size 0
		.amdhsa_uses_dynamic_stack 0
		.amdhsa_system_sgpr_private_segment_wavefront_offset 0
		.amdhsa_system_sgpr_workgroup_id_x 1
		.amdhsa_system_sgpr_workgroup_id_y 0
		.amdhsa_system_sgpr_workgroup_id_z 1
		.amdhsa_system_sgpr_workgroup_info 0
		.amdhsa_system_vgpr_workitem_id 0
		.amdhsa_next_free_vgpr 16
		.amdhsa_next_free_sgpr 20
		.amdhsa_accum_offset 16
		.amdhsa_reserve_vcc 1
		.amdhsa_reserve_flat_scratch 0
		.amdhsa_float_round_mode_32 0
		.amdhsa_float_round_mode_16_64 0
		.amdhsa_float_denorm_mode_32 3
		.amdhsa_float_denorm_mode_16_64 3
		.amdhsa_dx10_clamp 1
		.amdhsa_ieee_mode 1
		.amdhsa_fp16_overflow 0
		.amdhsa_tg_split 0
		.amdhsa_exception_fp_ieee_invalid_op 0
		.amdhsa_exception_fp_denorm_src 0
		.amdhsa_exception_fp_ieee_div_zero 0
		.amdhsa_exception_fp_ieee_overflow 0
		.amdhsa_exception_fp_ieee_underflow 0
		.amdhsa_exception_fp_ieee_inexact 0
		.amdhsa_exception_int_div_zero 0
	.end_amdhsa_kernel
	.section	.text._ZL24rocblas_dot_kernel_magsqIlLb1ELi1024ELi32ELb0E19rocblas_complex_numIdEPKPKS1_S1_EviT5_lT_liPT6_PT4_,"axG",@progbits,_ZL24rocblas_dot_kernel_magsqIlLb1ELi1024ELi32ELb0E19rocblas_complex_numIdEPKPKS1_S1_EviT5_lT_liPT6_PT4_,comdat
.Lfunc_end237:
	.size	_ZL24rocblas_dot_kernel_magsqIlLb1ELi1024ELi32ELb0E19rocblas_complex_numIdEPKPKS1_S1_EviT5_lT_liPT6_PT4_, .Lfunc_end237-_ZL24rocblas_dot_kernel_magsqIlLb1ELi1024ELi32ELb0E19rocblas_complex_numIdEPKPKS1_S1_EviT5_lT_liPT6_PT4_
                                        ; -- End function
	.section	.AMDGPU.csdata,"",@progbits
; Kernel info:
; codeLenInByte = 1316
; NumSgprs: 24
; NumVgprs: 16
; NumAgprs: 0
; TotalNumVgprs: 16
; ScratchSize: 0
; MemoryBound: 0
; FloatMode: 240
; IeeeMode: 1
; LDSByteSize: 1024 bytes/workgroup (compile time only)
; SGPRBlocks: 2
; VGPRBlocks: 1
; NumSGPRsForWavesPerEU: 24
; NumVGPRsForWavesPerEU: 16
; AccumOffset: 16
; Occupancy: 8
; WaveLimiterHint : 0
; COMPUTE_PGM_RSRC2:SCRATCH_EN: 0
; COMPUTE_PGM_RSRC2:USER_SGPR: 6
; COMPUTE_PGM_RSRC2:TRAP_HANDLER: 0
; COMPUTE_PGM_RSRC2:TGID_X_EN: 1
; COMPUTE_PGM_RSRC2:TGID_Y_EN: 0
; COMPUTE_PGM_RSRC2:TGID_Z_EN: 1
; COMPUTE_PGM_RSRC2:TIDIG_COMP_CNT: 0
; COMPUTE_PGM_RSRC3_GFX90A:ACCUM_OFFSET: 3
; COMPUTE_PGM_RSRC3_GFX90A:TG_SPLIT: 0
	.section	.text._ZL38rocblas_dot_kernel_gfx942_float_doubleIlLi1024E19rocblas_complex_numIdEPKPKS1_S1_EviT2_lT_lS6_lS7_lPT3_PT1_,"axG",@progbits,_ZL38rocblas_dot_kernel_gfx942_float_doubleIlLi1024E19rocblas_complex_numIdEPKPKS1_S1_EviT2_lT_lS6_lS7_lPT3_PT1_,comdat
	.globl	_ZL38rocblas_dot_kernel_gfx942_float_doubleIlLi1024E19rocblas_complex_numIdEPKPKS1_S1_EviT2_lT_lS6_lS7_lPT3_PT1_ ; -- Begin function _ZL38rocblas_dot_kernel_gfx942_float_doubleIlLi1024E19rocblas_complex_numIdEPKPKS1_S1_EviT2_lT_lS6_lS7_lPT3_PT1_
	.p2align	8
	.type	_ZL38rocblas_dot_kernel_gfx942_float_doubleIlLi1024E19rocblas_complex_numIdEPKPKS1_S1_EviT2_lT_lS6_lS7_lPT3_PT1_,@function
_ZL38rocblas_dot_kernel_gfx942_float_doubleIlLi1024E19rocblas_complex_numIdEPKPKS1_S1_EviT2_lT_lS6_lS7_lPT3_PT1_: ; @_ZL38rocblas_dot_kernel_gfx942_float_doubleIlLi1024E19rocblas_complex_numIdEPKPKS1_S1_EviT2_lT_lS6_lS7_lPT3_PT1_
; %bb.0:
	s_endpgm
	.section	.rodata,"a",@progbits
	.p2align	6, 0x0
	.amdhsa_kernel _ZL38rocblas_dot_kernel_gfx942_float_doubleIlLi1024E19rocblas_complex_numIdEPKPKS1_S1_EviT2_lT_lS6_lS7_lPT3_PT1_
		.amdhsa_group_segment_fixed_size 0
		.amdhsa_private_segment_fixed_size 0
		.amdhsa_kernarg_size 88
		.amdhsa_user_sgpr_count 6
		.amdhsa_user_sgpr_private_segment_buffer 1
		.amdhsa_user_sgpr_dispatch_ptr 0
		.amdhsa_user_sgpr_queue_ptr 0
		.amdhsa_user_sgpr_kernarg_segment_ptr 1
		.amdhsa_user_sgpr_dispatch_id 0
		.amdhsa_user_sgpr_flat_scratch_init 0
		.amdhsa_user_sgpr_kernarg_preload_length 0
		.amdhsa_user_sgpr_kernarg_preload_offset 0
		.amdhsa_user_sgpr_private_segment_size 0
		.amdhsa_uses_dynamic_stack 0
		.amdhsa_system_sgpr_private_segment_wavefront_offset 0
		.amdhsa_system_sgpr_workgroup_id_x 1
		.amdhsa_system_sgpr_workgroup_id_y 0
		.amdhsa_system_sgpr_workgroup_id_z 0
		.amdhsa_system_sgpr_workgroup_info 0
		.amdhsa_system_vgpr_workitem_id 0
		.amdhsa_next_free_vgpr 1
		.amdhsa_next_free_sgpr 0
		.amdhsa_accum_offset 4
		.amdhsa_reserve_vcc 0
		.amdhsa_reserve_flat_scratch 0
		.amdhsa_float_round_mode_32 0
		.amdhsa_float_round_mode_16_64 0
		.amdhsa_float_denorm_mode_32 3
		.amdhsa_float_denorm_mode_16_64 3
		.amdhsa_dx10_clamp 1
		.amdhsa_ieee_mode 1
		.amdhsa_fp16_overflow 0
		.amdhsa_tg_split 0
		.amdhsa_exception_fp_ieee_invalid_op 0
		.amdhsa_exception_fp_denorm_src 0
		.amdhsa_exception_fp_ieee_div_zero 0
		.amdhsa_exception_fp_ieee_overflow 0
		.amdhsa_exception_fp_ieee_underflow 0
		.amdhsa_exception_fp_ieee_inexact 0
		.amdhsa_exception_int_div_zero 0
	.end_amdhsa_kernel
	.section	.text._ZL38rocblas_dot_kernel_gfx942_float_doubleIlLi1024E19rocblas_complex_numIdEPKPKS1_S1_EviT2_lT_lS6_lS7_lPT3_PT1_,"axG",@progbits,_ZL38rocblas_dot_kernel_gfx942_float_doubleIlLi1024E19rocblas_complex_numIdEPKPKS1_S1_EviT2_lT_lS6_lS7_lPT3_PT1_,comdat
.Lfunc_end238:
	.size	_ZL38rocblas_dot_kernel_gfx942_float_doubleIlLi1024E19rocblas_complex_numIdEPKPKS1_S1_EviT2_lT_lS6_lS7_lPT3_PT1_, .Lfunc_end238-_ZL38rocblas_dot_kernel_gfx942_float_doubleIlLi1024E19rocblas_complex_numIdEPKPKS1_S1_EviT2_lT_lS6_lS7_lPT3_PT1_
                                        ; -- End function
	.section	.AMDGPU.csdata,"",@progbits
; Kernel info:
; codeLenInByte = 4
; NumSgprs: 4
; NumVgprs: 0
; NumAgprs: 0
; TotalNumVgprs: 0
; ScratchSize: 0
; MemoryBound: 0
; FloatMode: 240
; IeeeMode: 1
; LDSByteSize: 0 bytes/workgroup (compile time only)
; SGPRBlocks: 0
; VGPRBlocks: 0
; NumSGPRsForWavesPerEU: 4
; NumVGPRsForWavesPerEU: 1
; AccumOffset: 4
; Occupancy: 8
; WaveLimiterHint : 0
; COMPUTE_PGM_RSRC2:SCRATCH_EN: 0
; COMPUTE_PGM_RSRC2:USER_SGPR: 6
; COMPUTE_PGM_RSRC2:TRAP_HANDLER: 0
; COMPUTE_PGM_RSRC2:TGID_X_EN: 1
; COMPUTE_PGM_RSRC2:TGID_Y_EN: 0
; COMPUTE_PGM_RSRC2:TGID_Z_EN: 0
; COMPUTE_PGM_RSRC2:TIDIG_COMP_CNT: 0
; COMPUTE_PGM_RSRC3_GFX90A:ACCUM_OFFSET: 0
; COMPUTE_PGM_RSRC3_GFX90A:TG_SPLIT: 0
	.section	.text._ZL18rocblas_dot_kernelIlLb0ELi512ELi2ELb0E19rocblas_complex_numIdEPKPKS1_S1_EviT5_lT_lS6_lS7_liPT6_PT4_,"axG",@progbits,_ZL18rocblas_dot_kernelIlLb0ELi512ELi2ELb0E19rocblas_complex_numIdEPKPKS1_S1_EviT5_lT_lS6_lS7_liPT6_PT4_,comdat
	.globl	_ZL18rocblas_dot_kernelIlLb0ELi512ELi2ELb0E19rocblas_complex_numIdEPKPKS1_S1_EviT5_lT_lS6_lS7_liPT6_PT4_ ; -- Begin function _ZL18rocblas_dot_kernelIlLb0ELi512ELi2ELb0E19rocblas_complex_numIdEPKPKS1_S1_EviT5_lT_lS6_lS7_liPT6_PT4_
	.p2align	8
	.type	_ZL18rocblas_dot_kernelIlLb0ELi512ELi2ELb0E19rocblas_complex_numIdEPKPKS1_S1_EviT5_lT_lS6_lS7_liPT6_PT4_,@function
_ZL18rocblas_dot_kernelIlLb0ELi512ELi2ELb0E19rocblas_complex_numIdEPKPKS1_S1_EviT5_lT_lS6_lS7_liPT6_PT4_: ; @_ZL18rocblas_dot_kernelIlLb0ELi512ELi2ELb0E19rocblas_complex_numIdEPKPKS1_S1_EviT5_lT_lS6_lS7_liPT6_PT4_
; %bb.0:
	s_mov_b32 s12, s7
	s_load_dword s7, s[4:5], 0x0
	s_load_dword s16, s[4:5], 0x60
	v_lshl_or_b32 v1, s6, 9, v0
	v_pk_mov_b32 v[4:5], 0, 0
	s_mov_b32 s13, 0
	s_waitcnt lgkmcnt(0)
	v_cmp_gt_i32_e32 vcc, s7, v1
	v_pk_mov_b32 v[2:3], v[4:5], v[4:5] op_sel:[0,1]
	s_and_saveexec_b64 s[14:15], vcc
	s_cbranch_execz .LBB239_4
; %bb.1:
	s_load_dwordx2 s[18:19], s[4:5], 0x8
	s_load_dwordx4 s[0:3], s[4:5], 0x10
	s_load_dwordx2 s[20:21], s[4:5], 0x28
	s_load_dwordx4 s[8:11], s[4:5], 0x30
	s_lshl_b64 s[22:23], s[12:13], 3
	s_waitcnt lgkmcnt(0)
	s_add_u32 s18, s18, s22
	s_addc_u32 s19, s19, s23
	s_load_dwordx2 s[18:19], s[18:19], 0x0
	s_lshl_b64 s[0:1], s[0:1], 4
	v_ashrrev_i32_e32 v4, 31, v1
	v_mul_lo_u32 v5, v1, s11
	v_mul_lo_u32 v6, v4, s10
	s_waitcnt lgkmcnt(0)
	s_add_u32 s17, s18, s0
	s_addc_u32 s18, s19, s1
	s_add_u32 s0, s20, s22
	s_addc_u32 s1, s21, s23
	s_load_dwordx2 s[0:1], s[0:1], 0x0
	v_mad_u64_u32 v[2:3], s[20:21], v1, s10, 0
	s_lshl_b64 s[8:9], s[8:9], 4
	v_add3_u32 v3, v3, v5, v6
	s_waitcnt lgkmcnt(0)
	s_add_u32 s8, s0, s8
	s_addc_u32 s9, s1, s9
	v_lshlrev_b64 v[2:3], 4, v[2:3]
	v_mov_b32_e32 v5, s9
	v_add_co_u32_e32 v10, vcc, s8, v2
	v_addc_co_u32_e32 v11, vcc, v5, v3, vcc
	v_mul_lo_u32 v5, v1, s3
	v_mul_lo_u32 v4, v4, s2
	v_mad_u64_u32 v[2:3], s[0:1], v1, s2, 0
	v_add3_u32 v3, v3, v5, v4
	v_lshlrev_b64 v[2:3], 4, v[2:3]
	v_mov_b32_e32 v1, s18
	v_add_co_u32_e32 v12, vcc, s17, v2
	v_addc_co_u32_e32 v13, vcc, v1, v3, vcc
	global_load_dwordx4 v[2:5], v[12:13], off
	global_load_dwordx4 v[6:9], v[10:11], off
	s_add_i32 s0, s6, s16
	v_lshl_or_b32 v1, s0, 9, v0
	v_cmp_gt_i32_e32 vcc, s7, v1
	s_waitcnt vmcnt(0)
	v_mul_f64 v[10:11], v[8:9], v[4:5]
	v_mul_f64 v[12:13], v[6:7], v[4:5]
	v_fma_f64 v[4:5], v[6:7], v[2:3], -v[10:11]
	v_fmac_f64_e32 v[12:13], v[8:9], v[2:3]
	v_add_f64 v[4:5], v[4:5], 0
	v_add_f64 v[2:3], v[12:13], 0
	s_and_saveexec_b64 s[0:1], vcc
	s_cbranch_execz .LBB239_3
; %bb.2:
	v_ashrrev_i32_e32 v10, 31, v1
	v_mul_lo_u32 v8, v1, s11
	v_mul_lo_u32 v9, v10, s10
	v_mad_u64_u32 v[6:7], s[10:11], v1, s10, 0
	v_add3_u32 v7, v7, v8, v9
	v_lshlrev_b64 v[6:7], 4, v[6:7]
	v_mul_lo_u32 v12, v1, s3
	v_mul_lo_u32 v13, v10, s2
	v_mad_u64_u32 v[10:11], s[2:3], v1, s2, 0
	v_mov_b32_e32 v8, s9
	v_add_co_u32_e32 v6, vcc, s8, v6
	v_add3_u32 v11, v11, v12, v13
	v_addc_co_u32_e32 v7, vcc, v8, v7, vcc
	v_lshlrev_b64 v[10:11], 4, v[10:11]
	v_mov_b32_e32 v1, s18
	v_add_co_u32_e32 v10, vcc, s17, v10
	v_addc_co_u32_e32 v11, vcc, v1, v11, vcc
	global_load_dwordx4 v[6:9], v[6:7], off
	s_nop 0
	global_load_dwordx4 v[10:13], v[10:11], off
	s_waitcnt vmcnt(0)
	v_mul_f64 v[14:15], v[6:7], v[12:13]
	v_mul_f64 v[12:13], v[8:9], v[12:13]
	v_fmac_f64_e32 v[14:15], v[8:9], v[10:11]
	v_fma_f64 v[6:7], v[6:7], v[10:11], -v[12:13]
	v_add_f64 v[2:3], v[2:3], v[14:15]
	v_add_f64 v[4:5], v[4:5], v[6:7]
.LBB239_3:
	s_or_b64 exec, exec, s[0:1]
.LBB239_4:
	s_or_b64 exec, exec, s[14:15]
	v_and_b32_e32 v10, 63, v0
	v_cmp_gt_u32_e32 vcc, 64, v0
	v_lshlrev_b32_e32 v1, 4, v10
	s_and_saveexec_b64 s[0:1], vcc
	s_cbranch_execz .LBB239_6
; %bb.5:
	v_mov_b32_e32 v6, 0
	v_mov_b32_e32 v7, v6
	;; [unrolled: 1-line block ×4, first 2 shown]
	ds_write_b128 v1, v[6:9]
.LBB239_6:
	s_or_b64 exec, exec, s[0:1]
	v_mbcnt_lo_u32_b32 v6, -1, 0
	v_mbcnt_hi_u32_b32 v13, -1, v6
	v_and_b32_e32 v14, 63, v13
	v_cmp_gt_u32_e64 s[0:1], 32, v14
	v_cndmask_b32_e64 v6, 0, 1, s[0:1]
	v_lshlrev_b32_e32 v6, 5, v6
	v_add_lshl_u32 v9, v6, v13, 2
	ds_bpermute_b32 v6, v9, v4
	ds_bpermute_b32 v7, v9, v5
	;; [unrolled: 1-line block ×4, first 2 shown]
	v_cmp_gt_u32_e64 s[0:1], 48, v14
	s_waitcnt lgkmcnt(0)
	v_add_f64 v[4:5], v[4:5], v[6:7]
	v_cndmask_b32_e64 v6, 0, 1, s[0:1]
	v_lshlrev_b32_e32 v6, 4, v6
	v_add_f64 v[2:3], v[2:3], v[8:9]
	v_add_lshl_u32 v9, v6, v13, 2
	ds_bpermute_b32 v6, v9, v4
	ds_bpermute_b32 v7, v9, v5
	;; [unrolled: 1-line block ×4, first 2 shown]
	v_cmp_gt_u32_e64 s[0:1], 56, v14
	s_barrier
	s_waitcnt lgkmcnt(2)
	v_add_f64 v[4:5], v[4:5], v[6:7]
	v_cndmask_b32_e64 v6, 0, 1, s[0:1]
	v_lshlrev_b32_e32 v6, 3, v6
	s_waitcnt lgkmcnt(0)
	v_add_f64 v[2:3], v[2:3], v[8:9]
	v_add_lshl_u32 v9, v6, v13, 2
	ds_bpermute_b32 v6, v9, v4
	ds_bpermute_b32 v7, v9, v5
	;; [unrolled: 1-line block ×4, first 2 shown]
	v_cmp_gt_u32_e64 s[0:1], 60, v14
	s_waitcnt lgkmcnt(0)
	v_add_f64 v[4:5], v[4:5], v[6:7]
	v_cndmask_b32_e64 v6, 0, 1, s[0:1]
	v_lshlrev_b32_e32 v6, 2, v6
	v_add_f64 v[2:3], v[2:3], v[8:9]
	v_add_lshl_u32 v11, v6, v13, 2
	ds_bpermute_b32 v6, v11, v4
	ds_bpermute_b32 v7, v11, v5
	;; [unrolled: 1-line block ×4, first 2 shown]
	v_cmp_gt_u32_e64 s[0:1], 62, v14
	s_waitcnt lgkmcnt(2)
	v_add_f64 v[4:5], v[4:5], v[6:7]
	s_waitcnt lgkmcnt(0)
	v_add_f64 v[6:7], v[2:3], v[8:9]
	v_cndmask_b32_e64 v2, 0, 1, s[0:1]
	v_lshlrev_b32_e32 v2, 1, v2
	v_add_lshl_u32 v12, v2, v13, 2
	ds_bpermute_b32 v2, v12, v4
	ds_bpermute_b32 v3, v12, v5
	;; [unrolled: 1-line block ×4, first 2 shown]
	v_cmp_ne_u32_e64 s[0:1], 63, v14
	s_waitcnt lgkmcnt(2)
	v_add_f64 v[2:3], v[4:5], v[2:3]
	v_addc_co_u32_e64 v4, s[0:1], 0, v13, s[0:1]
	s_waitcnt lgkmcnt(0)
	v_add_f64 v[6:7], v[6:7], v[8:9]
	v_lshlrev_b32_e32 v13, 2, v4
	ds_bpermute_b32 v4, v13, v2
	ds_bpermute_b32 v5, v13, v3
	;; [unrolled: 1-line block ×4, first 2 shown]
	v_cmp_eq_u32_e64 s[0:1], 0, v10
	s_and_saveexec_b64 s[2:3], s[0:1]
	s_cbranch_execz .LBB239_8
; %bb.7:
	v_lshrrev_b32_e32 v10, 2, v0
	v_and_b32_e32 v10, 0x70, v10
	s_waitcnt lgkmcnt(0)
	v_add_f64 v[6:7], v[6:7], v[8:9]
	v_add_f64 v[4:5], v[2:3], v[4:5]
	ds_write_b128 v10, v[4:7]
.LBB239_8:
	s_or_b64 exec, exec, s[2:3]
	s_waitcnt lgkmcnt(2)
	v_pk_mov_b32 v[4:5], 0, 0
	v_cmp_gt_u32_e64 s[0:1], 8, v0
	v_pk_mov_b32 v[2:3], v[4:5], v[4:5] op_sel:[0,1]
	s_waitcnt lgkmcnt(0)
	s_barrier
	s_and_saveexec_b64 s[2:3], s[0:1]
	s_cbranch_execnz .LBB239_12
; %bb.9:
	s_or_b64 exec, exec, s[2:3]
	s_and_saveexec_b64 s[0:1], vcc
	s_cbranch_execnz .LBB239_13
.LBB239_10:
	s_or_b64 exec, exec, s[0:1]
	v_cmp_eq_u32_e32 vcc, 0, v0
	s_and_saveexec_b64 s[0:1], vcc
	s_cbranch_execnz .LBB239_14
.LBB239_11:
	s_endpgm
.LBB239_12:
	ds_read_b128 v[2:5], v1
	s_or_b64 exec, exec, s[2:3]
	s_and_saveexec_b64 s[0:1], vcc
	s_cbranch_execz .LBB239_10
.LBB239_13:
	s_waitcnt lgkmcnt(0)
	ds_bpermute_b32 v6, v11, v2
	ds_bpermute_b32 v7, v11, v3
	;; [unrolled: 1-line block ×4, first 2 shown]
	s_waitcnt lgkmcnt(2)
	v_add_f64 v[2:3], v[2:3], v[6:7]
	ds_bpermute_b32 v6, v12, v2
	s_waitcnt lgkmcnt(1)
	v_add_f64 v[4:5], v[4:5], v[8:9]
	ds_bpermute_b32 v7, v12, v3
	ds_bpermute_b32 v8, v12, v4
	;; [unrolled: 1-line block ×3, first 2 shown]
	s_waitcnt lgkmcnt(2)
	v_add_f64 v[2:3], v[2:3], v[6:7]
	ds_bpermute_b32 v6, v13, v2
	s_waitcnt lgkmcnt(1)
	v_add_f64 v[4:5], v[4:5], v[8:9]
	ds_bpermute_b32 v7, v13, v3
	ds_bpermute_b32 v8, v13, v4
	;; [unrolled: 1-line block ×3, first 2 shown]
	s_waitcnt lgkmcnt(2)
	v_add_f64 v[2:3], v[2:3], v[6:7]
	s_waitcnt lgkmcnt(0)
	v_add_f64 v[4:5], v[4:5], v[8:9]
	s_or_b64 exec, exec, s[0:1]
	v_cmp_eq_u32_e32 vcc, 0, v0
	s_and_saveexec_b64 s[0:1], vcc
	s_cbranch_execz .LBB239_11
.LBB239_14:
	s_cmp_lg_u32 s16, 1
	s_cbranch_scc0 .LBB239_16
; %bb.15:
	s_load_dwordx2 s[0:1], s[4:5], 0x50
	s_mul_hi_u32 s3, s16, s12
	s_mul_i32 s2, s16, s12
	s_lshl_b64 s[2:3], s[2:3], 4
	s_mov_b32 s7, 0
	s_waitcnt lgkmcnt(0)
	s_add_u32 s2, s0, s2
	s_addc_u32 s3, s1, s3
	s_lshl_b64 s[0:1], s[6:7], 4
	s_add_u32 s0, s2, s0
	s_addc_u32 s1, s3, s1
	s_cbranch_execz .LBB239_17
	s_branch .LBB239_18
.LBB239_16:
                                        ; implicit-def: $sgpr0_sgpr1
.LBB239_17:
	s_load_dwordx2 s[0:1], s[4:5], 0x58
	s_lshl_b64 s[2:3], s[12:13], 4
	s_waitcnt lgkmcnt(0)
	s_add_u32 s0, s0, s2
	s_addc_u32 s1, s1, s3
.LBB239_18:
	v_mov_b32_e32 v0, 0
	s_waitcnt lgkmcnt(0)
	global_store_dwordx4 v0, v[2:5], s[0:1]
	s_endpgm
	.section	.rodata,"a",@progbits
	.p2align	6, 0x0
	.amdhsa_kernel _ZL18rocblas_dot_kernelIlLb0ELi512ELi2ELb0E19rocblas_complex_numIdEPKPKS1_S1_EviT5_lT_lS6_lS7_liPT6_PT4_
		.amdhsa_group_segment_fixed_size 1024
		.amdhsa_private_segment_fixed_size 0
		.amdhsa_kernarg_size 352
		.amdhsa_user_sgpr_count 6
		.amdhsa_user_sgpr_private_segment_buffer 1
		.amdhsa_user_sgpr_dispatch_ptr 0
		.amdhsa_user_sgpr_queue_ptr 0
		.amdhsa_user_sgpr_kernarg_segment_ptr 1
		.amdhsa_user_sgpr_dispatch_id 0
		.amdhsa_user_sgpr_flat_scratch_init 0
		.amdhsa_user_sgpr_kernarg_preload_length 0
		.amdhsa_user_sgpr_kernarg_preload_offset 0
		.amdhsa_user_sgpr_private_segment_size 0
		.amdhsa_uses_dynamic_stack 0
		.amdhsa_system_sgpr_private_segment_wavefront_offset 0
		.amdhsa_system_sgpr_workgroup_id_x 1
		.amdhsa_system_sgpr_workgroup_id_y 0
		.amdhsa_system_sgpr_workgroup_id_z 1
		.amdhsa_system_sgpr_workgroup_info 0
		.amdhsa_system_vgpr_workitem_id 0
		.amdhsa_next_free_vgpr 16
		.amdhsa_next_free_sgpr 24
		.amdhsa_accum_offset 16
		.amdhsa_reserve_vcc 1
		.amdhsa_reserve_flat_scratch 0
		.amdhsa_float_round_mode_32 0
		.amdhsa_float_round_mode_16_64 0
		.amdhsa_float_denorm_mode_32 3
		.amdhsa_float_denorm_mode_16_64 3
		.amdhsa_dx10_clamp 1
		.amdhsa_ieee_mode 1
		.amdhsa_fp16_overflow 0
		.amdhsa_tg_split 0
		.amdhsa_exception_fp_ieee_invalid_op 0
		.amdhsa_exception_fp_denorm_src 0
		.amdhsa_exception_fp_ieee_div_zero 0
		.amdhsa_exception_fp_ieee_overflow 0
		.amdhsa_exception_fp_ieee_underflow 0
		.amdhsa_exception_fp_ieee_inexact 0
		.amdhsa_exception_int_div_zero 0
	.end_amdhsa_kernel
	.section	.text._ZL18rocblas_dot_kernelIlLb0ELi512ELi2ELb0E19rocblas_complex_numIdEPKPKS1_S1_EviT5_lT_lS6_lS7_liPT6_PT4_,"axG",@progbits,_ZL18rocblas_dot_kernelIlLb0ELi512ELi2ELb0E19rocblas_complex_numIdEPKPKS1_S1_EviT5_lT_lS6_lS7_liPT6_PT4_,comdat
.Lfunc_end239:
	.size	_ZL18rocblas_dot_kernelIlLb0ELi512ELi2ELb0E19rocblas_complex_numIdEPKPKS1_S1_EviT5_lT_lS6_lS7_liPT6_PT4_, .Lfunc_end239-_ZL18rocblas_dot_kernelIlLb0ELi512ELi2ELb0E19rocblas_complex_numIdEPKPKS1_S1_EviT5_lT_lS6_lS7_liPT6_PT4_
                                        ; -- End function
	.section	.AMDGPU.csdata,"",@progbits
; Kernel info:
; codeLenInByte = 1536
; NumSgprs: 28
; NumVgprs: 16
; NumAgprs: 0
; TotalNumVgprs: 16
; ScratchSize: 0
; MemoryBound: 0
; FloatMode: 240
; IeeeMode: 1
; LDSByteSize: 1024 bytes/workgroup (compile time only)
; SGPRBlocks: 3
; VGPRBlocks: 1
; NumSGPRsForWavesPerEU: 28
; NumVGPRsForWavesPerEU: 16
; AccumOffset: 16
; Occupancy: 8
; WaveLimiterHint : 1
; COMPUTE_PGM_RSRC2:SCRATCH_EN: 0
; COMPUTE_PGM_RSRC2:USER_SGPR: 6
; COMPUTE_PGM_RSRC2:TRAP_HANDLER: 0
; COMPUTE_PGM_RSRC2:TGID_X_EN: 1
; COMPUTE_PGM_RSRC2:TGID_Y_EN: 0
; COMPUTE_PGM_RSRC2:TGID_Z_EN: 1
; COMPUTE_PGM_RSRC2:TIDIG_COMP_CNT: 0
; COMPUTE_PGM_RSRC3_GFX90A:ACCUM_OFFSET: 3
; COMPUTE_PGM_RSRC3_GFX90A:TG_SPLIT: 0
	.section	.text._ZL24rocblas_dot_kernel_magsqIlLb0ELi512ELi2ELb0E19rocblas_complex_numIdEPKPKS1_S1_EviT5_lT_liPT6_PT4_,"axG",@progbits,_ZL24rocblas_dot_kernel_magsqIlLb0ELi512ELi2ELb0E19rocblas_complex_numIdEPKPKS1_S1_EviT5_lT_liPT6_PT4_,comdat
	.globl	_ZL24rocblas_dot_kernel_magsqIlLb0ELi512ELi2ELb0E19rocblas_complex_numIdEPKPKS1_S1_EviT5_lT_liPT6_PT4_ ; -- Begin function _ZL24rocblas_dot_kernel_magsqIlLb0ELi512ELi2ELb0E19rocblas_complex_numIdEPKPKS1_S1_EviT5_lT_liPT6_PT4_
	.p2align	8
	.type	_ZL24rocblas_dot_kernel_magsqIlLb0ELi512ELi2ELb0E19rocblas_complex_numIdEPKPKS1_S1_EviT5_lT_liPT6_PT4_,@function
_ZL24rocblas_dot_kernel_magsqIlLb0ELi512ELi2ELb0E19rocblas_complex_numIdEPKPKS1_S1_EviT5_lT_liPT6_PT4_: ; @_ZL24rocblas_dot_kernel_magsqIlLb0ELi512ELi2ELb0E19rocblas_complex_numIdEPKPKS1_S1_EviT5_lT_liPT6_PT4_
; %bb.0:
	s_mov_b32 s8, s7
	s_load_dword s7, s[4:5], 0x0
	s_load_dword s12, s[4:5], 0x40
	v_lshl_or_b32 v1, s6, 9, v0
	v_pk_mov_b32 v[4:5], 0, 0
	s_mov_b32 s9, 0
	s_waitcnt lgkmcnt(0)
	v_cmp_gt_i32_e32 vcc, s7, v1
	v_pk_mov_b32 v[2:3], v[4:5], v[4:5] op_sel:[0,1]
	s_and_saveexec_b64 s[10:11], vcc
	s_cbranch_execz .LBB240_4
; %bb.1:
	s_load_dwordx2 s[14:15], s[4:5], 0x8
	s_load_dwordx4 s[0:3], s[4:5], 0x10
	s_lshl_b64 s[16:17], s[8:9], 3
	v_ashrrev_i32_e32 v2, 31, v1
	s_waitcnt lgkmcnt(0)
	s_add_u32 s14, s14, s16
	s_addc_u32 s15, s15, s17
	s_load_dwordx2 s[14:15], s[14:15], 0x0
	v_mul_lo_u32 v4, v1, s3
	v_mul_lo_u32 v5, v2, s2
	v_mad_u64_u32 v[2:3], s[16:17], v1, s2, 0
	s_lshl_b64 s[0:1], s[0:1], 4
	s_waitcnt lgkmcnt(0)
	s_add_u32 s13, s14, s0
	v_add3_u32 v3, v3, v4, v5
	s_addc_u32 s14, s15, s1
	v_lshlrev_b64 v[2:3], 4, v[2:3]
	v_mov_b32_e32 v1, s14
	v_add_co_u32_e32 v2, vcc, s13, v2
	v_addc_co_u32_e32 v3, vcc, v1, v3, vcc
	global_load_dwordx4 v[2:5], v[2:3], off
	s_add_i32 s0, s6, s12
	v_lshl_or_b32 v1, s0, 9, v0
	v_cmp_gt_i32_e32 vcc, s7, v1
	s_waitcnt vmcnt(0)
	v_mul_f64 v[6:7], v[4:5], v[4:5]
	v_mul_f64 v[8:9], v[2:3], v[4:5]
	v_fma_f64 v[4:5], v[2:3], v[2:3], -v[6:7]
	v_fma_f64 v[2:3], v[8:9], 2.0, 0
	s_and_saveexec_b64 s[0:1], vcc
	s_cbranch_execz .LBB240_3
; %bb.2:
	v_ashrrev_i32_e32 v6, 31, v1
	v_mul_lo_u32 v8, v1, s3
	v_mul_lo_u32 v9, v6, s2
	v_mad_u64_u32 v[6:7], s[2:3], v1, s2, 0
	v_add3_u32 v7, v7, v8, v9
	v_lshlrev_b64 v[6:7], 4, v[6:7]
	v_mov_b32_e32 v1, s14
	v_add_co_u32_e32 v6, vcc, s13, v6
	v_addc_co_u32_e32 v7, vcc, v1, v7, vcc
	global_load_dwordx4 v[6:9], v[6:7], off
	s_waitcnt vmcnt(0)
	v_mul_f64 v[10:11], v[6:7], v[8:9]
	v_mul_f64 v[8:9], v[8:9], v[8:9]
	v_fma_f64 v[6:7], v[6:7], v[6:7], -v[8:9]
	v_fmac_f64_e32 v[2:3], 2.0, v[10:11]
	v_add_f64 v[4:5], v[4:5], v[6:7]
.LBB240_3:
	s_or_b64 exec, exec, s[0:1]
.LBB240_4:
	s_or_b64 exec, exec, s[10:11]
	v_and_b32_e32 v10, 63, v0
	v_cmp_gt_u32_e32 vcc, 64, v0
	v_lshlrev_b32_e32 v1, 4, v10
	s_and_saveexec_b64 s[0:1], vcc
	s_cbranch_execz .LBB240_6
; %bb.5:
	v_mov_b32_e32 v6, 0
	v_mov_b32_e32 v7, v6
	;; [unrolled: 1-line block ×4, first 2 shown]
	ds_write_b128 v1, v[6:9]
.LBB240_6:
	s_or_b64 exec, exec, s[0:1]
	v_mbcnt_lo_u32_b32 v6, -1, 0
	v_mbcnt_hi_u32_b32 v13, -1, v6
	v_and_b32_e32 v14, 63, v13
	v_cmp_gt_u32_e64 s[0:1], 32, v14
	v_cndmask_b32_e64 v6, 0, 1, s[0:1]
	v_lshlrev_b32_e32 v6, 5, v6
	v_add_lshl_u32 v9, v6, v13, 2
	ds_bpermute_b32 v6, v9, v4
	ds_bpermute_b32 v7, v9, v5
	;; [unrolled: 1-line block ×4, first 2 shown]
	v_cmp_gt_u32_e64 s[0:1], 48, v14
	s_waitcnt lgkmcnt(0)
	v_add_f64 v[4:5], v[4:5], v[6:7]
	v_cndmask_b32_e64 v6, 0, 1, s[0:1]
	v_lshlrev_b32_e32 v6, 4, v6
	v_add_f64 v[2:3], v[2:3], v[8:9]
	v_add_lshl_u32 v9, v6, v13, 2
	ds_bpermute_b32 v6, v9, v4
	ds_bpermute_b32 v7, v9, v5
	;; [unrolled: 1-line block ×4, first 2 shown]
	v_cmp_gt_u32_e64 s[0:1], 56, v14
	s_barrier
	s_waitcnt lgkmcnt(2)
	v_add_f64 v[4:5], v[4:5], v[6:7]
	v_cndmask_b32_e64 v6, 0, 1, s[0:1]
	v_lshlrev_b32_e32 v6, 3, v6
	s_waitcnt lgkmcnt(0)
	v_add_f64 v[2:3], v[2:3], v[8:9]
	v_add_lshl_u32 v9, v6, v13, 2
	ds_bpermute_b32 v6, v9, v4
	ds_bpermute_b32 v7, v9, v5
	;; [unrolled: 1-line block ×4, first 2 shown]
	v_cmp_gt_u32_e64 s[0:1], 60, v14
	s_waitcnt lgkmcnt(0)
	v_add_f64 v[4:5], v[4:5], v[6:7]
	v_cndmask_b32_e64 v6, 0, 1, s[0:1]
	v_lshlrev_b32_e32 v6, 2, v6
	v_add_f64 v[2:3], v[2:3], v[8:9]
	v_add_lshl_u32 v11, v6, v13, 2
	ds_bpermute_b32 v6, v11, v4
	ds_bpermute_b32 v7, v11, v5
	;; [unrolled: 1-line block ×4, first 2 shown]
	v_cmp_gt_u32_e64 s[0:1], 62, v14
	s_waitcnt lgkmcnt(2)
	v_add_f64 v[4:5], v[4:5], v[6:7]
	s_waitcnt lgkmcnt(0)
	v_add_f64 v[6:7], v[2:3], v[8:9]
	v_cndmask_b32_e64 v2, 0, 1, s[0:1]
	v_lshlrev_b32_e32 v2, 1, v2
	v_add_lshl_u32 v12, v2, v13, 2
	ds_bpermute_b32 v2, v12, v4
	ds_bpermute_b32 v3, v12, v5
	;; [unrolled: 1-line block ×4, first 2 shown]
	v_cmp_ne_u32_e64 s[0:1], 63, v14
	s_waitcnt lgkmcnt(2)
	v_add_f64 v[2:3], v[4:5], v[2:3]
	v_addc_co_u32_e64 v4, s[0:1], 0, v13, s[0:1]
	s_waitcnt lgkmcnt(0)
	v_add_f64 v[6:7], v[6:7], v[8:9]
	v_lshlrev_b32_e32 v13, 2, v4
	ds_bpermute_b32 v4, v13, v2
	ds_bpermute_b32 v5, v13, v3
	;; [unrolled: 1-line block ×4, first 2 shown]
	v_cmp_eq_u32_e64 s[0:1], 0, v10
	s_and_saveexec_b64 s[2:3], s[0:1]
	s_cbranch_execz .LBB240_8
; %bb.7:
	v_lshrrev_b32_e32 v10, 2, v0
	v_and_b32_e32 v10, 0x70, v10
	s_waitcnt lgkmcnt(0)
	v_add_f64 v[6:7], v[6:7], v[8:9]
	v_add_f64 v[4:5], v[2:3], v[4:5]
	ds_write_b128 v10, v[4:7]
.LBB240_8:
	s_or_b64 exec, exec, s[2:3]
	s_waitcnt lgkmcnt(2)
	v_pk_mov_b32 v[4:5], 0, 0
	v_cmp_gt_u32_e64 s[0:1], 8, v0
	v_pk_mov_b32 v[2:3], v[4:5], v[4:5] op_sel:[0,1]
	s_waitcnt lgkmcnt(0)
	s_barrier
	s_and_saveexec_b64 s[2:3], s[0:1]
	s_cbranch_execnz .LBB240_12
; %bb.9:
	s_or_b64 exec, exec, s[2:3]
	s_and_saveexec_b64 s[0:1], vcc
	s_cbranch_execnz .LBB240_13
.LBB240_10:
	s_or_b64 exec, exec, s[0:1]
	v_cmp_eq_u32_e32 vcc, 0, v0
	s_and_saveexec_b64 s[0:1], vcc
	s_cbranch_execnz .LBB240_14
.LBB240_11:
	s_endpgm
.LBB240_12:
	ds_read_b128 v[2:5], v1
	s_or_b64 exec, exec, s[2:3]
	s_and_saveexec_b64 s[0:1], vcc
	s_cbranch_execz .LBB240_10
.LBB240_13:
	s_waitcnt lgkmcnt(0)
	ds_bpermute_b32 v6, v11, v2
	ds_bpermute_b32 v7, v11, v3
	;; [unrolled: 1-line block ×4, first 2 shown]
	s_waitcnt lgkmcnt(2)
	v_add_f64 v[2:3], v[2:3], v[6:7]
	ds_bpermute_b32 v6, v12, v2
	s_waitcnt lgkmcnt(1)
	v_add_f64 v[4:5], v[4:5], v[8:9]
	ds_bpermute_b32 v7, v12, v3
	ds_bpermute_b32 v8, v12, v4
	;; [unrolled: 1-line block ×3, first 2 shown]
	s_waitcnt lgkmcnt(2)
	v_add_f64 v[2:3], v[2:3], v[6:7]
	ds_bpermute_b32 v6, v13, v2
	s_waitcnt lgkmcnt(1)
	v_add_f64 v[4:5], v[4:5], v[8:9]
	ds_bpermute_b32 v7, v13, v3
	ds_bpermute_b32 v8, v13, v4
	;; [unrolled: 1-line block ×3, first 2 shown]
	s_waitcnt lgkmcnt(2)
	v_add_f64 v[2:3], v[2:3], v[6:7]
	s_waitcnt lgkmcnt(0)
	v_add_f64 v[4:5], v[4:5], v[8:9]
	s_or_b64 exec, exec, s[0:1]
	v_cmp_eq_u32_e32 vcc, 0, v0
	s_and_saveexec_b64 s[0:1], vcc
	s_cbranch_execz .LBB240_11
.LBB240_14:
	s_cmp_lg_u32 s12, 1
	s_cbranch_scc0 .LBB240_16
; %bb.15:
	s_load_dwordx2 s[0:1], s[4:5], 0x30
	s_mul_hi_u32 s3, s12, s8
	s_mul_i32 s2, s12, s8
	s_lshl_b64 s[2:3], s[2:3], 4
	s_mov_b32 s7, 0
	s_waitcnt lgkmcnt(0)
	s_add_u32 s2, s0, s2
	s_addc_u32 s3, s1, s3
	s_lshl_b64 s[0:1], s[6:7], 4
	s_add_u32 s0, s2, s0
	s_addc_u32 s1, s3, s1
	s_cbranch_execz .LBB240_17
	s_branch .LBB240_18
.LBB240_16:
                                        ; implicit-def: $sgpr0_sgpr1
.LBB240_17:
	s_load_dwordx2 s[0:1], s[4:5], 0x38
	s_lshl_b64 s[2:3], s[8:9], 4
	s_waitcnt lgkmcnt(0)
	s_add_u32 s0, s0, s2
	s_addc_u32 s1, s1, s3
.LBB240_18:
	v_mov_b32_e32 v0, 0
	s_waitcnt lgkmcnt(0)
	global_store_dwordx4 v0, v[2:5], s[0:1]
	s_endpgm
	.section	.rodata,"a",@progbits
	.p2align	6, 0x0
	.amdhsa_kernel _ZL24rocblas_dot_kernel_magsqIlLb0ELi512ELi2ELb0E19rocblas_complex_numIdEPKPKS1_S1_EviT5_lT_liPT6_PT4_
		.amdhsa_group_segment_fixed_size 1024
		.amdhsa_private_segment_fixed_size 0
		.amdhsa_kernarg_size 320
		.amdhsa_user_sgpr_count 6
		.amdhsa_user_sgpr_private_segment_buffer 1
		.amdhsa_user_sgpr_dispatch_ptr 0
		.amdhsa_user_sgpr_queue_ptr 0
		.amdhsa_user_sgpr_kernarg_segment_ptr 1
		.amdhsa_user_sgpr_dispatch_id 0
		.amdhsa_user_sgpr_flat_scratch_init 0
		.amdhsa_user_sgpr_kernarg_preload_length 0
		.amdhsa_user_sgpr_kernarg_preload_offset 0
		.amdhsa_user_sgpr_private_segment_size 0
		.amdhsa_uses_dynamic_stack 0
		.amdhsa_system_sgpr_private_segment_wavefront_offset 0
		.amdhsa_system_sgpr_workgroup_id_x 1
		.amdhsa_system_sgpr_workgroup_id_y 0
		.amdhsa_system_sgpr_workgroup_id_z 1
		.amdhsa_system_sgpr_workgroup_info 0
		.amdhsa_system_vgpr_workitem_id 0
		.amdhsa_next_free_vgpr 15
		.amdhsa_next_free_sgpr 18
		.amdhsa_accum_offset 16
		.amdhsa_reserve_vcc 1
		.amdhsa_reserve_flat_scratch 0
		.amdhsa_float_round_mode_32 0
		.amdhsa_float_round_mode_16_64 0
		.amdhsa_float_denorm_mode_32 3
		.amdhsa_float_denorm_mode_16_64 3
		.amdhsa_dx10_clamp 1
		.amdhsa_ieee_mode 1
		.amdhsa_fp16_overflow 0
		.amdhsa_tg_split 0
		.amdhsa_exception_fp_ieee_invalid_op 0
		.amdhsa_exception_fp_denorm_src 0
		.amdhsa_exception_fp_ieee_div_zero 0
		.amdhsa_exception_fp_ieee_overflow 0
		.amdhsa_exception_fp_ieee_underflow 0
		.amdhsa_exception_fp_ieee_inexact 0
		.amdhsa_exception_int_div_zero 0
	.end_amdhsa_kernel
	.section	.text._ZL24rocblas_dot_kernel_magsqIlLb0ELi512ELi2ELb0E19rocblas_complex_numIdEPKPKS1_S1_EviT5_lT_liPT6_PT4_,"axG",@progbits,_ZL24rocblas_dot_kernel_magsqIlLb0ELi512ELi2ELb0E19rocblas_complex_numIdEPKPKS1_S1_EviT5_lT_liPT6_PT4_,comdat
.Lfunc_end240:
	.size	_ZL24rocblas_dot_kernel_magsqIlLb0ELi512ELi2ELb0E19rocblas_complex_numIdEPKPKS1_S1_EviT5_lT_liPT6_PT4_, .Lfunc_end240-_ZL24rocblas_dot_kernel_magsqIlLb0ELi512ELi2ELb0E19rocblas_complex_numIdEPKPKS1_S1_EviT5_lT_liPT6_PT4_
                                        ; -- End function
	.section	.AMDGPU.csdata,"",@progbits
; Kernel info:
; codeLenInByte = 1344
; NumSgprs: 22
; NumVgprs: 15
; NumAgprs: 0
; TotalNumVgprs: 15
; ScratchSize: 0
; MemoryBound: 0
; FloatMode: 240
; IeeeMode: 1
; LDSByteSize: 1024 bytes/workgroup (compile time only)
; SGPRBlocks: 2
; VGPRBlocks: 1
; NumSGPRsForWavesPerEU: 22
; NumVGPRsForWavesPerEU: 15
; AccumOffset: 16
; Occupancy: 8
; WaveLimiterHint : 1
; COMPUTE_PGM_RSRC2:SCRATCH_EN: 0
; COMPUTE_PGM_RSRC2:USER_SGPR: 6
; COMPUTE_PGM_RSRC2:TRAP_HANDLER: 0
; COMPUTE_PGM_RSRC2:TGID_X_EN: 1
; COMPUTE_PGM_RSRC2:TGID_Y_EN: 0
; COMPUTE_PGM_RSRC2:TGID_Z_EN: 1
; COMPUTE_PGM_RSRC2:TIDIG_COMP_CNT: 0
; COMPUTE_PGM_RSRC3_GFX90A:ACCUM_OFFSET: 3
; COMPUTE_PGM_RSRC3_GFX90A:TG_SPLIT: 0
	.section	.text._ZL28rocblas_dot_batched_4_kernelIiLi32ELi4ELb1E19rocblas_complex_numIfES1_PKPKS1_EviT5_lT_lS6_lS7_liPT4_,"axG",@progbits,_ZL28rocblas_dot_batched_4_kernelIiLi32ELi4ELb1E19rocblas_complex_numIfES1_PKPKS1_EviT5_lT_lS6_lS7_liPT4_,comdat
	.globl	_ZL28rocblas_dot_batched_4_kernelIiLi32ELi4ELb1E19rocblas_complex_numIfES1_PKPKS1_EviT5_lT_lS6_lS7_liPT4_ ; -- Begin function _ZL28rocblas_dot_batched_4_kernelIiLi32ELi4ELb1E19rocblas_complex_numIfES1_PKPKS1_EviT5_lT_lS6_lS7_liPT4_
	.p2align	8
	.type	_ZL28rocblas_dot_batched_4_kernelIiLi32ELi4ELb1E19rocblas_complex_numIfES1_PKPKS1_EviT5_lT_lS6_lS7_liPT4_,@function
_ZL28rocblas_dot_batched_4_kernelIiLi32ELi4ELb1E19rocblas_complex_numIfES1_PKPKS1_EviT5_lT_lS6_lS7_liPT4_: ; @_ZL28rocblas_dot_batched_4_kernelIiLi32ELi4ELb1E19rocblas_complex_numIfES1_PKPKS1_EviT5_lT_lS6_lS7_liPT4_
; %bb.0:
	s_load_dword s0, s[4:5], 0x48
	v_bfe_u32 v1, v0, 10, 10
	v_lshl_add_u32 v2, s6, 2, v1
	s_waitcnt lgkmcnt(0)
	v_cmp_gt_u32_e32 vcc, s0, v2
	s_and_saveexec_b64 s[0:1], vcc
	s_cbranch_execz .LBB241_7
; %bb.1:
	s_load_dword s14, s[4:5], 0x0
	s_load_dwordx2 s[6:7], s[4:5], 0x50
	v_mov_b32_e32 v3, 0
	v_and_b32_e32 v8, 0x3ff, v0
	v_lshlrev_b64 v[0:1], 3, v[2:3]
	s_waitcnt lgkmcnt(0)
	v_cmp_gt_i32_e32 vcc, s14, v8
	v_mov_b32_e32 v2, v3
	s_and_saveexec_b64 s[12:13], vcc
	s_cbranch_execz .LBB241_5
; %bb.2:
	s_load_dwordx4 s[0:3], s[4:5], 0x8
	s_load_dwordx4 s[8:11], s[4:5], 0x28
	s_load_dword s16, s[4:5], 0x18
	v_mov_b32_e32 v9, v8
	s_load_dword s4, s[4:5], 0x38
	s_waitcnt lgkmcnt(0)
	v_mov_b32_e32 v3, s1
	v_add_co_u32_e32 v2, vcc, s0, v0
	v_addc_co_u32_e32 v3, vcc, v3, v1, vcc
	global_load_dwordx2 v[4:5], v[2:3], off
	v_mov_b32_e32 v3, s9
	v_add_co_u32_e32 v2, vcc, s8, v0
	v_addc_co_u32_e32 v3, vcc, v3, v1, vcc
	global_load_dwordx2 v[6:7], v[2:3], off
	v_mad_i64_i32 v[10:11], s[8:9], s16, v8, 0
	s_lshl_b64 s[8:9], s[2:3], 3
	v_lshlrev_b64 v[10:11], 3, v[10:11]
	v_mad_i64_i32 v[12:13], s[2:3], s4, v8, 0
	v_mov_b32_e32 v3, s9
	v_add_co_u32_e32 v15, vcc, s8, v10
	s_lshl_b64 s[10:11], s[10:11], 3
	v_lshlrev_b64 v[12:13], 3, v[12:13]
	v_addc_co_u32_e32 v3, vcc, v11, v3, vcc
	v_mov_b32_e32 v14, s11
	v_add_co_u32_e32 v12, vcc, s10, v12
	v_addc_co_u32_e32 v13, vcc, v13, v14, vcc
	s_ashr_i32 s17, s16, 31
	s_ashr_i32 s5, s4, 31
	v_mov_b32_e32 v2, 0
	s_lshl_b64 s[2:3], s[16:17], 8
	s_lshl_b64 s[4:5], s[4:5], 8
	s_mov_b64 s[0:1], 0
	v_mov_b32_e32 v10, s3
	v_mov_b32_e32 v11, s5
	s_waitcnt vmcnt(1)
	v_add_co_u32_e32 v14, vcc, v15, v4
	v_addc_co_u32_e32 v3, vcc, v3, v5, vcc
	s_waitcnt vmcnt(0)
	v_add_co_u32_e32 v4, vcc, v6, v12
	v_addc_co_u32_e32 v5, vcc, v7, v13, vcc
	v_add_co_u32_e32 v6, vcc, 4, v14
	v_addc_co_u32_e32 v7, vcc, 0, v3, vcc
	v_mov_b32_e32 v3, v2
.LBB241_3:                              ; =>This Inner Loop Header: Depth=1
	global_load_dwordx2 v[12:13], v[6:7], off offset:-4
	global_load_dwordx2 v[14:15], v[4:5], off
	v_add_co_u32_e32 v6, vcc, s2, v6
	v_addc_co_u32_e32 v7, vcc, v7, v10, vcc
	v_add_co_u32_e32 v4, vcc, s4, v4
	v_add_u32_e32 v9, 32, v9
	v_addc_co_u32_e32 v5, vcc, v5, v11, vcc
	v_cmp_le_i32_e32 vcc, s14, v9
	s_or_b64 s[0:1], vcc, s[0:1]
	s_waitcnt vmcnt(0)
	v_pk_mul_f32 v[16:17], v[12:13], v[14:15] op_sel:[1,0]
	v_pk_fma_f32 v[18:19], v[12:13], v[14:15], v[16:17] op_sel:[0,0,1] op_sel_hi:[1,1,0]
	v_pk_fma_f32 v[12:13], v[12:13], v[14:15], v[16:17] op_sel:[0,0,1] op_sel_hi:[0,1,0] neg_lo:[0,0,1] neg_hi:[0,0,1]
	v_mov_b32_e32 v19, v13
	v_pk_add_f32 v[2:3], v[2:3], v[18:19]
	s_andn2_b64 exec, exec, s[0:1]
	s_cbranch_execnz .LBB241_3
; %bb.4:
	s_or_b64 exec, exec, s[0:1]
.LBB241_5:
	s_or_b64 exec, exec, s[12:13]
	v_mbcnt_lo_u32_b32 v4, -1, 0
	v_mbcnt_hi_u32_b32 v6, -1, v4
	v_and_b32_e32 v7, 63, v6
	v_cmp_gt_u32_e32 vcc, 48, v7
	v_cndmask_b32_e64 v4, 0, 1, vcc
	v_lshlrev_b32_e32 v4, 4, v4
	v_add_lshl_u32 v5, v4, v6, 2
	ds_bpermute_b32 v4, v5, v2
	ds_bpermute_b32 v5, v5, v3
	v_cmp_gt_u32_e32 vcc, 56, v7
	v_cndmask_b32_e64 v9, 0, 1, vcc
	v_lshlrev_b32_e32 v9, 3, v9
	v_add_lshl_u32 v9, v9, v6, 2
	s_waitcnt lgkmcnt(0)
	v_pk_add_f32 v[2:3], v[2:3], v[4:5]
	ds_bpermute_b32 v4, v9, v2
	ds_bpermute_b32 v5, v9, v3
	v_cmp_gt_u32_e32 vcc, 60, v7
	v_cndmask_b32_e64 v9, 0, 1, vcc
	v_lshlrev_b32_e32 v9, 2, v9
	v_add_lshl_u32 v9, v9, v6, 2
	s_waitcnt lgkmcnt(0)
	v_pk_add_f32 v[2:3], v[2:3], v[4:5]
	;; [unrolled: 8-line block ×3, first 2 shown]
	ds_bpermute_b32 v4, v9, v2
	ds_bpermute_b32 v5, v9, v3
	v_cmp_ne_u32_e32 vcc, 63, v7
	s_waitcnt lgkmcnt(0)
	s_barrier
	v_pk_add_f32 v[2:3], v[2:3], v[4:5]
	v_addc_co_u32_e32 v4, vcc, 0, v6, vcc
	v_lshlrev_b32_e32 v5, 2, v4
	ds_bpermute_b32 v4, v5, v2
	ds_bpermute_b32 v5, v5, v3
	v_cmp_eq_u32_e32 vcc, 0, v8
	s_and_b64 exec, exec, vcc
	s_cbranch_execz .LBB241_7
; %bb.6:
	v_mov_b32_e32 v6, s7
	v_add_co_u32_e32 v0, vcc, s6, v0
	v_addc_co_u32_e32 v1, vcc, v6, v1, vcc
	s_waitcnt lgkmcnt(0)
	v_pk_add_f32 v[2:3], v[2:3], v[4:5]
	global_store_dwordx2 v[0:1], v[2:3], off
.LBB241_7:
	s_endpgm
	.section	.rodata,"a",@progbits
	.p2align	6, 0x0
	.amdhsa_kernel _ZL28rocblas_dot_batched_4_kernelIiLi32ELi4ELb1E19rocblas_complex_numIfES1_PKPKS1_EviT5_lT_lS6_lS7_liPT4_
		.amdhsa_group_segment_fixed_size 0
		.amdhsa_private_segment_fixed_size 0
		.amdhsa_kernarg_size 88
		.amdhsa_user_sgpr_count 6
		.amdhsa_user_sgpr_private_segment_buffer 1
		.amdhsa_user_sgpr_dispatch_ptr 0
		.amdhsa_user_sgpr_queue_ptr 0
		.amdhsa_user_sgpr_kernarg_segment_ptr 1
		.amdhsa_user_sgpr_dispatch_id 0
		.amdhsa_user_sgpr_flat_scratch_init 0
		.amdhsa_user_sgpr_kernarg_preload_length 0
		.amdhsa_user_sgpr_kernarg_preload_offset 0
		.amdhsa_user_sgpr_private_segment_size 0
		.amdhsa_uses_dynamic_stack 0
		.amdhsa_system_sgpr_private_segment_wavefront_offset 0
		.amdhsa_system_sgpr_workgroup_id_x 1
		.amdhsa_system_sgpr_workgroup_id_y 0
		.amdhsa_system_sgpr_workgroup_id_z 0
		.amdhsa_system_sgpr_workgroup_info 0
		.amdhsa_system_vgpr_workitem_id 1
		.amdhsa_next_free_vgpr 20
		.amdhsa_next_free_sgpr 18
		.amdhsa_accum_offset 20
		.amdhsa_reserve_vcc 1
		.amdhsa_reserve_flat_scratch 0
		.amdhsa_float_round_mode_32 0
		.amdhsa_float_round_mode_16_64 0
		.amdhsa_float_denorm_mode_32 3
		.amdhsa_float_denorm_mode_16_64 3
		.amdhsa_dx10_clamp 1
		.amdhsa_ieee_mode 1
		.amdhsa_fp16_overflow 0
		.amdhsa_tg_split 0
		.amdhsa_exception_fp_ieee_invalid_op 0
		.amdhsa_exception_fp_denorm_src 0
		.amdhsa_exception_fp_ieee_div_zero 0
		.amdhsa_exception_fp_ieee_overflow 0
		.amdhsa_exception_fp_ieee_underflow 0
		.amdhsa_exception_fp_ieee_inexact 0
		.amdhsa_exception_int_div_zero 0
	.end_amdhsa_kernel
	.section	.text._ZL28rocblas_dot_batched_4_kernelIiLi32ELi4ELb1E19rocblas_complex_numIfES1_PKPKS1_EviT5_lT_lS6_lS7_liPT4_,"axG",@progbits,_ZL28rocblas_dot_batched_4_kernelIiLi32ELi4ELb1E19rocblas_complex_numIfES1_PKPKS1_EviT5_lT_lS6_lS7_liPT4_,comdat
.Lfunc_end241:
	.size	_ZL28rocblas_dot_batched_4_kernelIiLi32ELi4ELb1E19rocblas_complex_numIfES1_PKPKS1_EviT5_lT_lS6_lS7_liPT4_, .Lfunc_end241-_ZL28rocblas_dot_batched_4_kernelIiLi32ELi4ELb1E19rocblas_complex_numIfES1_PKPKS1_EviT5_lT_lS6_lS7_liPT4_
                                        ; -- End function
	.section	.AMDGPU.csdata,"",@progbits
; Kernel info:
; codeLenInByte = 716
; NumSgprs: 22
; NumVgprs: 20
; NumAgprs: 0
; TotalNumVgprs: 20
; ScratchSize: 0
; MemoryBound: 0
; FloatMode: 240
; IeeeMode: 1
; LDSByteSize: 0 bytes/workgroup (compile time only)
; SGPRBlocks: 2
; VGPRBlocks: 2
; NumSGPRsForWavesPerEU: 22
; NumVGPRsForWavesPerEU: 20
; AccumOffset: 20
; Occupancy: 8
; WaveLimiterHint : 0
; COMPUTE_PGM_RSRC2:SCRATCH_EN: 0
; COMPUTE_PGM_RSRC2:USER_SGPR: 6
; COMPUTE_PGM_RSRC2:TRAP_HANDLER: 0
; COMPUTE_PGM_RSRC2:TGID_X_EN: 1
; COMPUTE_PGM_RSRC2:TGID_Y_EN: 0
; COMPUTE_PGM_RSRC2:TGID_Z_EN: 0
; COMPUTE_PGM_RSRC2:TIDIG_COMP_CNT: 1
; COMPUTE_PGM_RSRC3_GFX90A:ACCUM_OFFSET: 4
; COMPUTE_PGM_RSRC3_GFX90A:TG_SPLIT: 0
	.section	.text._ZL28rocblas_dot_batched_4_kernelIiLi64ELi4ELb1E19rocblas_complex_numIfES1_PKPKS1_EviT5_lT_lS6_lS7_liPT4_,"axG",@progbits,_ZL28rocblas_dot_batched_4_kernelIiLi64ELi4ELb1E19rocblas_complex_numIfES1_PKPKS1_EviT5_lT_lS6_lS7_liPT4_,comdat
	.globl	_ZL28rocblas_dot_batched_4_kernelIiLi64ELi4ELb1E19rocblas_complex_numIfES1_PKPKS1_EviT5_lT_lS6_lS7_liPT4_ ; -- Begin function _ZL28rocblas_dot_batched_4_kernelIiLi64ELi4ELb1E19rocblas_complex_numIfES1_PKPKS1_EviT5_lT_lS6_lS7_liPT4_
	.p2align	8
	.type	_ZL28rocblas_dot_batched_4_kernelIiLi64ELi4ELb1E19rocblas_complex_numIfES1_PKPKS1_EviT5_lT_lS6_lS7_liPT4_,@function
_ZL28rocblas_dot_batched_4_kernelIiLi64ELi4ELb1E19rocblas_complex_numIfES1_PKPKS1_EviT5_lT_lS6_lS7_liPT4_: ; @_ZL28rocblas_dot_batched_4_kernelIiLi64ELi4ELb1E19rocblas_complex_numIfES1_PKPKS1_EviT5_lT_lS6_lS7_liPT4_
; %bb.0:
	s_load_dword s0, s[4:5], 0x48
	v_bfe_u32 v1, v0, 10, 10
	v_lshl_add_u32 v2, s6, 2, v1
	s_waitcnt lgkmcnt(0)
	v_cmp_gt_u32_e32 vcc, s0, v2
	s_and_saveexec_b64 s[0:1], vcc
	s_cbranch_execz .LBB242_7
; %bb.1:
	s_load_dword s14, s[4:5], 0x0
	s_load_dwordx2 s[6:7], s[4:5], 0x50
	v_mov_b32_e32 v3, 0
	v_and_b32_e32 v8, 0x3ff, v0
	v_lshlrev_b64 v[0:1], 3, v[2:3]
	s_waitcnt lgkmcnt(0)
	v_cmp_gt_i32_e32 vcc, s14, v8
	v_mov_b32_e32 v2, v3
	s_and_saveexec_b64 s[12:13], vcc
	s_cbranch_execz .LBB242_5
; %bb.2:
	s_load_dwordx4 s[0:3], s[4:5], 0x8
	s_load_dwordx4 s[8:11], s[4:5], 0x28
	s_load_dword s16, s[4:5], 0x18
	v_mov_b32_e32 v9, v8
	s_load_dword s4, s[4:5], 0x38
	s_waitcnt lgkmcnt(0)
	v_mov_b32_e32 v3, s1
	v_add_co_u32_e32 v2, vcc, s0, v0
	v_addc_co_u32_e32 v3, vcc, v3, v1, vcc
	global_load_dwordx2 v[4:5], v[2:3], off
	v_mov_b32_e32 v3, s9
	v_add_co_u32_e32 v2, vcc, s8, v0
	v_addc_co_u32_e32 v3, vcc, v3, v1, vcc
	global_load_dwordx2 v[6:7], v[2:3], off
	v_mad_i64_i32 v[10:11], s[8:9], s16, v8, 0
	s_lshl_b64 s[8:9], s[2:3], 3
	v_lshlrev_b64 v[10:11], 3, v[10:11]
	v_mad_i64_i32 v[12:13], s[2:3], s4, v8, 0
	v_mov_b32_e32 v3, s9
	v_add_co_u32_e32 v15, vcc, s8, v10
	s_lshl_b64 s[10:11], s[10:11], 3
	v_lshlrev_b64 v[12:13], 3, v[12:13]
	v_addc_co_u32_e32 v3, vcc, v11, v3, vcc
	v_mov_b32_e32 v14, s11
	v_add_co_u32_e32 v12, vcc, s10, v12
	v_addc_co_u32_e32 v13, vcc, v13, v14, vcc
	s_ashr_i32 s17, s16, 31
	s_ashr_i32 s5, s4, 31
	v_mov_b32_e32 v2, 0
	s_lshl_b64 s[2:3], s[16:17], 9
	s_lshl_b64 s[4:5], s[4:5], 9
	s_mov_b64 s[0:1], 0
	v_mov_b32_e32 v10, s3
	v_mov_b32_e32 v11, s5
	s_waitcnt vmcnt(1)
	v_add_co_u32_e32 v14, vcc, v15, v4
	v_addc_co_u32_e32 v3, vcc, v3, v5, vcc
	s_waitcnt vmcnt(0)
	v_add_co_u32_e32 v4, vcc, v6, v12
	v_addc_co_u32_e32 v5, vcc, v7, v13, vcc
	v_add_co_u32_e32 v6, vcc, 4, v14
	v_addc_co_u32_e32 v7, vcc, 0, v3, vcc
	v_mov_b32_e32 v3, v2
.LBB242_3:                              ; =>This Inner Loop Header: Depth=1
	global_load_dwordx2 v[12:13], v[6:7], off offset:-4
	global_load_dwordx2 v[14:15], v[4:5], off
	v_add_co_u32_e32 v6, vcc, s2, v6
	v_addc_co_u32_e32 v7, vcc, v7, v10, vcc
	v_add_co_u32_e32 v4, vcc, s4, v4
	v_add_u32_e32 v9, 64, v9
	v_addc_co_u32_e32 v5, vcc, v5, v11, vcc
	v_cmp_le_i32_e32 vcc, s14, v9
	s_or_b64 s[0:1], vcc, s[0:1]
	s_waitcnt vmcnt(0)
	v_pk_mul_f32 v[16:17], v[12:13], v[14:15] op_sel:[1,0]
	v_pk_fma_f32 v[18:19], v[12:13], v[14:15], v[16:17] op_sel:[0,0,1] op_sel_hi:[1,1,0]
	v_pk_fma_f32 v[12:13], v[12:13], v[14:15], v[16:17] op_sel:[0,0,1] op_sel_hi:[0,1,0] neg_lo:[0,0,1] neg_hi:[0,0,1]
	v_mov_b32_e32 v19, v13
	v_pk_add_f32 v[2:3], v[2:3], v[18:19]
	s_andn2_b64 exec, exec, s[0:1]
	s_cbranch_execnz .LBB242_3
; %bb.4:
	s_or_b64 exec, exec, s[0:1]
.LBB242_5:
	s_or_b64 exec, exec, s[12:13]
	v_mbcnt_lo_u32_b32 v4, -1, 0
	v_mbcnt_hi_u32_b32 v6, -1, v4
	v_and_b32_e32 v7, 63, v6
	v_cmp_gt_u32_e32 vcc, 32, v7
	v_cndmask_b32_e64 v4, 0, 1, vcc
	v_lshlrev_b32_e32 v4, 5, v4
	v_add_lshl_u32 v5, v4, v6, 2
	ds_bpermute_b32 v4, v5, v2
	ds_bpermute_b32 v5, v5, v3
	v_cmp_gt_u32_e32 vcc, 48, v7
	v_cndmask_b32_e64 v9, 0, 1, vcc
	v_lshlrev_b32_e32 v9, 4, v9
	v_add_lshl_u32 v9, v9, v6, 2
	s_waitcnt lgkmcnt(0)
	v_pk_add_f32 v[2:3], v[2:3], v[4:5]
	ds_bpermute_b32 v4, v9, v2
	ds_bpermute_b32 v5, v9, v3
	v_cmp_gt_u32_e32 vcc, 56, v7
	v_cndmask_b32_e64 v9, 0, 1, vcc
	v_lshlrev_b32_e32 v9, 3, v9
	v_add_lshl_u32 v9, v9, v6, 2
	s_waitcnt lgkmcnt(0)
	v_pk_add_f32 v[2:3], v[2:3], v[4:5]
	;; [unrolled: 8-line block ×4, first 2 shown]
	ds_bpermute_b32 v4, v9, v2
	ds_bpermute_b32 v5, v9, v3
	v_cmp_ne_u32_e32 vcc, 63, v7
	s_waitcnt lgkmcnt(0)
	s_barrier
	v_pk_add_f32 v[2:3], v[2:3], v[4:5]
	v_addc_co_u32_e32 v4, vcc, 0, v6, vcc
	v_lshlrev_b32_e32 v5, 2, v4
	ds_bpermute_b32 v4, v5, v2
	ds_bpermute_b32 v5, v5, v3
	v_cmp_eq_u32_e32 vcc, 0, v8
	s_and_b64 exec, exec, vcc
	s_cbranch_execz .LBB242_7
; %bb.6:
	v_mov_b32_e32 v6, s7
	v_add_co_u32_e32 v0, vcc, s6, v0
	v_addc_co_u32_e32 v1, vcc, v6, v1, vcc
	s_waitcnt lgkmcnt(0)
	v_pk_add_f32 v[2:3], v[2:3], v[4:5]
	global_store_dwordx2 v[0:1], v[2:3], off
.LBB242_7:
	s_endpgm
	.section	.rodata,"a",@progbits
	.p2align	6, 0x0
	.amdhsa_kernel _ZL28rocblas_dot_batched_4_kernelIiLi64ELi4ELb1E19rocblas_complex_numIfES1_PKPKS1_EviT5_lT_lS6_lS7_liPT4_
		.amdhsa_group_segment_fixed_size 0
		.amdhsa_private_segment_fixed_size 0
		.amdhsa_kernarg_size 88
		.amdhsa_user_sgpr_count 6
		.amdhsa_user_sgpr_private_segment_buffer 1
		.amdhsa_user_sgpr_dispatch_ptr 0
		.amdhsa_user_sgpr_queue_ptr 0
		.amdhsa_user_sgpr_kernarg_segment_ptr 1
		.amdhsa_user_sgpr_dispatch_id 0
		.amdhsa_user_sgpr_flat_scratch_init 0
		.amdhsa_user_sgpr_kernarg_preload_length 0
		.amdhsa_user_sgpr_kernarg_preload_offset 0
		.amdhsa_user_sgpr_private_segment_size 0
		.amdhsa_uses_dynamic_stack 0
		.amdhsa_system_sgpr_private_segment_wavefront_offset 0
		.amdhsa_system_sgpr_workgroup_id_x 1
		.amdhsa_system_sgpr_workgroup_id_y 0
		.amdhsa_system_sgpr_workgroup_id_z 0
		.amdhsa_system_sgpr_workgroup_info 0
		.amdhsa_system_vgpr_workitem_id 1
		.amdhsa_next_free_vgpr 20
		.amdhsa_next_free_sgpr 18
		.amdhsa_accum_offset 20
		.amdhsa_reserve_vcc 1
		.amdhsa_reserve_flat_scratch 0
		.amdhsa_float_round_mode_32 0
		.amdhsa_float_round_mode_16_64 0
		.amdhsa_float_denorm_mode_32 3
		.amdhsa_float_denorm_mode_16_64 3
		.amdhsa_dx10_clamp 1
		.amdhsa_ieee_mode 1
		.amdhsa_fp16_overflow 0
		.amdhsa_tg_split 0
		.amdhsa_exception_fp_ieee_invalid_op 0
		.amdhsa_exception_fp_denorm_src 0
		.amdhsa_exception_fp_ieee_div_zero 0
		.amdhsa_exception_fp_ieee_overflow 0
		.amdhsa_exception_fp_ieee_underflow 0
		.amdhsa_exception_fp_ieee_inexact 0
		.amdhsa_exception_int_div_zero 0
	.end_amdhsa_kernel
	.section	.text._ZL28rocblas_dot_batched_4_kernelIiLi64ELi4ELb1E19rocblas_complex_numIfES1_PKPKS1_EviT5_lT_lS6_lS7_liPT4_,"axG",@progbits,_ZL28rocblas_dot_batched_4_kernelIiLi64ELi4ELb1E19rocblas_complex_numIfES1_PKPKS1_EviT5_lT_lS6_lS7_liPT4_,comdat
.Lfunc_end242:
	.size	_ZL28rocblas_dot_batched_4_kernelIiLi64ELi4ELb1E19rocblas_complex_numIfES1_PKPKS1_EviT5_lT_lS6_lS7_liPT4_, .Lfunc_end242-_ZL28rocblas_dot_batched_4_kernelIiLi64ELi4ELb1E19rocblas_complex_numIfES1_PKPKS1_EviT5_lT_lS6_lS7_liPT4_
                                        ; -- End function
	.section	.AMDGPU.csdata,"",@progbits
; Kernel info:
; codeLenInByte = 768
; NumSgprs: 22
; NumVgprs: 20
; NumAgprs: 0
; TotalNumVgprs: 20
; ScratchSize: 0
; MemoryBound: 0
; FloatMode: 240
; IeeeMode: 1
; LDSByteSize: 0 bytes/workgroup (compile time only)
; SGPRBlocks: 2
; VGPRBlocks: 2
; NumSGPRsForWavesPerEU: 22
; NumVGPRsForWavesPerEU: 20
; AccumOffset: 20
; Occupancy: 8
; WaveLimiterHint : 0
; COMPUTE_PGM_RSRC2:SCRATCH_EN: 0
; COMPUTE_PGM_RSRC2:USER_SGPR: 6
; COMPUTE_PGM_RSRC2:TRAP_HANDLER: 0
; COMPUTE_PGM_RSRC2:TGID_X_EN: 1
; COMPUTE_PGM_RSRC2:TGID_Y_EN: 0
; COMPUTE_PGM_RSRC2:TGID_Z_EN: 0
; COMPUTE_PGM_RSRC2:TIDIG_COMP_CNT: 1
; COMPUTE_PGM_RSRC3_GFX90A:ACCUM_OFFSET: 4
; COMPUTE_PGM_RSRC3_GFX90A:TG_SPLIT: 0
	.section	.text._ZL26rocblas_dot_kernel_inc1by2ILb1ELi1024ELi32ELb1E19rocblas_complex_numIfEPKPKS1_S1_EviT4_llS6_lliPT5_PT3_,"axG",@progbits,_ZL26rocblas_dot_kernel_inc1by2ILb1ELi1024ELi32ELb1E19rocblas_complex_numIfEPKPKS1_S1_EviT4_llS6_lliPT5_PT3_,comdat
	.globl	_ZL26rocblas_dot_kernel_inc1by2ILb1ELi1024ELi32ELb1E19rocblas_complex_numIfEPKPKS1_S1_EviT4_llS6_lliPT5_PT3_ ; -- Begin function _ZL26rocblas_dot_kernel_inc1by2ILb1ELi1024ELi32ELb1E19rocblas_complex_numIfEPKPKS1_S1_EviT4_llS6_lliPT5_PT3_
	.p2align	8
	.type	_ZL26rocblas_dot_kernel_inc1by2ILb1ELi1024ELi32ELb1E19rocblas_complex_numIfEPKPKS1_S1_EviT4_llS6_lliPT5_PT3_,@function
_ZL26rocblas_dot_kernel_inc1by2ILb1ELi1024ELi32ELb1E19rocblas_complex_numIfEPKPKS1_S1_EviT4_llS6_lliPT5_PT3_: ; @_ZL26rocblas_dot_kernel_inc1by2ILb1ELi1024ELi32ELb1E19rocblas_complex_numIfEPKPKS1_S1_EviT4_llS6_lliPT5_PT3_
; %bb.0:
	s_mov_b32 s2, s7
	s_load_dword s10, s[4:5], 0x0
	s_load_dwordx2 s[6:7], s[4:5], 0x48
	v_mov_b32_e32 v3, 0
	s_mov_b32 s3, 0
	v_mov_b32_e32 v2, v3
	s_waitcnt lgkmcnt(0)
	v_cmp_gt_i32_e32 vcc, s10, v0
	s_and_saveexec_b64 s[8:9], vcc
	s_cbranch_execz .LBB243_4
; %bb.1:
	s_load_dwordx4 s[12:15], s[4:5], 0x8
	s_load_dwordx4 s[16:19], s[4:5], 0x20
	s_lshl_b64 s[0:1], s[2:3], 3
	v_lshlrev_b32_e32 v2, 3, v0
	v_or_b32_e32 v1, 0x400, v0
	s_waitcnt lgkmcnt(0)
	s_add_u32 s4, s12, s0
	s_addc_u32 s5, s13, s1
	s_add_u32 s0, s16, s0
	s_addc_u32 s1, s17, s1
	s_load_dwordx2 s[0:1], s[0:1], 0x0
	s_lshl_b64 s[12:13], s[18:19], 3
	s_load_dwordx2 s[4:5], s[4:5], 0x0
	s_mov_b32 s11, s3
	s_waitcnt lgkmcnt(0)
	s_add_u32 s0, s0, s12
	s_addc_u32 s1, s1, s13
	v_mov_b32_e32 v3, s1
	v_add_co_u32_e32 v4, vcc, s0, v2
	s_lshl_b64 s[0:1], s[14:15], 3
	s_add_u32 s0, s4, s0
	v_addc_co_u32_e32 v5, vcc, 0, v3, vcc
	s_addc_u32 s1, s5, s1
	v_mov_b32_e32 v3, s1
	v_add_co_u32_e32 v6, vcc, s0, v2
	v_mov_b32_e32 v2, 0
	v_addc_co_u32_e32 v7, vcc, 0, v3, vcc
	s_mov_b64 s[4:5], 0
	v_mov_b32_e32 v3, v2
.LBB243_2:                              ; =>This Inner Loop Header: Depth=1
	global_load_dwordx2 v[8:9], v[4:5], off
	global_load_dwordx2 v[10:11], v[6:7], off
	s_add_i32 s12, s11, 1
	s_cmp_gt_u32 s11, 30
	v_cmp_le_i32_e64 s[0:1], s10, v1
	v_add_co_u32_e32 v4, vcc, 0x2000, v4
	s_mov_b32 s11, s12
	s_cselect_b64 s[12:13], -1, 0
	v_addc_co_u32_e32 v5, vcc, 0, v5, vcc
	s_or_b64 s[0:1], s[12:13], s[0:1]
	v_add_co_u32_e32 v6, vcc, 0x2000, v6
	s_and_b64 s[0:1], exec, s[0:1]
	v_add_u32_e32 v1, 0x400, v1
	v_addc_co_u32_e32 v7, vcc, 0, v7, vcc
	s_or_b64 s[4:5], s[0:1], s[4:5]
	s_waitcnt vmcnt(0)
	v_pk_mul_f32 v[12:13], v[10:11], v[8:9] op_sel:[0,1]
	v_pk_fma_f32 v[14:15], v[10:11], v[8:9], v[12:13] op_sel:[0,0,1] op_sel_hi:[1,1,0]
	v_pk_fma_f32 v[8:9], v[10:11], v[8:9], v[12:13] op_sel:[0,0,1] op_sel_hi:[1,0,0] neg_lo:[1,0,0] neg_hi:[1,0,0]
	v_mov_b32_e32 v15, v9
	v_pk_add_f32 v[2:3], v[2:3], v[14:15]
	s_andn2_b64 exec, exec, s[4:5]
	s_cbranch_execnz .LBB243_2
; %bb.3:
	s_or_b64 exec, exec, s[4:5]
.LBB243_4:
	s_or_b64 exec, exec, s[8:9]
	v_and_b32_e32 v6, 63, v0
	v_cmp_gt_u32_e32 vcc, 64, v0
	v_lshlrev_b32_e32 v1, 3, v6
	s_and_saveexec_b64 s[0:1], vcc
	s_cbranch_execz .LBB243_6
; %bb.5:
	v_mov_b32_e32 v4, 0
	v_mov_b32_e32 v5, v4
	ds_write_b64 v1, v[4:5]
.LBB243_6:
	s_or_b64 exec, exec, s[0:1]
	v_mbcnt_lo_u32_b32 v4, -1, 0
	v_mbcnt_hi_u32_b32 v10, -1, v4
	v_and_b32_e32 v11, 63, v10
	v_cmp_gt_u32_e64 s[0:1], 32, v11
	v_cndmask_b32_e64 v4, 0, 1, s[0:1]
	v_lshlrev_b32_e32 v4, 5, v4
	v_add_lshl_u32 v5, v4, v10, 2
	ds_bpermute_b32 v4, v5, v2
	ds_bpermute_b32 v5, v5, v3
	v_cmp_gt_u32_e64 s[0:1], 48, v11
	v_cndmask_b32_e64 v7, 0, 1, s[0:1]
	v_lshlrev_b32_e32 v7, 4, v7
	v_add_lshl_u32 v7, v7, v10, 2
	s_waitcnt lgkmcnt(0)
	v_pk_add_f32 v[2:3], v[2:3], v[4:5]
	ds_bpermute_b32 v4, v7, v2
	ds_bpermute_b32 v5, v7, v3
	v_cmp_gt_u32_e64 s[0:1], 56, v11
	v_cndmask_b32_e64 v7, 0, 1, s[0:1]
	v_lshlrev_b32_e32 v7, 3, v7
	v_add_lshl_u32 v7, v7, v10, 2
	s_waitcnt lgkmcnt(0)
	v_pk_add_f32 v[2:3], v[2:3], v[4:5]
	ds_bpermute_b32 v4, v7, v2
	ds_bpermute_b32 v5, v7, v3
	v_cmp_gt_u32_e64 s[0:1], 60, v11
	v_cndmask_b32_e64 v8, 0, 1, s[0:1]
	v_lshlrev_b32_e32 v8, 2, v8
	v_add_lshl_u32 v8, v8, v10, 2
	s_waitcnt lgkmcnt(0)
	v_pk_add_f32 v[2:3], v[2:3], v[4:5]
	ds_bpermute_b32 v4, v8, v2
	ds_bpermute_b32 v5, v8, v3
	v_cmp_gt_u32_e64 s[0:1], 62, v11
	v_cndmask_b32_e64 v9, 0, 1, s[0:1]
	v_lshlrev_b32_e32 v9, 1, v9
	v_add_lshl_u32 v9, v9, v10, 2
	s_waitcnt lgkmcnt(0)
	v_pk_add_f32 v[2:3], v[2:3], v[4:5]
	ds_bpermute_b32 v4, v9, v2
	ds_bpermute_b32 v5, v9, v3
	v_cmp_ne_u32_e64 s[0:1], 63, v11
	s_waitcnt lgkmcnt(0)
	s_barrier
	v_pk_add_f32 v[2:3], v[2:3], v[4:5]
	v_addc_co_u32_e64 v4, s[0:1], 0, v10, s[0:1]
	v_lshlrev_b32_e32 v10, 2, v4
	ds_bpermute_b32 v4, v10, v2
	ds_bpermute_b32 v5, v10, v3
	v_cmp_eq_u32_e64 s[0:1], 0, v6
	s_and_saveexec_b64 s[4:5], s[0:1]
	s_cbranch_execz .LBB243_8
; %bb.7:
	v_lshrrev_b32_e32 v6, 3, v0
	v_and_b32_e32 v6, 0x78, v6
	s_waitcnt lgkmcnt(0)
	v_pk_add_f32 v[2:3], v[2:3], v[4:5]
	ds_write_b64 v6, v[2:3]
.LBB243_8:
	s_or_b64 exec, exec, s[4:5]
	v_cmp_gt_u32_e64 s[0:1], 16, v0
	v_mov_b32_e32 v2, 0
	v_mov_b32_e32 v3, 0
	s_waitcnt lgkmcnt(0)
	s_barrier
	s_and_saveexec_b64 s[4:5], s[0:1]
	s_cbranch_execnz .LBB243_12
; %bb.9:
	s_or_b64 exec, exec, s[4:5]
	s_and_saveexec_b64 s[0:1], vcc
	s_cbranch_execnz .LBB243_13
.LBB243_10:
	s_or_b64 exec, exec, s[0:1]
	v_cmp_eq_u32_e32 vcc, 0, v0
	s_and_saveexec_b64 s[0:1], vcc
	s_cbranch_execnz .LBB243_14
.LBB243_11:
	s_endpgm
.LBB243_12:
	ds_read_b64 v[2:3], v1
	s_or_b64 exec, exec, s[4:5]
	s_and_saveexec_b64 s[0:1], vcc
	s_cbranch_execz .LBB243_10
.LBB243_13:
	s_waitcnt lgkmcnt(0)
	ds_bpermute_b32 v4, v7, v2
	ds_bpermute_b32 v5, v7, v3
	s_waitcnt lgkmcnt(0)
	v_pk_add_f32 v[2:3], v[2:3], v[4:5]
	ds_bpermute_b32 v4, v8, v2
	ds_bpermute_b32 v5, v8, v3
	s_waitcnt lgkmcnt(0)
	v_pk_add_f32 v[2:3], v[2:3], v[4:5]
	;; [unrolled: 4-line block ×4, first 2 shown]
	s_or_b64 exec, exec, s[0:1]
	v_cmp_eq_u32_e32 vcc, 0, v0
	s_and_saveexec_b64 s[0:1], vcc
	s_cbranch_execz .LBB243_11
.LBB243_14:
	s_lshl_b64 s[0:1], s[2:3], 3
	s_add_u32 s0, s6, s0
	s_addc_u32 s1, s7, s1
	v_mov_b32_e32 v0, 0
	s_waitcnt lgkmcnt(0)
	global_store_dwordx2 v0, v[2:3], s[0:1]
	s_endpgm
	.section	.rodata,"a",@progbits
	.p2align	6, 0x0
	.amdhsa_kernel _ZL26rocblas_dot_kernel_inc1by2ILb1ELi1024ELi32ELb1E19rocblas_complex_numIfEPKPKS1_S1_EviT4_llS6_lliPT5_PT3_
		.amdhsa_group_segment_fixed_size 512
		.amdhsa_private_segment_fixed_size 0
		.amdhsa_kernarg_size 80
		.amdhsa_user_sgpr_count 6
		.amdhsa_user_sgpr_private_segment_buffer 1
		.amdhsa_user_sgpr_dispatch_ptr 0
		.amdhsa_user_sgpr_queue_ptr 0
		.amdhsa_user_sgpr_kernarg_segment_ptr 1
		.amdhsa_user_sgpr_dispatch_id 0
		.amdhsa_user_sgpr_flat_scratch_init 0
		.amdhsa_user_sgpr_kernarg_preload_length 0
		.amdhsa_user_sgpr_kernarg_preload_offset 0
		.amdhsa_user_sgpr_private_segment_size 0
		.amdhsa_uses_dynamic_stack 0
		.amdhsa_system_sgpr_private_segment_wavefront_offset 0
		.amdhsa_system_sgpr_workgroup_id_x 1
		.amdhsa_system_sgpr_workgroup_id_y 0
		.amdhsa_system_sgpr_workgroup_id_z 1
		.amdhsa_system_sgpr_workgroup_info 0
		.amdhsa_system_vgpr_workitem_id 0
		.amdhsa_next_free_vgpr 16
		.amdhsa_next_free_sgpr 20
		.amdhsa_accum_offset 16
		.amdhsa_reserve_vcc 1
		.amdhsa_reserve_flat_scratch 0
		.amdhsa_float_round_mode_32 0
		.amdhsa_float_round_mode_16_64 0
		.amdhsa_float_denorm_mode_32 3
		.amdhsa_float_denorm_mode_16_64 3
		.amdhsa_dx10_clamp 1
		.amdhsa_ieee_mode 1
		.amdhsa_fp16_overflow 0
		.amdhsa_tg_split 0
		.amdhsa_exception_fp_ieee_invalid_op 0
		.amdhsa_exception_fp_denorm_src 0
		.amdhsa_exception_fp_ieee_div_zero 0
		.amdhsa_exception_fp_ieee_overflow 0
		.amdhsa_exception_fp_ieee_underflow 0
		.amdhsa_exception_fp_ieee_inexact 0
		.amdhsa_exception_int_div_zero 0
	.end_amdhsa_kernel
	.section	.text._ZL26rocblas_dot_kernel_inc1by2ILb1ELi1024ELi32ELb1E19rocblas_complex_numIfEPKPKS1_S1_EviT4_llS6_lliPT5_PT3_,"axG",@progbits,_ZL26rocblas_dot_kernel_inc1by2ILb1ELi1024ELi32ELb1E19rocblas_complex_numIfEPKPKS1_S1_EviT4_llS6_lliPT5_PT3_,comdat
.Lfunc_end243:
	.size	_ZL26rocblas_dot_kernel_inc1by2ILb1ELi1024ELi32ELb1E19rocblas_complex_numIfEPKPKS1_S1_EviT4_llS6_lliPT5_PT3_, .Lfunc_end243-_ZL26rocblas_dot_kernel_inc1by2ILb1ELi1024ELi32ELb1E19rocblas_complex_numIfEPKPKS1_S1_EviT4_llS6_lliPT5_PT3_
                                        ; -- End function
	.section	.AMDGPU.csdata,"",@progbits
; Kernel info:
; codeLenInByte = 1004
; NumSgprs: 24
; NumVgprs: 16
; NumAgprs: 0
; TotalNumVgprs: 16
; ScratchSize: 0
; MemoryBound: 0
; FloatMode: 240
; IeeeMode: 1
; LDSByteSize: 512 bytes/workgroup (compile time only)
; SGPRBlocks: 2
; VGPRBlocks: 1
; NumSGPRsForWavesPerEU: 24
; NumVGPRsForWavesPerEU: 16
; AccumOffset: 16
; Occupancy: 8
; WaveLimiterHint : 0
; COMPUTE_PGM_RSRC2:SCRATCH_EN: 0
; COMPUTE_PGM_RSRC2:USER_SGPR: 6
; COMPUTE_PGM_RSRC2:TRAP_HANDLER: 0
; COMPUTE_PGM_RSRC2:TGID_X_EN: 1
; COMPUTE_PGM_RSRC2:TGID_Y_EN: 0
; COMPUTE_PGM_RSRC2:TGID_Z_EN: 1
; COMPUTE_PGM_RSRC2:TIDIG_COMP_CNT: 0
; COMPUTE_PGM_RSRC3_GFX90A:ACCUM_OFFSET: 3
; COMPUTE_PGM_RSRC3_GFX90A:TG_SPLIT: 0
	.section	.text._ZL18rocblas_dot_kernelIiLb1ELi1024ELi32ELb1E19rocblas_complex_numIfEPKPKS1_S1_EviT5_lT_lS6_lS7_liPT6_PT4_,"axG",@progbits,_ZL18rocblas_dot_kernelIiLb1ELi1024ELi32ELb1E19rocblas_complex_numIfEPKPKS1_S1_EviT5_lT_lS6_lS7_liPT6_PT4_,comdat
	.globl	_ZL18rocblas_dot_kernelIiLb1ELi1024ELi32ELb1E19rocblas_complex_numIfEPKPKS1_S1_EviT5_lT_lS6_lS7_liPT6_PT4_ ; -- Begin function _ZL18rocblas_dot_kernelIiLb1ELi1024ELi32ELb1E19rocblas_complex_numIfEPKPKS1_S1_EviT5_lT_lS6_lS7_liPT6_PT4_
	.p2align	8
	.type	_ZL18rocblas_dot_kernelIiLb1ELi1024ELi32ELb1E19rocblas_complex_numIfEPKPKS1_S1_EviT5_lT_lS6_lS7_liPT6_PT4_,@function
_ZL18rocblas_dot_kernelIiLb1ELi1024ELi32ELb1E19rocblas_complex_numIfEPKPKS1_S1_EviT5_lT_lS6_lS7_liPT6_PT4_: ; @_ZL18rocblas_dot_kernelIiLb1ELi1024ELi32ELb1E19rocblas_complex_numIfEPKPKS1_S1_EviT5_lT_lS6_lS7_liPT6_PT4_
; %bb.0:
	s_mov_b32 s2, s7
	s_load_dword s14, s[4:5], 0x0
	s_load_dwordx2 s[6:7], s[4:5], 0x58
	v_mov_b32_e32 v3, 0
	s_mov_b32 s3, 0
	v_mov_b32_e32 v2, v3
	s_waitcnt lgkmcnt(0)
	v_cmp_gt_i32_e32 vcc, s14, v0
	s_and_saveexec_b64 s[8:9], vcc
	s_cbranch_execz .LBB244_4
; %bb.1:
	s_load_dwordx4 s[16:19], s[4:5], 0x8
	s_load_dword s24, s[4:5], 0x18
	s_lshl_b64 s[0:1], s[2:3], 3
	s_load_dwordx4 s[20:23], s[4:5], 0x28
	s_waitcnt lgkmcnt(0)
	s_add_u32 s10, s16, s0
	s_addc_u32 s11, s17, s1
	s_load_dword s16, s[4:5], 0x38
	s_load_dword s15, s[4:5], 0x60
	s_load_dwordx2 s[12:13], s[10:11], 0x0
	s_add_u32 s0, s20, s0
	v_mad_i64_i32 v[2:3], s[4:5], s24, v0, 0
	s_addc_u32 s1, s21, s1
	s_waitcnt lgkmcnt(0)
	s_lshl_b32 s15, s15, 10
	s_lshl_b64 s[4:5], s[18:19], 3
	s_load_dwordx2 s[0:1], s[0:1], 0x0
	s_add_u32 s4, s12, s4
	v_lshlrev_b64 v[2:3], 3, v[2:3]
	s_addc_u32 s5, s13, s5
	v_mov_b32_e32 v5, s5
	v_add_co_u32_e32 v4, vcc, s4, v2
	v_addc_co_u32_e32 v5, vcc, v5, v3, vcc
	s_mul_hi_i32 s5, s24, s15
	s_mul_i32 s4, s24, s15
	v_mad_i64_i32 v[2:3], s[10:11], s16, v0, 0
	s_lshl_b64 s[4:5], s[4:5], 3
	s_lshl_b64 s[10:11], s[22:23], 3
	s_waitcnt lgkmcnt(0)
	s_add_u32 s0, s0, s10
	v_lshlrev_b64 v[2:3], 3, v[2:3]
	s_addc_u32 s1, s1, s11
	v_mov_b32_e32 v7, s1
	v_add_co_u32_e32 v6, vcc, s0, v2
	s_mul_hi_i32 s1, s16, s15
	s_mul_i32 s0, s16, s15
	s_lshl_b64 s[12:13], s[0:1], 3
	v_mov_b32_e32 v2, 0
	v_or_b32_e32 v1, s15, v0
	v_addc_co_u32_e32 v7, vcc, v7, v3, vcc
	s_mov_b64 s[10:11], 0
	v_mov_b32_e32 v8, s5
	v_mov_b32_e32 v9, s13
	s_mov_b32 s5, s3
	v_mov_b32_e32 v3, v2
.LBB244_2:                              ; =>This Inner Loop Header: Depth=1
	global_load_dwordx2 v[10:11], v[6:7], off
	global_load_dwordx2 v[12:13], v[4:5], off
	v_add_co_u32_e64 v4, s[0:1], s4, v4
	v_addc_co_u32_e64 v5, s[0:1], v5, v8, s[0:1]
	s_add_i32 s13, s5, 1
	v_add_co_u32_e64 v6, s[0:1], s12, v6
	v_addc_co_u32_e64 v7, s[0:1], v7, v9, s[0:1]
	s_cmp_gt_u32 s5, 30
	v_cmp_le_i32_e32 vcc, s14, v1
	s_cselect_b64 s[0:1], -1, 0
	s_or_b64 s[0:1], s[0:1], vcc
	s_and_b64 s[0:1], exec, s[0:1]
	v_add_u32_e32 v1, s15, v1
	s_mov_b32 s5, s13
	s_or_b64 s[10:11], s[0:1], s[10:11]
	s_waitcnt vmcnt(0)
	v_pk_mul_f32 v[14:15], v[12:13], v[10:11] op_sel:[0,1]
	v_pk_fma_f32 v[16:17], v[12:13], v[10:11], v[14:15] op_sel:[0,0,1] op_sel_hi:[1,1,0]
	v_pk_fma_f32 v[10:11], v[12:13], v[10:11], v[14:15] op_sel:[0,0,1] op_sel_hi:[1,0,0] neg_lo:[1,0,0] neg_hi:[1,0,0]
	v_mov_b32_e32 v17, v11
	v_pk_add_f32 v[2:3], v[2:3], v[16:17]
	s_andn2_b64 exec, exec, s[10:11]
	s_cbranch_execnz .LBB244_2
; %bb.3:
	s_or_b64 exec, exec, s[10:11]
.LBB244_4:
	s_or_b64 exec, exec, s[8:9]
	v_and_b32_e32 v6, 63, v0
	v_cmp_gt_u32_e32 vcc, 64, v0
	v_lshlrev_b32_e32 v1, 3, v6
	s_and_saveexec_b64 s[0:1], vcc
	s_cbranch_execz .LBB244_6
; %bb.5:
	v_mov_b32_e32 v4, 0
	v_mov_b32_e32 v5, v4
	ds_write_b64 v1, v[4:5]
.LBB244_6:
	s_or_b64 exec, exec, s[0:1]
	v_mbcnt_lo_u32_b32 v4, -1, 0
	v_mbcnt_hi_u32_b32 v10, -1, v4
	v_and_b32_e32 v11, 63, v10
	v_cmp_gt_u32_e64 s[0:1], 32, v11
	v_cndmask_b32_e64 v4, 0, 1, s[0:1]
	v_lshlrev_b32_e32 v4, 5, v4
	v_add_lshl_u32 v5, v4, v10, 2
	ds_bpermute_b32 v4, v5, v2
	ds_bpermute_b32 v5, v5, v3
	v_cmp_gt_u32_e64 s[0:1], 48, v11
	v_cndmask_b32_e64 v7, 0, 1, s[0:1]
	v_lshlrev_b32_e32 v7, 4, v7
	v_add_lshl_u32 v7, v7, v10, 2
	s_waitcnt lgkmcnt(0)
	v_pk_add_f32 v[2:3], v[2:3], v[4:5]
	ds_bpermute_b32 v4, v7, v2
	ds_bpermute_b32 v5, v7, v3
	v_cmp_gt_u32_e64 s[0:1], 56, v11
	v_cndmask_b32_e64 v7, 0, 1, s[0:1]
	v_lshlrev_b32_e32 v7, 3, v7
	v_add_lshl_u32 v7, v7, v10, 2
	s_waitcnt lgkmcnt(0)
	v_pk_add_f32 v[2:3], v[2:3], v[4:5]
	;; [unrolled: 8-line block ×4, first 2 shown]
	ds_bpermute_b32 v4, v9, v2
	ds_bpermute_b32 v5, v9, v3
	v_cmp_ne_u32_e64 s[0:1], 63, v11
	s_waitcnt lgkmcnt(0)
	s_barrier
	v_pk_add_f32 v[2:3], v[2:3], v[4:5]
	v_addc_co_u32_e64 v4, s[0:1], 0, v10, s[0:1]
	v_lshlrev_b32_e32 v10, 2, v4
	ds_bpermute_b32 v4, v10, v2
	ds_bpermute_b32 v5, v10, v3
	v_cmp_eq_u32_e64 s[0:1], 0, v6
	s_and_saveexec_b64 s[4:5], s[0:1]
	s_cbranch_execz .LBB244_8
; %bb.7:
	v_lshrrev_b32_e32 v6, 3, v0
	v_and_b32_e32 v6, 0x78, v6
	s_waitcnt lgkmcnt(0)
	v_pk_add_f32 v[2:3], v[2:3], v[4:5]
	ds_write_b64 v6, v[2:3]
.LBB244_8:
	s_or_b64 exec, exec, s[4:5]
	v_cmp_gt_u32_e64 s[0:1], 16, v0
	v_mov_b32_e32 v2, 0
	v_mov_b32_e32 v3, 0
	s_waitcnt lgkmcnt(0)
	s_barrier
	s_and_saveexec_b64 s[4:5], s[0:1]
	s_cbranch_execnz .LBB244_12
; %bb.9:
	s_or_b64 exec, exec, s[4:5]
	s_and_saveexec_b64 s[0:1], vcc
	s_cbranch_execnz .LBB244_13
.LBB244_10:
	s_or_b64 exec, exec, s[0:1]
	v_cmp_eq_u32_e32 vcc, 0, v0
	s_and_saveexec_b64 s[0:1], vcc
	s_cbranch_execnz .LBB244_14
.LBB244_11:
	s_endpgm
.LBB244_12:
	ds_read_b64 v[2:3], v1
	s_or_b64 exec, exec, s[4:5]
	s_and_saveexec_b64 s[0:1], vcc
	s_cbranch_execz .LBB244_10
.LBB244_13:
	s_waitcnt lgkmcnt(0)
	ds_bpermute_b32 v4, v7, v2
	ds_bpermute_b32 v5, v7, v3
	s_waitcnt lgkmcnt(0)
	v_pk_add_f32 v[2:3], v[2:3], v[4:5]
	ds_bpermute_b32 v4, v8, v2
	ds_bpermute_b32 v5, v8, v3
	s_waitcnt lgkmcnt(0)
	v_pk_add_f32 v[2:3], v[2:3], v[4:5]
	;; [unrolled: 4-line block ×4, first 2 shown]
	s_or_b64 exec, exec, s[0:1]
	v_cmp_eq_u32_e32 vcc, 0, v0
	s_and_saveexec_b64 s[0:1], vcc
	s_cbranch_execz .LBB244_11
.LBB244_14:
	s_lshl_b64 s[0:1], s[2:3], 3
	s_add_u32 s0, s6, s0
	s_addc_u32 s1, s7, s1
	v_mov_b32_e32 v0, 0
	s_waitcnt lgkmcnt(0)
	global_store_dwordx2 v0, v[2:3], s[0:1]
	s_endpgm
	.section	.rodata,"a",@progbits
	.p2align	6, 0x0
	.amdhsa_kernel _ZL18rocblas_dot_kernelIiLb1ELi1024ELi32ELb1E19rocblas_complex_numIfEPKPKS1_S1_EviT5_lT_lS6_lS7_liPT6_PT4_
		.amdhsa_group_segment_fixed_size 512
		.amdhsa_private_segment_fixed_size 0
		.amdhsa_kernarg_size 352
		.amdhsa_user_sgpr_count 6
		.amdhsa_user_sgpr_private_segment_buffer 1
		.amdhsa_user_sgpr_dispatch_ptr 0
		.amdhsa_user_sgpr_queue_ptr 0
		.amdhsa_user_sgpr_kernarg_segment_ptr 1
		.amdhsa_user_sgpr_dispatch_id 0
		.amdhsa_user_sgpr_flat_scratch_init 0
		.amdhsa_user_sgpr_kernarg_preload_length 0
		.amdhsa_user_sgpr_kernarg_preload_offset 0
		.amdhsa_user_sgpr_private_segment_size 0
		.amdhsa_uses_dynamic_stack 0
		.amdhsa_system_sgpr_private_segment_wavefront_offset 0
		.amdhsa_system_sgpr_workgroup_id_x 1
		.amdhsa_system_sgpr_workgroup_id_y 0
		.amdhsa_system_sgpr_workgroup_id_z 1
		.amdhsa_system_sgpr_workgroup_info 0
		.amdhsa_system_vgpr_workitem_id 0
		.amdhsa_next_free_vgpr 18
		.amdhsa_next_free_sgpr 25
		.amdhsa_accum_offset 20
		.amdhsa_reserve_vcc 1
		.amdhsa_reserve_flat_scratch 0
		.amdhsa_float_round_mode_32 0
		.amdhsa_float_round_mode_16_64 0
		.amdhsa_float_denorm_mode_32 3
		.amdhsa_float_denorm_mode_16_64 3
		.amdhsa_dx10_clamp 1
		.amdhsa_ieee_mode 1
		.amdhsa_fp16_overflow 0
		.amdhsa_tg_split 0
		.amdhsa_exception_fp_ieee_invalid_op 0
		.amdhsa_exception_fp_denorm_src 0
		.amdhsa_exception_fp_ieee_div_zero 0
		.amdhsa_exception_fp_ieee_overflow 0
		.amdhsa_exception_fp_ieee_underflow 0
		.amdhsa_exception_fp_ieee_inexact 0
		.amdhsa_exception_int_div_zero 0
	.end_amdhsa_kernel
	.section	.text._ZL18rocblas_dot_kernelIiLb1ELi1024ELi32ELb1E19rocblas_complex_numIfEPKPKS1_S1_EviT5_lT_lS6_lS7_liPT6_PT4_,"axG",@progbits,_ZL18rocblas_dot_kernelIiLb1ELi1024ELi32ELb1E19rocblas_complex_numIfEPKPKS1_S1_EviT5_lT_lS6_lS7_liPT6_PT4_,comdat
.Lfunc_end244:
	.size	_ZL18rocblas_dot_kernelIiLb1ELi1024ELi32ELb1E19rocblas_complex_numIfEPKPKS1_S1_EviT5_lT_lS6_lS7_liPT6_PT4_, .Lfunc_end244-_ZL18rocblas_dot_kernelIiLb1ELi1024ELi32ELb1E19rocblas_complex_numIfEPKPKS1_S1_EviT5_lT_lS6_lS7_liPT6_PT4_
                                        ; -- End function
	.section	.AMDGPU.csdata,"",@progbits
; Kernel info:
; codeLenInByte = 1092
; NumSgprs: 29
; NumVgprs: 18
; NumAgprs: 0
; TotalNumVgprs: 18
; ScratchSize: 0
; MemoryBound: 0
; FloatMode: 240
; IeeeMode: 1
; LDSByteSize: 512 bytes/workgroup (compile time only)
; SGPRBlocks: 3
; VGPRBlocks: 2
; NumSGPRsForWavesPerEU: 29
; NumVGPRsForWavesPerEU: 18
; AccumOffset: 20
; Occupancy: 8
; WaveLimiterHint : 0
; COMPUTE_PGM_RSRC2:SCRATCH_EN: 0
; COMPUTE_PGM_RSRC2:USER_SGPR: 6
; COMPUTE_PGM_RSRC2:TRAP_HANDLER: 0
; COMPUTE_PGM_RSRC2:TGID_X_EN: 1
; COMPUTE_PGM_RSRC2:TGID_Y_EN: 0
; COMPUTE_PGM_RSRC2:TGID_Z_EN: 1
; COMPUTE_PGM_RSRC2:TIDIG_COMP_CNT: 0
; COMPUTE_PGM_RSRC3_GFX90A:ACCUM_OFFSET: 4
; COMPUTE_PGM_RSRC3_GFX90A:TG_SPLIT: 0
	.section	.text._ZL24rocblas_dot_kernel_magsqIiLb1ELi1024ELi32ELb1E19rocblas_complex_numIfEPKPKS1_S1_EviT5_lT_liPT6_PT4_,"axG",@progbits,_ZL24rocblas_dot_kernel_magsqIiLb1ELi1024ELi32ELb1E19rocblas_complex_numIfEPKPKS1_S1_EviT5_lT_liPT6_PT4_,comdat
	.globl	_ZL24rocblas_dot_kernel_magsqIiLb1ELi1024ELi32ELb1E19rocblas_complex_numIfEPKPKS1_S1_EviT5_lT_liPT6_PT4_ ; -- Begin function _ZL24rocblas_dot_kernel_magsqIiLb1ELi1024ELi32ELb1E19rocblas_complex_numIfEPKPKS1_S1_EviT5_lT_liPT6_PT4_
	.p2align	8
	.type	_ZL24rocblas_dot_kernel_magsqIiLb1ELi1024ELi32ELb1E19rocblas_complex_numIfEPKPKS1_S1_EviT5_lT_liPT6_PT4_,@function
_ZL24rocblas_dot_kernel_magsqIiLb1ELi1024ELi32ELb1E19rocblas_complex_numIfEPKPKS1_S1_EviT5_lT_liPT6_PT4_: ; @_ZL24rocblas_dot_kernel_magsqIiLb1ELi1024ELi32ELb1E19rocblas_complex_numIfEPKPKS1_S1_EviT5_lT_liPT6_PT4_
; %bb.0:
	s_mov_b32 s2, s7
	s_load_dword s12, s[4:5], 0x0
	s_load_dwordx2 s[6:7], s[4:5], 0x38
	v_mov_b32_e32 v3, 0
	s_mov_b32 s3, 0
	v_mov_b32_e32 v2, v3
	s_waitcnt lgkmcnt(0)
	v_cmp_gt_i32_e32 vcc, s12, v0
	s_and_saveexec_b64 s[8:9], vcc
	s_cbranch_execz .LBB245_4
; %bb.1:
	s_load_dwordx4 s[16:19], s[4:5], 0x8
	s_load_dword s10, s[4:5], 0x40
	s_load_dword s11, s[4:5], 0x18
	s_lshl_b64 s[0:1], s[2:3], 3
	s_waitcnt lgkmcnt(0)
	s_add_u32 s0, s16, s0
	s_addc_u32 s1, s17, s1
	s_load_dwordx2 s[0:1], s[0:1], 0x0
	v_mad_i64_i32 v[2:3], s[4:5], s11, v0, 0
	s_lshl_b32 s13, s10, 10
	s_lshl_b64 s[4:5], s[18:19], 3
	s_waitcnt lgkmcnt(0)
	s_add_u32 s0, s0, s4
	v_lshlrev_b64 v[2:3], 3, v[2:3]
	s_addc_u32 s1, s1, s5
	v_mov_b32_e32 v5, s1
	v_add_co_u32_e32 v4, vcc, s0, v2
	s_mul_hi_i32 s1, s11, s13
	s_mul_i32 s0, s11, s13
	s_lshl_b64 s[10:11], s[0:1], 3
	v_mov_b32_e32 v2, 0
	v_or_b32_e32 v1, s13, v0
	v_addc_co_u32_e32 v5, vcc, v5, v3, vcc
	s_mov_b64 s[4:5], 0
	v_mov_b32_e32 v6, s11
	s_mov_b32 s11, s3
	v_mov_b32_e32 v3, v2
.LBB245_2:                              ; =>This Inner Loop Header: Depth=1
	global_load_dwordx2 v[8:9], v[4:5], off
	s_add_i32 s14, s11, 1
	v_add_co_u32_e64 v4, s[0:1], s10, v4
	v_addc_co_u32_e64 v5, s[0:1], v5, v6, s[0:1]
	s_cmp_gt_u32 s11, 30
	v_cmp_le_i32_e32 vcc, s12, v1
	s_cselect_b64 s[0:1], -1, 0
	s_or_b64 s[0:1], s[0:1], vcc
	s_and_b64 s[0:1], exec, s[0:1]
	v_add_u32_e32 v1, s13, v1
	s_mov_b32 s11, s14
	s_or_b64 s[4:5], s[0:1], s[4:5]
	s_waitcnt vmcnt(0)
	v_pk_mul_f32 v[10:11], v[8:9], v[8:9]
	v_pk_mul_f32 v[12:13], v[8:9], v[8:9] op_sel_hi:[0,1]
	v_mov_b32_e32 v10, v11
	v_mov_b32_e32 v11, v13
	v_pk_fma_f32 v[12:13], v[8:9], v[8:9], v[12:13] op_sel_hi:[0,1,1] neg_lo:[0,0,1] neg_hi:[0,0,1]
	v_pk_fma_f32 v[8:9], v[8:9], v[8:9], v[10:11] op_sel_hi:[0,1,1]
	v_mov_b32_e32 v9, v13
	v_pk_add_f32 v[2:3], v[2:3], v[8:9]
	s_andn2_b64 exec, exec, s[4:5]
	s_cbranch_execnz .LBB245_2
; %bb.3:
	s_or_b64 exec, exec, s[4:5]
.LBB245_4:
	s_or_b64 exec, exec, s[8:9]
	v_and_b32_e32 v6, 63, v0
	v_cmp_gt_u32_e32 vcc, 64, v0
	v_lshlrev_b32_e32 v1, 3, v6
	s_and_saveexec_b64 s[0:1], vcc
	s_cbranch_execz .LBB245_6
; %bb.5:
	v_mov_b32_e32 v4, 0
	v_mov_b32_e32 v5, v4
	ds_write_b64 v1, v[4:5]
.LBB245_6:
	s_or_b64 exec, exec, s[0:1]
	v_mbcnt_lo_u32_b32 v4, -1, 0
	v_mbcnt_hi_u32_b32 v10, -1, v4
	v_and_b32_e32 v11, 63, v10
	v_cmp_gt_u32_e64 s[0:1], 32, v11
	v_cndmask_b32_e64 v4, 0, 1, s[0:1]
	v_lshlrev_b32_e32 v4, 5, v4
	v_add_lshl_u32 v5, v4, v10, 2
	ds_bpermute_b32 v4, v5, v2
	ds_bpermute_b32 v5, v5, v3
	v_cmp_gt_u32_e64 s[0:1], 48, v11
	v_cndmask_b32_e64 v7, 0, 1, s[0:1]
	v_lshlrev_b32_e32 v7, 4, v7
	v_add_lshl_u32 v7, v7, v10, 2
	s_waitcnt lgkmcnt(0)
	v_pk_add_f32 v[2:3], v[2:3], v[4:5]
	ds_bpermute_b32 v4, v7, v2
	ds_bpermute_b32 v5, v7, v3
	v_cmp_gt_u32_e64 s[0:1], 56, v11
	v_cndmask_b32_e64 v7, 0, 1, s[0:1]
	v_lshlrev_b32_e32 v7, 3, v7
	v_add_lshl_u32 v7, v7, v10, 2
	s_waitcnt lgkmcnt(0)
	v_pk_add_f32 v[2:3], v[2:3], v[4:5]
	;; [unrolled: 8-line block ×4, first 2 shown]
	ds_bpermute_b32 v4, v9, v2
	ds_bpermute_b32 v5, v9, v3
	v_cmp_ne_u32_e64 s[0:1], 63, v11
	s_waitcnt lgkmcnt(0)
	s_barrier
	v_pk_add_f32 v[2:3], v[2:3], v[4:5]
	v_addc_co_u32_e64 v4, s[0:1], 0, v10, s[0:1]
	v_lshlrev_b32_e32 v10, 2, v4
	ds_bpermute_b32 v4, v10, v2
	ds_bpermute_b32 v5, v10, v3
	v_cmp_eq_u32_e64 s[0:1], 0, v6
	s_and_saveexec_b64 s[4:5], s[0:1]
	s_cbranch_execz .LBB245_8
; %bb.7:
	v_lshrrev_b32_e32 v6, 3, v0
	v_and_b32_e32 v6, 0x78, v6
	s_waitcnt lgkmcnt(0)
	v_pk_add_f32 v[2:3], v[2:3], v[4:5]
	ds_write_b64 v6, v[2:3]
.LBB245_8:
	s_or_b64 exec, exec, s[4:5]
	v_cmp_gt_u32_e64 s[0:1], 16, v0
	v_mov_b32_e32 v2, 0
	v_mov_b32_e32 v3, 0
	s_waitcnt lgkmcnt(0)
	s_barrier
	s_and_saveexec_b64 s[4:5], s[0:1]
	s_cbranch_execnz .LBB245_12
; %bb.9:
	s_or_b64 exec, exec, s[4:5]
	s_and_saveexec_b64 s[0:1], vcc
	s_cbranch_execnz .LBB245_13
.LBB245_10:
	s_or_b64 exec, exec, s[0:1]
	v_cmp_eq_u32_e32 vcc, 0, v0
	s_and_saveexec_b64 s[0:1], vcc
	s_cbranch_execnz .LBB245_14
.LBB245_11:
	s_endpgm
.LBB245_12:
	ds_read_b64 v[2:3], v1
	s_or_b64 exec, exec, s[4:5]
	s_and_saveexec_b64 s[0:1], vcc
	s_cbranch_execz .LBB245_10
.LBB245_13:
	s_waitcnt lgkmcnt(0)
	ds_bpermute_b32 v4, v7, v2
	ds_bpermute_b32 v5, v7, v3
	s_waitcnt lgkmcnt(0)
	v_pk_add_f32 v[2:3], v[2:3], v[4:5]
	ds_bpermute_b32 v4, v8, v2
	ds_bpermute_b32 v5, v8, v3
	s_waitcnt lgkmcnt(0)
	v_pk_add_f32 v[2:3], v[2:3], v[4:5]
	;; [unrolled: 4-line block ×4, first 2 shown]
	s_or_b64 exec, exec, s[0:1]
	v_cmp_eq_u32_e32 vcc, 0, v0
	s_and_saveexec_b64 s[0:1], vcc
	s_cbranch_execz .LBB245_11
.LBB245_14:
	s_lshl_b64 s[0:1], s[2:3], 3
	s_add_u32 s0, s6, s0
	s_addc_u32 s1, s7, s1
	v_mov_b32_e32 v0, 0
	s_waitcnt lgkmcnt(0)
	global_store_dwordx2 v0, v[2:3], s[0:1]
	s_endpgm
	.section	.rodata,"a",@progbits
	.p2align	6, 0x0
	.amdhsa_kernel _ZL24rocblas_dot_kernel_magsqIiLb1ELi1024ELi32ELb1E19rocblas_complex_numIfEPKPKS1_S1_EviT5_lT_liPT6_PT4_
		.amdhsa_group_segment_fixed_size 512
		.amdhsa_private_segment_fixed_size 0
		.amdhsa_kernarg_size 320
		.amdhsa_user_sgpr_count 6
		.amdhsa_user_sgpr_private_segment_buffer 1
		.amdhsa_user_sgpr_dispatch_ptr 0
		.amdhsa_user_sgpr_queue_ptr 0
		.amdhsa_user_sgpr_kernarg_segment_ptr 1
		.amdhsa_user_sgpr_dispatch_id 0
		.amdhsa_user_sgpr_flat_scratch_init 0
		.amdhsa_user_sgpr_kernarg_preload_length 0
		.amdhsa_user_sgpr_kernarg_preload_offset 0
		.amdhsa_user_sgpr_private_segment_size 0
		.amdhsa_uses_dynamic_stack 0
		.amdhsa_system_sgpr_private_segment_wavefront_offset 0
		.amdhsa_system_sgpr_workgroup_id_x 1
		.amdhsa_system_sgpr_workgroup_id_y 0
		.amdhsa_system_sgpr_workgroup_id_z 1
		.amdhsa_system_sgpr_workgroup_info 0
		.amdhsa_system_vgpr_workitem_id 0
		.amdhsa_next_free_vgpr 14
		.amdhsa_next_free_sgpr 20
		.amdhsa_accum_offset 16
		.amdhsa_reserve_vcc 1
		.amdhsa_reserve_flat_scratch 0
		.amdhsa_float_round_mode_32 0
		.amdhsa_float_round_mode_16_64 0
		.amdhsa_float_denorm_mode_32 3
		.amdhsa_float_denorm_mode_16_64 3
		.amdhsa_dx10_clamp 1
		.amdhsa_ieee_mode 1
		.amdhsa_fp16_overflow 0
		.amdhsa_tg_split 0
		.amdhsa_exception_fp_ieee_invalid_op 0
		.amdhsa_exception_fp_denorm_src 0
		.amdhsa_exception_fp_ieee_div_zero 0
		.amdhsa_exception_fp_ieee_overflow 0
		.amdhsa_exception_fp_ieee_underflow 0
		.amdhsa_exception_fp_ieee_inexact 0
		.amdhsa_exception_int_div_zero 0
	.end_amdhsa_kernel
	.section	.text._ZL24rocblas_dot_kernel_magsqIiLb1ELi1024ELi32ELb1E19rocblas_complex_numIfEPKPKS1_S1_EviT5_lT_liPT6_PT4_,"axG",@progbits,_ZL24rocblas_dot_kernel_magsqIiLb1ELi1024ELi32ELb1E19rocblas_complex_numIfEPKPKS1_S1_EviT5_lT_liPT6_PT4_,comdat
.Lfunc_end245:
	.size	_ZL24rocblas_dot_kernel_magsqIiLb1ELi1024ELi32ELb1E19rocblas_complex_numIfEPKPKS1_S1_EviT5_lT_liPT6_PT4_, .Lfunc_end245-_ZL24rocblas_dot_kernel_magsqIiLb1ELi1024ELi32ELb1E19rocblas_complex_numIfEPKPKS1_S1_EviT5_lT_liPT6_PT4_
                                        ; -- End function
	.section	.AMDGPU.csdata,"",@progbits
; Kernel info:
; codeLenInByte = 992
; NumSgprs: 24
; NumVgprs: 14
; NumAgprs: 0
; TotalNumVgprs: 14
; ScratchSize: 0
; MemoryBound: 0
; FloatMode: 240
; IeeeMode: 1
; LDSByteSize: 512 bytes/workgroup (compile time only)
; SGPRBlocks: 2
; VGPRBlocks: 1
; NumSGPRsForWavesPerEU: 24
; NumVGPRsForWavesPerEU: 14
; AccumOffset: 16
; Occupancy: 8
; WaveLimiterHint : 0
; COMPUTE_PGM_RSRC2:SCRATCH_EN: 0
; COMPUTE_PGM_RSRC2:USER_SGPR: 6
; COMPUTE_PGM_RSRC2:TRAP_HANDLER: 0
; COMPUTE_PGM_RSRC2:TGID_X_EN: 1
; COMPUTE_PGM_RSRC2:TGID_Y_EN: 0
; COMPUTE_PGM_RSRC2:TGID_Z_EN: 1
; COMPUTE_PGM_RSRC2:TIDIG_COMP_CNT: 0
; COMPUTE_PGM_RSRC3_GFX90A:ACCUM_OFFSET: 3
; COMPUTE_PGM_RSRC3_GFX90A:TG_SPLIT: 0
	.section	.text._ZL23rocblas_dot_kernel_inc1ILb0ELi512ELi2ELb1E19rocblas_complex_numIfEPKPKS1_S1_EviT4_llS6_lliPT5_PT3_,"axG",@progbits,_ZL23rocblas_dot_kernel_inc1ILb0ELi512ELi2ELb1E19rocblas_complex_numIfEPKPKS1_S1_EviT4_llS6_lliPT5_PT3_,comdat
	.globl	_ZL23rocblas_dot_kernel_inc1ILb0ELi512ELi2ELb1E19rocblas_complex_numIfEPKPKS1_S1_EviT4_llS6_lliPT5_PT3_ ; -- Begin function _ZL23rocblas_dot_kernel_inc1ILb0ELi512ELi2ELb1E19rocblas_complex_numIfEPKPKS1_S1_EviT4_llS6_lliPT5_PT3_
	.p2align	8
	.type	_ZL23rocblas_dot_kernel_inc1ILb0ELi512ELi2ELb1E19rocblas_complex_numIfEPKPKS1_S1_EviT4_llS6_lliPT5_PT3_,@function
_ZL23rocblas_dot_kernel_inc1ILb0ELi512ELi2ELb1E19rocblas_complex_numIfEPKPKS1_S1_EviT4_llS6_lliPT5_PT3_: ; @_ZL23rocblas_dot_kernel_inc1ILb0ELi512ELi2ELb1E19rocblas_complex_numIfEPKPKS1_S1_EviT4_llS6_lliPT5_PT3_
; %bb.0:
	s_mov_b32 s2, s7
	s_load_dword s7, s[4:5], 0x0
	s_load_dword s10, s[4:5], 0x50
	v_lshl_or_b32 v4, s6, 9, v0
	v_mov_b32_e32 v2, 0
	s_mov_b32 s3, 0
	s_waitcnt lgkmcnt(0)
	v_cmp_gt_i32_e32 vcc, s7, v4
	v_mov_b32_e32 v3, v2
	s_and_saveexec_b64 s[0:1], vcc
	s_cbranch_execz .LBB246_4
; %bb.1:
	s_load_dwordx4 s[12:15], s[4:5], 0x8
	s_load_dwordx4 s[16:19], s[4:5], 0x20
	s_lshl_b64 s[8:9], s[2:3], 3
	v_ashrrev_i32_e32 v5, 31, v4
	v_lshlrev_b64 v[2:3], 3, v[4:5]
	s_waitcnt lgkmcnt(0)
	s_add_u32 s12, s12, s8
	s_addc_u32 s13, s13, s9
	s_load_dwordx2 s[12:13], s[12:13], 0x0
	s_lshl_b64 s[14:15], s[14:15], 3
	s_waitcnt lgkmcnt(0)
	s_add_u32 s11, s12, s14
	s_addc_u32 s12, s13, s15
	s_add_u32 s8, s16, s8
	s_addc_u32 s9, s17, s9
	s_load_dwordx2 s[8:9], s[8:9], 0x0
	s_lshl_b64 s[14:15], s[18:19], 3
	v_mov_b32_e32 v1, s12
	s_waitcnt lgkmcnt(0)
	s_add_u32 s13, s8, s14
	s_addc_u32 s14, s9, s15
	v_mov_b32_e32 v5, s14
	v_add_co_u32_e32 v4, vcc, s13, v2
	v_addc_co_u32_e32 v5, vcc, v5, v3, vcc
	v_add_co_u32_e32 v2, vcc, s11, v2
	v_addc_co_u32_e32 v3, vcc, v1, v3, vcc
	global_load_dwordx2 v[6:7], v[2:3], off
	global_load_dwordx2 v[8:9], v[4:5], off
	s_add_i32 s8, s6, s10
	v_lshl_or_b32 v4, s8, 9, v0
	v_cmp_gt_i32_e32 vcc, s7, v4
	s_waitcnt vmcnt(0)
	v_pk_mul_f32 v[2:3], v[6:7], v[8:9] op_sel:[0,1]
	v_pk_fma_f32 v[10:11], v[6:7], v[8:9], v[2:3] op_sel:[0,0,1] op_sel_hi:[1,1,0]
	v_pk_fma_f32 v[2:3], v[6:7], v[8:9], v[2:3] op_sel:[0,0,1] op_sel_hi:[1,0,0] neg_lo:[1,0,0] neg_hi:[1,0,0]
	v_mov_b32_e32 v11, v3
	v_pk_add_f32 v[2:3], v[10:11], 0 op_sel_hi:[1,0]
	s_and_saveexec_b64 s[8:9], vcc
	s_cbranch_execz .LBB246_3
; %bb.2:
	v_ashrrev_i32_e32 v5, 31, v4
	v_lshlrev_b64 v[4:5], 3, v[4:5]
	v_mov_b32_e32 v1, s12
	v_add_co_u32_e32 v6, vcc, s11, v4
	v_addc_co_u32_e32 v7, vcc, v1, v5, vcc
	v_mov_b32_e32 v1, s14
	v_add_co_u32_e32 v4, vcc, s13, v4
	v_addc_co_u32_e32 v5, vcc, v1, v5, vcc
	global_load_dwordx2 v[6:7], v[6:7], off
	s_nop 0
	global_load_dwordx2 v[4:5], v[4:5], off
	s_waitcnt vmcnt(0)
	v_pk_mul_f32 v[8:9], v[6:7], v[4:5] op_sel:[0,1]
	v_pk_fma_f32 v[10:11], v[6:7], v[4:5], v[8:9] op_sel:[0,0,1] op_sel_hi:[1,1,0]
	v_pk_fma_f32 v[4:5], v[6:7], v[4:5], v[8:9] op_sel:[0,0,1] op_sel_hi:[1,0,0] neg_lo:[1,0,0] neg_hi:[1,0,0]
	v_mov_b32_e32 v11, v5
	v_pk_add_f32 v[2:3], v[2:3], v[10:11]
.LBB246_3:
	s_or_b64 exec, exec, s[8:9]
.LBB246_4:
	s_or_b64 exec, exec, s[0:1]
	v_and_b32_e32 v6, 63, v0
	v_cmp_gt_u32_e32 vcc, 64, v0
	v_lshlrev_b32_e32 v1, 3, v6
	s_and_saveexec_b64 s[0:1], vcc
	s_cbranch_execz .LBB246_6
; %bb.5:
	v_mov_b32_e32 v4, 0
	v_mov_b32_e32 v5, v4
	ds_write_b64 v1, v[4:5]
.LBB246_6:
	s_or_b64 exec, exec, s[0:1]
	v_mbcnt_lo_u32_b32 v4, -1, 0
	v_mbcnt_hi_u32_b32 v9, -1, v4
	v_and_b32_e32 v10, 63, v9
	v_cmp_gt_u32_e64 s[0:1], 32, v10
	v_cndmask_b32_e64 v4, 0, 1, s[0:1]
	v_lshlrev_b32_e32 v4, 5, v4
	v_add_lshl_u32 v5, v4, v9, 2
	ds_bpermute_b32 v4, v5, v2
	ds_bpermute_b32 v5, v5, v3
	v_cmp_gt_u32_e64 s[0:1], 48, v10
	v_cndmask_b32_e64 v7, 0, 1, s[0:1]
	v_lshlrev_b32_e32 v7, 4, v7
	v_add_lshl_u32 v7, v7, v9, 2
	s_waitcnt lgkmcnt(0)
	v_pk_add_f32 v[2:3], v[2:3], v[4:5]
	ds_bpermute_b32 v4, v7, v2
	ds_bpermute_b32 v5, v7, v3
	v_cmp_gt_u32_e64 s[0:1], 56, v10
	v_cndmask_b32_e64 v7, 0, 1, s[0:1]
	v_lshlrev_b32_e32 v7, 3, v7
	v_add_lshl_u32 v7, v7, v9, 2
	s_waitcnt lgkmcnt(0)
	v_pk_add_f32 v[2:3], v[2:3], v[4:5]
	;; [unrolled: 8-line block ×4, first 2 shown]
	ds_bpermute_b32 v4, v8, v2
	ds_bpermute_b32 v5, v8, v3
	v_cmp_ne_u32_e64 s[0:1], 63, v10
	s_waitcnt lgkmcnt(0)
	s_barrier
	v_pk_add_f32 v[2:3], v[2:3], v[4:5]
	v_addc_co_u32_e64 v4, s[0:1], 0, v9, s[0:1]
	v_lshlrev_b32_e32 v9, 2, v4
	ds_bpermute_b32 v4, v9, v2
	ds_bpermute_b32 v5, v9, v3
	v_cmp_eq_u32_e64 s[0:1], 0, v6
	s_and_saveexec_b64 s[8:9], s[0:1]
	s_cbranch_execz .LBB246_8
; %bb.7:
	v_lshrrev_b32_e32 v6, 3, v0
	v_and_b32_e32 v6, 56, v6
	s_waitcnt lgkmcnt(0)
	v_pk_add_f32 v[2:3], v[2:3], v[4:5]
	ds_write_b64 v6, v[2:3]
.LBB246_8:
	s_or_b64 exec, exec, s[8:9]
	v_cmp_gt_u32_e64 s[0:1], 8, v0
	v_mov_b32_e32 v2, 0
	v_mov_b32_e32 v3, 0
	s_waitcnt lgkmcnt(0)
	s_barrier
	s_and_saveexec_b64 s[8:9], s[0:1]
	s_cbranch_execnz .LBB246_12
; %bb.9:
	s_or_b64 exec, exec, s[8:9]
	s_and_saveexec_b64 s[0:1], vcc
	s_cbranch_execnz .LBB246_13
.LBB246_10:
	s_or_b64 exec, exec, s[0:1]
	v_cmp_eq_u32_e32 vcc, 0, v0
	s_and_saveexec_b64 s[0:1], vcc
	s_cbranch_execnz .LBB246_14
.LBB246_11:
	s_endpgm
.LBB246_12:
	ds_read_b64 v[2:3], v1
	s_or_b64 exec, exec, s[8:9]
	s_and_saveexec_b64 s[0:1], vcc
	s_cbranch_execz .LBB246_10
.LBB246_13:
	s_waitcnt lgkmcnt(0)
	ds_bpermute_b32 v4, v7, v2
	ds_bpermute_b32 v5, v7, v3
	s_waitcnt lgkmcnt(0)
	v_pk_add_f32 v[2:3], v[2:3], v[4:5]
	ds_bpermute_b32 v4, v8, v2
	ds_bpermute_b32 v5, v8, v3
	s_waitcnt lgkmcnt(0)
	v_pk_add_f32 v[2:3], v[2:3], v[4:5]
	;; [unrolled: 4-line block ×3, first 2 shown]
	s_or_b64 exec, exec, s[0:1]
	v_cmp_eq_u32_e32 vcc, 0, v0
	s_and_saveexec_b64 s[0:1], vcc
	s_cbranch_execz .LBB246_11
.LBB246_14:
	s_cmp_lg_u32 s10, 1
	s_cbranch_scc0 .LBB246_16
; %bb.15:
	s_load_dwordx2 s[0:1], s[4:5], 0x40
	s_mul_hi_u32 s9, s10, s2
	s_mul_i32 s8, s10, s2
	s_lshl_b64 s[8:9], s[8:9], 3
	s_mov_b32 s7, 0
	s_waitcnt lgkmcnt(0)
	s_add_u32 s8, s0, s8
	s_addc_u32 s9, s1, s9
	s_lshl_b64 s[0:1], s[6:7], 3
	s_add_u32 s0, s8, s0
	s_addc_u32 s1, s9, s1
	s_cbranch_execz .LBB246_17
	s_branch .LBB246_18
.LBB246_16:
                                        ; implicit-def: $sgpr0_sgpr1
.LBB246_17:
	s_load_dwordx2 s[0:1], s[4:5], 0x48
	s_lshl_b64 s[2:3], s[2:3], 3
	s_waitcnt lgkmcnt(0)
	s_add_u32 s0, s0, s2
	s_addc_u32 s1, s1, s3
.LBB246_18:
	v_mov_b32_e32 v0, 0
	s_waitcnt lgkmcnt(0)
	global_store_dwordx2 v0, v[2:3], s[0:1]
	s_endpgm
	.section	.rodata,"a",@progbits
	.p2align	6, 0x0
	.amdhsa_kernel _ZL23rocblas_dot_kernel_inc1ILb0ELi512ELi2ELb1E19rocblas_complex_numIfEPKPKS1_S1_EviT4_llS6_lliPT5_PT3_
		.amdhsa_group_segment_fixed_size 512
		.amdhsa_private_segment_fixed_size 0
		.amdhsa_kernarg_size 336
		.amdhsa_user_sgpr_count 6
		.amdhsa_user_sgpr_private_segment_buffer 1
		.amdhsa_user_sgpr_dispatch_ptr 0
		.amdhsa_user_sgpr_queue_ptr 0
		.amdhsa_user_sgpr_kernarg_segment_ptr 1
		.amdhsa_user_sgpr_dispatch_id 0
		.amdhsa_user_sgpr_flat_scratch_init 0
		.amdhsa_user_sgpr_kernarg_preload_length 0
		.amdhsa_user_sgpr_kernarg_preload_offset 0
		.amdhsa_user_sgpr_private_segment_size 0
		.amdhsa_uses_dynamic_stack 0
		.amdhsa_system_sgpr_private_segment_wavefront_offset 0
		.amdhsa_system_sgpr_workgroup_id_x 1
		.amdhsa_system_sgpr_workgroup_id_y 0
		.amdhsa_system_sgpr_workgroup_id_z 1
		.amdhsa_system_sgpr_workgroup_info 0
		.amdhsa_system_vgpr_workitem_id 0
		.amdhsa_next_free_vgpr 12
		.amdhsa_next_free_sgpr 20
		.amdhsa_accum_offset 12
		.amdhsa_reserve_vcc 1
		.amdhsa_reserve_flat_scratch 0
		.amdhsa_float_round_mode_32 0
		.amdhsa_float_round_mode_16_64 0
		.amdhsa_float_denorm_mode_32 3
		.amdhsa_float_denorm_mode_16_64 3
		.amdhsa_dx10_clamp 1
		.amdhsa_ieee_mode 1
		.amdhsa_fp16_overflow 0
		.amdhsa_tg_split 0
		.amdhsa_exception_fp_ieee_invalid_op 0
		.amdhsa_exception_fp_denorm_src 0
		.amdhsa_exception_fp_ieee_div_zero 0
		.amdhsa_exception_fp_ieee_overflow 0
		.amdhsa_exception_fp_ieee_underflow 0
		.amdhsa_exception_fp_ieee_inexact 0
		.amdhsa_exception_int_div_zero 0
	.end_amdhsa_kernel
	.section	.text._ZL23rocblas_dot_kernel_inc1ILb0ELi512ELi2ELb1E19rocblas_complex_numIfEPKPKS1_S1_EviT4_llS6_lliPT5_PT3_,"axG",@progbits,_ZL23rocblas_dot_kernel_inc1ILb0ELi512ELi2ELb1E19rocblas_complex_numIfEPKPKS1_S1_EviT4_llS6_lliPT5_PT3_,comdat
.Lfunc_end246:
	.size	_ZL23rocblas_dot_kernel_inc1ILb0ELi512ELi2ELb1E19rocblas_complex_numIfEPKPKS1_S1_EviT4_llS6_lliPT5_PT3_, .Lfunc_end246-_ZL23rocblas_dot_kernel_inc1ILb0ELi512ELi2ELb1E19rocblas_complex_numIfEPKPKS1_S1_EviT4_llS6_lliPT5_PT3_
                                        ; -- End function
	.section	.AMDGPU.csdata,"",@progbits
; Kernel info:
; codeLenInByte = 1088
; NumSgprs: 24
; NumVgprs: 12
; NumAgprs: 0
; TotalNumVgprs: 12
; ScratchSize: 0
; MemoryBound: 0
; FloatMode: 240
; IeeeMode: 1
; LDSByteSize: 512 bytes/workgroup (compile time only)
; SGPRBlocks: 2
; VGPRBlocks: 1
; NumSGPRsForWavesPerEU: 24
; NumVGPRsForWavesPerEU: 12
; AccumOffset: 12
; Occupancy: 8
; WaveLimiterHint : 1
; COMPUTE_PGM_RSRC2:SCRATCH_EN: 0
; COMPUTE_PGM_RSRC2:USER_SGPR: 6
; COMPUTE_PGM_RSRC2:TRAP_HANDLER: 0
; COMPUTE_PGM_RSRC2:TGID_X_EN: 1
; COMPUTE_PGM_RSRC2:TGID_Y_EN: 0
; COMPUTE_PGM_RSRC2:TGID_Z_EN: 1
; COMPUTE_PGM_RSRC2:TIDIG_COMP_CNT: 0
; COMPUTE_PGM_RSRC3_GFX90A:ACCUM_OFFSET: 2
; COMPUTE_PGM_RSRC3_GFX90A:TG_SPLIT: 0
	.section	.text._ZL18rocblas_dot_kernelIiLb0ELi512ELi2ELb1E19rocblas_complex_numIfEPKPKS1_S1_EviT5_lT_lS6_lS7_liPT6_PT4_,"axG",@progbits,_ZL18rocblas_dot_kernelIiLb0ELi512ELi2ELb1E19rocblas_complex_numIfEPKPKS1_S1_EviT5_lT_lS6_lS7_liPT6_PT4_,comdat
	.globl	_ZL18rocblas_dot_kernelIiLb0ELi512ELi2ELb1E19rocblas_complex_numIfEPKPKS1_S1_EviT5_lT_lS6_lS7_liPT6_PT4_ ; -- Begin function _ZL18rocblas_dot_kernelIiLb0ELi512ELi2ELb1E19rocblas_complex_numIfEPKPKS1_S1_EviT5_lT_lS6_lS7_liPT6_PT4_
	.p2align	8
	.type	_ZL18rocblas_dot_kernelIiLb0ELi512ELi2ELb1E19rocblas_complex_numIfEPKPKS1_S1_EviT5_lT_lS6_lS7_liPT6_PT4_,@function
_ZL18rocblas_dot_kernelIiLb0ELi512ELi2ELb1E19rocblas_complex_numIfEPKPKS1_S1_EviT5_lT_lS6_lS7_liPT6_PT4_: ; @_ZL18rocblas_dot_kernelIiLb0ELi512ELi2ELb1E19rocblas_complex_numIfEPKPKS1_S1_EviT5_lT_lS6_lS7_liPT6_PT4_
; %bb.0:
	s_mov_b32 s2, s7
	s_load_dword s7, s[4:5], 0x0
	s_load_dword s10, s[4:5], 0x60
	v_lshl_or_b32 v1, s6, 9, v0
	v_mov_b32_e32 v2, 0
	s_mov_b32 s3, 0
	s_waitcnt lgkmcnt(0)
	v_cmp_gt_i32_e32 vcc, s7, v1
	v_mov_b32_e32 v3, v2
	s_and_saveexec_b64 s[0:1], vcc
	s_cbranch_execz .LBB247_4
; %bb.1:
	s_load_dwordx4 s[16:19], s[4:5], 0x8
	s_load_dword s12, s[4:5], 0x18
	s_lshl_b64 s[8:9], s[2:3], 3
	s_waitcnt lgkmcnt(0)
	s_add_u32 s14, s16, s8
	s_addc_u32 s15, s17, s9
	s_load_dwordx2 s[16:17], s[14:15], 0x0
	s_load_dwordx4 s[20:23], s[4:5], 0x28
	s_load_dword s11, s[4:5], 0x38
	s_lshl_b64 s[14:15], s[18:19], 3
	s_waitcnt lgkmcnt(0)
	s_add_u32 s13, s16, s14
	s_addc_u32 s14, s17, s15
	s_add_u32 s8, s20, s8
	s_addc_u32 s9, s21, s9
	s_load_dwordx2 s[8:9], s[8:9], 0x0
	v_mad_i64_i32 v[2:3], s[16:17], v1, s11, 0
	s_lshl_b64 s[16:17], s[22:23], 3
	v_lshlrev_b64 v[2:3], 3, v[2:3]
	s_waitcnt lgkmcnt(0)
	s_add_u32 s15, s8, s16
	s_addc_u32 s16, s9, s17
	v_mov_b32_e32 v4, s16
	v_add_co_u32_e32 v2, vcc, s15, v2
	v_addc_co_u32_e32 v3, vcc, v4, v3, vcc
	v_mad_i64_i32 v[4:5], s[8:9], v1, s12, 0
	v_lshlrev_b64 v[4:5], 3, v[4:5]
	v_mov_b32_e32 v1, s14
	v_add_co_u32_e32 v4, vcc, s13, v4
	v_addc_co_u32_e32 v5, vcc, v1, v5, vcc
	global_load_dwordx2 v[6:7], v[4:5], off
	global_load_dwordx2 v[8:9], v[2:3], off
	s_add_i32 s8, s6, s10
	v_lshl_or_b32 v1, s8, 9, v0
	v_cmp_gt_i32_e32 vcc, s7, v1
	s_waitcnt vmcnt(0)
	v_pk_mul_f32 v[2:3], v[6:7], v[8:9] op_sel:[0,1]
	v_pk_fma_f32 v[4:5], v[6:7], v[8:9], v[2:3] op_sel:[0,0,1] op_sel_hi:[1,1,0]
	v_pk_fma_f32 v[2:3], v[6:7], v[8:9], v[2:3] op_sel:[0,0,1] op_sel_hi:[1,0,0] neg_lo:[1,0,0] neg_hi:[1,0,0]
	v_mov_b32_e32 v5, v3
	v_pk_add_f32 v[2:3], v[4:5], 0 op_sel_hi:[1,0]
	s_and_saveexec_b64 s[8:9], vcc
	s_cbranch_execz .LBB247_3
; %bb.2:
	v_mad_i64_i32 v[4:5], s[18:19], v1, s12, 0
	v_lshlrev_b64 v[4:5], 3, v[4:5]
	v_mov_b32_e32 v6, s14
	v_add_co_u32_e32 v4, vcc, s13, v4
	v_addc_co_u32_e32 v5, vcc, v6, v5, vcc
	v_mad_i64_i32 v[6:7], s[12:13], v1, s11, 0
	v_lshlrev_b64 v[6:7], 3, v[6:7]
	v_mov_b32_e32 v1, s16
	v_add_co_u32_e32 v6, vcc, s15, v6
	v_addc_co_u32_e32 v7, vcc, v1, v7, vcc
	global_load_dwordx2 v[4:5], v[4:5], off
	s_nop 0
	global_load_dwordx2 v[6:7], v[6:7], off
	s_waitcnt vmcnt(0)
	v_pk_mul_f32 v[8:9], v[4:5], v[6:7] op_sel:[0,1]
	v_pk_fma_f32 v[10:11], v[4:5], v[6:7], v[8:9] op_sel:[0,0,1] op_sel_hi:[1,1,0]
	v_pk_fma_f32 v[4:5], v[4:5], v[6:7], v[8:9] op_sel:[0,0,1] op_sel_hi:[1,0,0] neg_lo:[1,0,0] neg_hi:[1,0,0]
	v_mov_b32_e32 v11, v5
	v_pk_add_f32 v[2:3], v[2:3], v[10:11]
.LBB247_3:
	s_or_b64 exec, exec, s[8:9]
.LBB247_4:
	s_or_b64 exec, exec, s[0:1]
	v_and_b32_e32 v6, 63, v0
	v_cmp_gt_u32_e32 vcc, 64, v0
	v_lshlrev_b32_e32 v1, 3, v6
	s_and_saveexec_b64 s[0:1], vcc
	s_cbranch_execz .LBB247_6
; %bb.5:
	v_mov_b32_e32 v4, 0
	v_mov_b32_e32 v5, v4
	ds_write_b64 v1, v[4:5]
.LBB247_6:
	s_or_b64 exec, exec, s[0:1]
	v_mbcnt_lo_u32_b32 v4, -1, 0
	v_mbcnt_hi_u32_b32 v9, -1, v4
	v_and_b32_e32 v10, 63, v9
	v_cmp_gt_u32_e64 s[0:1], 32, v10
	v_cndmask_b32_e64 v4, 0, 1, s[0:1]
	v_lshlrev_b32_e32 v4, 5, v4
	v_add_lshl_u32 v5, v4, v9, 2
	ds_bpermute_b32 v4, v5, v2
	ds_bpermute_b32 v5, v5, v3
	v_cmp_gt_u32_e64 s[0:1], 48, v10
	v_cndmask_b32_e64 v7, 0, 1, s[0:1]
	v_lshlrev_b32_e32 v7, 4, v7
	v_add_lshl_u32 v7, v7, v9, 2
	s_waitcnt lgkmcnt(0)
	v_pk_add_f32 v[2:3], v[2:3], v[4:5]
	ds_bpermute_b32 v4, v7, v2
	ds_bpermute_b32 v5, v7, v3
	v_cmp_gt_u32_e64 s[0:1], 56, v10
	v_cndmask_b32_e64 v7, 0, 1, s[0:1]
	v_lshlrev_b32_e32 v7, 3, v7
	v_add_lshl_u32 v7, v7, v9, 2
	s_waitcnt lgkmcnt(0)
	v_pk_add_f32 v[2:3], v[2:3], v[4:5]
	;; [unrolled: 8-line block ×4, first 2 shown]
	ds_bpermute_b32 v4, v8, v2
	ds_bpermute_b32 v5, v8, v3
	v_cmp_ne_u32_e64 s[0:1], 63, v10
	s_waitcnt lgkmcnt(0)
	s_barrier
	v_pk_add_f32 v[2:3], v[2:3], v[4:5]
	v_addc_co_u32_e64 v4, s[0:1], 0, v9, s[0:1]
	v_lshlrev_b32_e32 v9, 2, v4
	ds_bpermute_b32 v4, v9, v2
	ds_bpermute_b32 v5, v9, v3
	v_cmp_eq_u32_e64 s[0:1], 0, v6
	s_and_saveexec_b64 s[8:9], s[0:1]
	s_cbranch_execz .LBB247_8
; %bb.7:
	v_lshrrev_b32_e32 v6, 3, v0
	v_and_b32_e32 v6, 56, v6
	s_waitcnt lgkmcnt(0)
	v_pk_add_f32 v[2:3], v[2:3], v[4:5]
	ds_write_b64 v6, v[2:3]
.LBB247_8:
	s_or_b64 exec, exec, s[8:9]
	v_cmp_gt_u32_e64 s[0:1], 8, v0
	v_mov_b32_e32 v2, 0
	v_mov_b32_e32 v3, 0
	s_waitcnt lgkmcnt(0)
	s_barrier
	s_and_saveexec_b64 s[8:9], s[0:1]
	s_cbranch_execnz .LBB247_12
; %bb.9:
	s_or_b64 exec, exec, s[8:9]
	s_and_saveexec_b64 s[0:1], vcc
	s_cbranch_execnz .LBB247_13
.LBB247_10:
	s_or_b64 exec, exec, s[0:1]
	v_cmp_eq_u32_e32 vcc, 0, v0
	s_and_saveexec_b64 s[0:1], vcc
	s_cbranch_execnz .LBB247_14
.LBB247_11:
	s_endpgm
.LBB247_12:
	ds_read_b64 v[2:3], v1
	s_or_b64 exec, exec, s[8:9]
	s_and_saveexec_b64 s[0:1], vcc
	s_cbranch_execz .LBB247_10
.LBB247_13:
	s_waitcnt lgkmcnt(0)
	ds_bpermute_b32 v4, v7, v2
	ds_bpermute_b32 v5, v7, v3
	s_waitcnt lgkmcnt(0)
	v_pk_add_f32 v[2:3], v[2:3], v[4:5]
	ds_bpermute_b32 v4, v8, v2
	ds_bpermute_b32 v5, v8, v3
	s_waitcnt lgkmcnt(0)
	v_pk_add_f32 v[2:3], v[2:3], v[4:5]
	;; [unrolled: 4-line block ×3, first 2 shown]
	s_or_b64 exec, exec, s[0:1]
	v_cmp_eq_u32_e32 vcc, 0, v0
	s_and_saveexec_b64 s[0:1], vcc
	s_cbranch_execz .LBB247_11
.LBB247_14:
	s_cmp_lg_u32 s10, 1
	s_cbranch_scc0 .LBB247_16
; %bb.15:
	s_load_dwordx2 s[0:1], s[4:5], 0x50
	s_mul_hi_u32 s9, s10, s2
	s_mul_i32 s8, s10, s2
	s_lshl_b64 s[8:9], s[8:9], 3
	s_mov_b32 s7, 0
	s_waitcnt lgkmcnt(0)
	s_add_u32 s8, s0, s8
	s_addc_u32 s9, s1, s9
	s_lshl_b64 s[0:1], s[6:7], 3
	s_add_u32 s0, s8, s0
	s_addc_u32 s1, s9, s1
	s_cbranch_execz .LBB247_17
	s_branch .LBB247_18
.LBB247_16:
                                        ; implicit-def: $sgpr0_sgpr1
.LBB247_17:
	s_load_dwordx2 s[0:1], s[4:5], 0x58
	s_lshl_b64 s[2:3], s[2:3], 3
	s_waitcnt lgkmcnt(0)
	s_add_u32 s0, s0, s2
	s_addc_u32 s1, s1, s3
.LBB247_18:
	v_mov_b32_e32 v0, 0
	s_waitcnt lgkmcnt(0)
	global_store_dwordx2 v0, v[2:3], s[0:1]
	s_endpgm
	.section	.rodata,"a",@progbits
	.p2align	6, 0x0
	.amdhsa_kernel _ZL18rocblas_dot_kernelIiLb0ELi512ELi2ELb1E19rocblas_complex_numIfEPKPKS1_S1_EviT5_lT_lS6_lS7_liPT6_PT4_
		.amdhsa_group_segment_fixed_size 512
		.amdhsa_private_segment_fixed_size 0
		.amdhsa_kernarg_size 352
		.amdhsa_user_sgpr_count 6
		.amdhsa_user_sgpr_private_segment_buffer 1
		.amdhsa_user_sgpr_dispatch_ptr 0
		.amdhsa_user_sgpr_queue_ptr 0
		.amdhsa_user_sgpr_kernarg_segment_ptr 1
		.amdhsa_user_sgpr_dispatch_id 0
		.amdhsa_user_sgpr_flat_scratch_init 0
		.amdhsa_user_sgpr_kernarg_preload_length 0
		.amdhsa_user_sgpr_kernarg_preload_offset 0
		.amdhsa_user_sgpr_private_segment_size 0
		.amdhsa_uses_dynamic_stack 0
		.amdhsa_system_sgpr_private_segment_wavefront_offset 0
		.amdhsa_system_sgpr_workgroup_id_x 1
		.amdhsa_system_sgpr_workgroup_id_y 0
		.amdhsa_system_sgpr_workgroup_id_z 1
		.amdhsa_system_sgpr_workgroup_info 0
		.amdhsa_system_vgpr_workitem_id 0
		.amdhsa_next_free_vgpr 12
		.amdhsa_next_free_sgpr 24
		.amdhsa_accum_offset 12
		.amdhsa_reserve_vcc 1
		.amdhsa_reserve_flat_scratch 0
		.amdhsa_float_round_mode_32 0
		.amdhsa_float_round_mode_16_64 0
		.amdhsa_float_denorm_mode_32 3
		.amdhsa_float_denorm_mode_16_64 3
		.amdhsa_dx10_clamp 1
		.amdhsa_ieee_mode 1
		.amdhsa_fp16_overflow 0
		.amdhsa_tg_split 0
		.amdhsa_exception_fp_ieee_invalid_op 0
		.amdhsa_exception_fp_denorm_src 0
		.amdhsa_exception_fp_ieee_div_zero 0
		.amdhsa_exception_fp_ieee_overflow 0
		.amdhsa_exception_fp_ieee_underflow 0
		.amdhsa_exception_fp_ieee_inexact 0
		.amdhsa_exception_int_div_zero 0
	.end_amdhsa_kernel
	.section	.text._ZL18rocblas_dot_kernelIiLb0ELi512ELi2ELb1E19rocblas_complex_numIfEPKPKS1_S1_EviT5_lT_lS6_lS7_liPT6_PT4_,"axG",@progbits,_ZL18rocblas_dot_kernelIiLb0ELi512ELi2ELb1E19rocblas_complex_numIfEPKPKS1_S1_EviT5_lT_lS6_lS7_liPT6_PT4_,comdat
.Lfunc_end247:
	.size	_ZL18rocblas_dot_kernelIiLb0ELi512ELi2ELb1E19rocblas_complex_numIfEPKPKS1_S1_EviT5_lT_lS6_lS7_liPT6_PT4_, .Lfunc_end247-_ZL18rocblas_dot_kernelIiLb0ELi512ELi2ELb1E19rocblas_complex_numIfEPKPKS1_S1_EviT5_lT_lS6_lS7_liPT6_PT4_
                                        ; -- End function
	.section	.AMDGPU.csdata,"",@progbits
; Kernel info:
; codeLenInByte = 1144
; NumSgprs: 28
; NumVgprs: 12
; NumAgprs: 0
; TotalNumVgprs: 12
; ScratchSize: 0
; MemoryBound: 0
; FloatMode: 240
; IeeeMode: 1
; LDSByteSize: 512 bytes/workgroup (compile time only)
; SGPRBlocks: 3
; VGPRBlocks: 1
; NumSGPRsForWavesPerEU: 28
; NumVGPRsForWavesPerEU: 12
; AccumOffset: 12
; Occupancy: 8
; WaveLimiterHint : 1
; COMPUTE_PGM_RSRC2:SCRATCH_EN: 0
; COMPUTE_PGM_RSRC2:USER_SGPR: 6
; COMPUTE_PGM_RSRC2:TRAP_HANDLER: 0
; COMPUTE_PGM_RSRC2:TGID_X_EN: 1
; COMPUTE_PGM_RSRC2:TGID_Y_EN: 0
; COMPUTE_PGM_RSRC2:TGID_Z_EN: 1
; COMPUTE_PGM_RSRC2:TIDIG_COMP_CNT: 0
; COMPUTE_PGM_RSRC3_GFX90A:ACCUM_OFFSET: 2
; COMPUTE_PGM_RSRC3_GFX90A:TG_SPLIT: 0
	.section	.text._ZL24rocblas_dot_kernel_magsqIiLb0ELi512ELi2ELb1E19rocblas_complex_numIfEPKPKS1_S1_EviT5_lT_liPT6_PT4_,"axG",@progbits,_ZL24rocblas_dot_kernel_magsqIiLb0ELi512ELi2ELb1E19rocblas_complex_numIfEPKPKS1_S1_EviT5_lT_liPT6_PT4_,comdat
	.globl	_ZL24rocblas_dot_kernel_magsqIiLb0ELi512ELi2ELb1E19rocblas_complex_numIfEPKPKS1_S1_EviT5_lT_liPT6_PT4_ ; -- Begin function _ZL24rocblas_dot_kernel_magsqIiLb0ELi512ELi2ELb1E19rocblas_complex_numIfEPKPKS1_S1_EviT5_lT_liPT6_PT4_
	.p2align	8
	.type	_ZL24rocblas_dot_kernel_magsqIiLb0ELi512ELi2ELb1E19rocblas_complex_numIfEPKPKS1_S1_EviT5_lT_liPT6_PT4_,@function
_ZL24rocblas_dot_kernel_magsqIiLb0ELi512ELi2ELb1E19rocblas_complex_numIfEPKPKS1_S1_EviT5_lT_liPT6_PT4_: ; @_ZL24rocblas_dot_kernel_magsqIiLb0ELi512ELi2ELb1E19rocblas_complex_numIfEPKPKS1_S1_EviT5_lT_liPT6_PT4_
; %bb.0:
	s_mov_b32 s2, s7
	s_load_dword s7, s[4:5], 0x0
	s_load_dword s10, s[4:5], 0x40
	v_lshl_or_b32 v1, s6, 9, v0
	v_mov_b32_e32 v2, 0
	s_mov_b32 s3, 0
	s_waitcnt lgkmcnt(0)
	v_cmp_gt_i32_e32 vcc, s7, v1
	v_mov_b32_e32 v3, v2
	s_and_saveexec_b64 s[0:1], vcc
	s_cbranch_execz .LBB248_4
; %bb.1:
	s_load_dwordx4 s[12:15], s[4:5], 0x8
	s_load_dword s11, s[4:5], 0x18
	s_lshl_b64 s[8:9], s[2:3], 3
	s_waitcnt lgkmcnt(0)
	s_add_u32 s8, s12, s8
	s_addc_u32 s9, s13, s9
	s_load_dwordx2 s[8:9], s[8:9], 0x0
	v_mad_i64_i32 v[2:3], s[12:13], v1, s11, 0
	s_lshl_b64 s[12:13], s[14:15], 3
	v_lshlrev_b64 v[2:3], 3, v[2:3]
	s_waitcnt lgkmcnt(0)
	s_add_u32 s12, s8, s12
	s_addc_u32 s13, s9, s13
	v_mov_b32_e32 v1, s13
	v_add_co_u32_e32 v2, vcc, s12, v2
	v_addc_co_u32_e32 v3, vcc, v1, v3, vcc
	global_load_dwordx2 v[2:3], v[2:3], off
	s_add_i32 s8, s6, s10
	v_lshl_or_b32 v1, s8, 9, v0
	v_cmp_gt_i32_e32 vcc, s7, v1
	s_waitcnt vmcnt(0)
	v_pk_mul_f32 v[4:5], v[2:3], v[2:3]
	v_pk_mul_f32 v[6:7], v[2:3], v[2:3] op_sel_hi:[0,1]
	v_mov_b32_e32 v4, v5
	v_mov_b32_e32 v5, v7
	v_pk_fma_f32 v[6:7], v[2:3], v[2:3], v[6:7] op_sel_hi:[0,1,1] neg_lo:[0,0,1] neg_hi:[0,0,1]
	v_pk_fma_f32 v[2:3], v[2:3], v[2:3], v[4:5] op_sel_hi:[0,1,1]
	v_mov_b32_e32 v3, v7
	v_pk_add_f32 v[2:3], v[2:3], 0 op_sel_hi:[1,0]
	s_and_saveexec_b64 s[8:9], vcc
	s_cbranch_execz .LBB248_3
; %bb.2:
	v_mad_i64_i32 v[4:5], s[14:15], v1, s11, 0
	v_lshlrev_b64 v[4:5], 3, v[4:5]
	v_mov_b32_e32 v1, s13
	v_add_co_u32_e32 v4, vcc, s12, v4
	v_addc_co_u32_e32 v5, vcc, v1, v5, vcc
	global_load_dwordx2 v[4:5], v[4:5], off
	s_waitcnt vmcnt(0)
	v_pk_mul_f32 v[6:7], v[4:5], v[4:5] op_sel_hi:[0,1]
	v_pk_mul_f32 v[8:9], v[4:5], v[4:5]
	v_mov_b32_e32 v8, v9
	v_mov_b32_e32 v9, v7
	v_pk_fma_f32 v[8:9], v[4:5], v[4:5], v[8:9] op_sel_hi:[0,1,1]
	v_pk_fma_f32 v[4:5], v[4:5], v[4:5], v[6:7] op_sel_hi:[0,1,1] neg_lo:[0,0,1] neg_hi:[0,0,1]
	v_mov_b32_e32 v9, v5
	v_pk_add_f32 v[2:3], v[2:3], v[8:9]
.LBB248_3:
	s_or_b64 exec, exec, s[8:9]
.LBB248_4:
	s_or_b64 exec, exec, s[0:1]
	v_and_b32_e32 v6, 63, v0
	v_cmp_gt_u32_e32 vcc, 64, v0
	v_lshlrev_b32_e32 v1, 3, v6
	s_and_saveexec_b64 s[0:1], vcc
	s_cbranch_execz .LBB248_6
; %bb.5:
	v_mov_b32_e32 v4, 0
	v_mov_b32_e32 v5, v4
	ds_write_b64 v1, v[4:5]
.LBB248_6:
	s_or_b64 exec, exec, s[0:1]
	v_mbcnt_lo_u32_b32 v4, -1, 0
	v_mbcnt_hi_u32_b32 v9, -1, v4
	v_and_b32_e32 v10, 63, v9
	v_cmp_gt_u32_e64 s[0:1], 32, v10
	v_cndmask_b32_e64 v4, 0, 1, s[0:1]
	v_lshlrev_b32_e32 v4, 5, v4
	v_add_lshl_u32 v5, v4, v9, 2
	ds_bpermute_b32 v4, v5, v2
	ds_bpermute_b32 v5, v5, v3
	v_cmp_gt_u32_e64 s[0:1], 48, v10
	v_cndmask_b32_e64 v7, 0, 1, s[0:1]
	v_lshlrev_b32_e32 v7, 4, v7
	v_add_lshl_u32 v7, v7, v9, 2
	s_waitcnt lgkmcnt(0)
	v_pk_add_f32 v[2:3], v[2:3], v[4:5]
	ds_bpermute_b32 v4, v7, v2
	ds_bpermute_b32 v5, v7, v3
	v_cmp_gt_u32_e64 s[0:1], 56, v10
	v_cndmask_b32_e64 v7, 0, 1, s[0:1]
	v_lshlrev_b32_e32 v7, 3, v7
	v_add_lshl_u32 v7, v7, v9, 2
	s_waitcnt lgkmcnt(0)
	v_pk_add_f32 v[2:3], v[2:3], v[4:5]
	;; [unrolled: 8-line block ×4, first 2 shown]
	ds_bpermute_b32 v4, v8, v2
	ds_bpermute_b32 v5, v8, v3
	v_cmp_ne_u32_e64 s[0:1], 63, v10
	s_waitcnt lgkmcnt(0)
	s_barrier
	v_pk_add_f32 v[2:3], v[2:3], v[4:5]
	v_addc_co_u32_e64 v4, s[0:1], 0, v9, s[0:1]
	v_lshlrev_b32_e32 v9, 2, v4
	ds_bpermute_b32 v4, v9, v2
	ds_bpermute_b32 v5, v9, v3
	v_cmp_eq_u32_e64 s[0:1], 0, v6
	s_and_saveexec_b64 s[8:9], s[0:1]
	s_cbranch_execz .LBB248_8
; %bb.7:
	v_lshrrev_b32_e32 v6, 3, v0
	v_and_b32_e32 v6, 56, v6
	s_waitcnt lgkmcnt(0)
	v_pk_add_f32 v[2:3], v[2:3], v[4:5]
	ds_write_b64 v6, v[2:3]
.LBB248_8:
	s_or_b64 exec, exec, s[8:9]
	v_cmp_gt_u32_e64 s[0:1], 8, v0
	v_mov_b32_e32 v2, 0
	v_mov_b32_e32 v3, 0
	s_waitcnt lgkmcnt(0)
	s_barrier
	s_and_saveexec_b64 s[8:9], s[0:1]
	s_cbranch_execnz .LBB248_12
; %bb.9:
	s_or_b64 exec, exec, s[8:9]
	s_and_saveexec_b64 s[0:1], vcc
	s_cbranch_execnz .LBB248_13
.LBB248_10:
	s_or_b64 exec, exec, s[0:1]
	v_cmp_eq_u32_e32 vcc, 0, v0
	s_and_saveexec_b64 s[0:1], vcc
	s_cbranch_execnz .LBB248_14
.LBB248_11:
	s_endpgm
.LBB248_12:
	ds_read_b64 v[2:3], v1
	s_or_b64 exec, exec, s[8:9]
	s_and_saveexec_b64 s[0:1], vcc
	s_cbranch_execz .LBB248_10
.LBB248_13:
	s_waitcnt lgkmcnt(0)
	ds_bpermute_b32 v4, v7, v2
	ds_bpermute_b32 v5, v7, v3
	s_waitcnt lgkmcnt(0)
	v_pk_add_f32 v[2:3], v[2:3], v[4:5]
	ds_bpermute_b32 v4, v8, v2
	ds_bpermute_b32 v5, v8, v3
	s_waitcnt lgkmcnt(0)
	v_pk_add_f32 v[2:3], v[2:3], v[4:5]
	;; [unrolled: 4-line block ×3, first 2 shown]
	s_or_b64 exec, exec, s[0:1]
	v_cmp_eq_u32_e32 vcc, 0, v0
	s_and_saveexec_b64 s[0:1], vcc
	s_cbranch_execz .LBB248_11
.LBB248_14:
	s_cmp_lg_u32 s10, 1
	s_cbranch_scc0 .LBB248_16
; %bb.15:
	s_load_dwordx2 s[0:1], s[4:5], 0x30
	s_mul_hi_u32 s9, s10, s2
	s_mul_i32 s8, s10, s2
	s_lshl_b64 s[8:9], s[8:9], 3
	s_mov_b32 s7, 0
	s_waitcnt lgkmcnt(0)
	s_add_u32 s8, s0, s8
	s_addc_u32 s9, s1, s9
	s_lshl_b64 s[0:1], s[6:7], 3
	s_add_u32 s0, s8, s0
	s_addc_u32 s1, s9, s1
	s_cbranch_execz .LBB248_17
	s_branch .LBB248_18
.LBB248_16:
                                        ; implicit-def: $sgpr0_sgpr1
.LBB248_17:
	s_load_dwordx2 s[0:1], s[4:5], 0x38
	s_lshl_b64 s[2:3], s[2:3], 3
	s_waitcnt lgkmcnt(0)
	s_add_u32 s0, s0, s2
	s_addc_u32 s1, s1, s3
.LBB248_18:
	v_mov_b32_e32 v0, 0
	s_waitcnt lgkmcnt(0)
	global_store_dwordx2 v0, v[2:3], s[0:1]
	s_endpgm
	.section	.rodata,"a",@progbits
	.p2align	6, 0x0
	.amdhsa_kernel _ZL24rocblas_dot_kernel_magsqIiLb0ELi512ELi2ELb1E19rocblas_complex_numIfEPKPKS1_S1_EviT5_lT_liPT6_PT4_
		.amdhsa_group_segment_fixed_size 512
		.amdhsa_private_segment_fixed_size 0
		.amdhsa_kernarg_size 320
		.amdhsa_user_sgpr_count 6
		.amdhsa_user_sgpr_private_segment_buffer 1
		.amdhsa_user_sgpr_dispatch_ptr 0
		.amdhsa_user_sgpr_queue_ptr 0
		.amdhsa_user_sgpr_kernarg_segment_ptr 1
		.amdhsa_user_sgpr_dispatch_id 0
		.amdhsa_user_sgpr_flat_scratch_init 0
		.amdhsa_user_sgpr_kernarg_preload_length 0
		.amdhsa_user_sgpr_kernarg_preload_offset 0
		.amdhsa_user_sgpr_private_segment_size 0
		.amdhsa_uses_dynamic_stack 0
		.amdhsa_system_sgpr_private_segment_wavefront_offset 0
		.amdhsa_system_sgpr_workgroup_id_x 1
		.amdhsa_system_sgpr_workgroup_id_y 0
		.amdhsa_system_sgpr_workgroup_id_z 1
		.amdhsa_system_sgpr_workgroup_info 0
		.amdhsa_system_vgpr_workitem_id 0
		.amdhsa_next_free_vgpr 11
		.amdhsa_next_free_sgpr 16
		.amdhsa_accum_offset 12
		.amdhsa_reserve_vcc 1
		.amdhsa_reserve_flat_scratch 0
		.amdhsa_float_round_mode_32 0
		.amdhsa_float_round_mode_16_64 0
		.amdhsa_float_denorm_mode_32 3
		.amdhsa_float_denorm_mode_16_64 3
		.amdhsa_dx10_clamp 1
		.amdhsa_ieee_mode 1
		.amdhsa_fp16_overflow 0
		.amdhsa_tg_split 0
		.amdhsa_exception_fp_ieee_invalid_op 0
		.amdhsa_exception_fp_denorm_src 0
		.amdhsa_exception_fp_ieee_div_zero 0
		.amdhsa_exception_fp_ieee_overflow 0
		.amdhsa_exception_fp_ieee_underflow 0
		.amdhsa_exception_fp_ieee_inexact 0
		.amdhsa_exception_int_div_zero 0
	.end_amdhsa_kernel
	.section	.text._ZL24rocblas_dot_kernel_magsqIiLb0ELi512ELi2ELb1E19rocblas_complex_numIfEPKPKS1_S1_EviT5_lT_liPT6_PT4_,"axG",@progbits,_ZL24rocblas_dot_kernel_magsqIiLb0ELi512ELi2ELb1E19rocblas_complex_numIfEPKPKS1_S1_EviT5_lT_liPT6_PT4_,comdat
.Lfunc_end248:
	.size	_ZL24rocblas_dot_kernel_magsqIiLb0ELi512ELi2ELb1E19rocblas_complex_numIfEPKPKS1_S1_EviT5_lT_liPT6_PT4_, .Lfunc_end248-_ZL24rocblas_dot_kernel_magsqIiLb0ELi512ELi2ELb1E19rocblas_complex_numIfEPKPKS1_S1_EviT5_lT_liPT6_PT4_
                                        ; -- End function
	.section	.AMDGPU.csdata,"",@progbits
; Kernel info:
; codeLenInByte = 1052
; NumSgprs: 20
; NumVgprs: 11
; NumAgprs: 0
; TotalNumVgprs: 11
; ScratchSize: 0
; MemoryBound: 0
; FloatMode: 240
; IeeeMode: 1
; LDSByteSize: 512 bytes/workgroup (compile time only)
; SGPRBlocks: 2
; VGPRBlocks: 1
; NumSGPRsForWavesPerEU: 20
; NumVGPRsForWavesPerEU: 11
; AccumOffset: 12
; Occupancy: 8
; WaveLimiterHint : 1
; COMPUTE_PGM_RSRC2:SCRATCH_EN: 0
; COMPUTE_PGM_RSRC2:USER_SGPR: 6
; COMPUTE_PGM_RSRC2:TRAP_HANDLER: 0
; COMPUTE_PGM_RSRC2:TGID_X_EN: 1
; COMPUTE_PGM_RSRC2:TGID_Y_EN: 0
; COMPUTE_PGM_RSRC2:TGID_Z_EN: 1
; COMPUTE_PGM_RSRC2:TIDIG_COMP_CNT: 0
; COMPUTE_PGM_RSRC3_GFX90A:ACCUM_OFFSET: 2
; COMPUTE_PGM_RSRC3_GFX90A:TG_SPLIT: 0
	.section	.text._ZL28rocblas_dot_batched_4_kernelIlLi32ELi4ELb1E19rocblas_complex_numIfES1_PKPKS1_EviT5_lT_lS6_lS7_liPT4_,"axG",@progbits,_ZL28rocblas_dot_batched_4_kernelIlLi32ELi4ELb1E19rocblas_complex_numIfES1_PKPKS1_EviT5_lT_lS6_lS7_liPT4_,comdat
	.globl	_ZL28rocblas_dot_batched_4_kernelIlLi32ELi4ELb1E19rocblas_complex_numIfES1_PKPKS1_EviT5_lT_lS6_lS7_liPT4_ ; -- Begin function _ZL28rocblas_dot_batched_4_kernelIlLi32ELi4ELb1E19rocblas_complex_numIfES1_PKPKS1_EviT5_lT_lS6_lS7_liPT4_
	.p2align	8
	.type	_ZL28rocblas_dot_batched_4_kernelIlLi32ELi4ELb1E19rocblas_complex_numIfES1_PKPKS1_EviT5_lT_lS6_lS7_liPT4_,@function
_ZL28rocblas_dot_batched_4_kernelIlLi32ELi4ELb1E19rocblas_complex_numIfES1_PKPKS1_EviT5_lT_lS6_lS7_liPT4_: ; @_ZL28rocblas_dot_batched_4_kernelIlLi32ELi4ELb1E19rocblas_complex_numIfES1_PKPKS1_EviT5_lT_lS6_lS7_liPT4_
; %bb.0:
	s_load_dword s0, s[4:5], 0x48
	v_bfe_u32 v1, v0, 10, 10
	v_lshl_add_u32 v2, s6, 2, v1
	s_waitcnt lgkmcnt(0)
	v_cmp_gt_u32_e32 vcc, s0, v2
	s_and_saveexec_b64 s[0:1], vcc
	s_cbranch_execz .LBB249_7
; %bb.1:
	s_load_dword s14, s[4:5], 0x0
	s_load_dwordx2 s[8:9], s[4:5], 0x50
	v_mov_b32_e32 v3, 0
	v_and_b32_e32 v8, 0x3ff, v0
	v_lshlrev_b64 v[0:1], 3, v[2:3]
	s_waitcnt lgkmcnt(0)
	v_cmp_gt_i32_e32 vcc, s14, v8
	v_mov_b32_e32 v2, v3
	s_and_saveexec_b64 s[10:11], vcc
	s_cbranch_execz .LBB249_5
; %bb.2:
	s_load_dwordx2 s[6:7], s[4:5], 0x8
	s_load_dwordx2 s[12:13], s[4:5], 0x28
	s_load_dwordx4 s[0:3], s[4:5], 0x10
	v_mov_b32_e32 v9, v8
	s_waitcnt lgkmcnt(0)
	v_mov_b32_e32 v3, s7
	v_add_co_u32_e32 v2, vcc, s6, v0
	v_addc_co_u32_e32 v3, vcc, v3, v1, vcc
	global_load_dwordx2 v[4:5], v[2:3], off
	v_mov_b32_e32 v3, s13
	v_add_co_u32_e32 v2, vcc, s12, v0
	v_addc_co_u32_e32 v3, vcc, v3, v1, vcc
	global_load_dwordx2 v[6:7], v[2:3], off
	s_load_dwordx4 s[4:7], s[4:5], 0x30
	v_mad_u64_u32 v[12:13], s[16:17], s2, v8, 0
	v_mov_b32_e32 v16, v13
	s_lshl_b64 s[16:17], s[0:1], 3
	s_lshl_b64 s[0:1], s[2:3], 8
	s_waitcnt lgkmcnt(0)
	v_mad_u64_u32 v[14:15], s[18:19], s6, v8, 0
	v_mad_u64_u32 v[16:17], s[2:3], s3, v8, v[16:17]
	v_mov_b32_e32 v18, v15
	v_mov_b32_e32 v13, v16
	v_mad_u64_u32 v[18:19], s[2:3], s7, v8, v[18:19]
	v_lshlrev_b64 v[12:13], 3, v[12:13]
	v_mov_b32_e32 v3, s17
	v_mov_b32_e32 v15, v18
	v_add_co_u32_e32 v12, vcc, s16, v12
	s_lshl_b64 s[18:19], s[4:5], 3
	v_lshlrev_b64 v[14:15], 3, v[14:15]
	v_addc_co_u32_e32 v3, vcc, v13, v3, vcc
	v_mov_b32_e32 v20, s19
	v_add_co_u32_e32 v13, vcc, s18, v14
	v_addc_co_u32_e32 v14, vcc, v15, v20, vcc
	v_mov_b32_e32 v2, 0
	s_lshl_b64 s[4:5], s[6:7], 8
	s_mov_b64 s[12:13], 0
	v_mov_b32_e32 v10, s1
	v_mov_b32_e32 v11, s5
	s_waitcnt vmcnt(1)
	v_add_co_u32_e32 v12, vcc, v12, v4
	v_addc_co_u32_e32 v3, vcc, v3, v5, vcc
	s_waitcnt vmcnt(0)
	v_add_co_u32_e32 v4, vcc, v6, v13
	v_addc_co_u32_e32 v5, vcc, v7, v14, vcc
	v_add_co_u32_e32 v6, vcc, 4, v12
	v_addc_co_u32_e32 v7, vcc, 0, v3, vcc
	v_mov_b32_e32 v3, v2
.LBB249_3:                              ; =>This Inner Loop Header: Depth=1
	global_load_dwordx2 v[12:13], v[6:7], off offset:-4
	global_load_dwordx2 v[14:15], v[4:5], off
	v_add_co_u32_e32 v6, vcc, s0, v6
	v_addc_co_u32_e32 v7, vcc, v7, v10, vcc
	v_add_co_u32_e32 v4, vcc, s4, v4
	v_add_u32_e32 v9, 32, v9
	v_addc_co_u32_e32 v5, vcc, v5, v11, vcc
	v_cmp_le_i32_e32 vcc, s14, v9
	s_or_b64 s[12:13], vcc, s[12:13]
	s_waitcnt vmcnt(0)
	v_pk_mul_f32 v[16:17], v[12:13], v[14:15] op_sel:[1,0]
	v_pk_fma_f32 v[18:19], v[12:13], v[14:15], v[16:17] op_sel:[0,0,1] op_sel_hi:[1,1,0]
	v_pk_fma_f32 v[12:13], v[12:13], v[14:15], v[16:17] op_sel:[0,0,1] op_sel_hi:[0,1,0] neg_lo:[0,0,1] neg_hi:[0,0,1]
	v_mov_b32_e32 v19, v13
	v_pk_add_f32 v[2:3], v[2:3], v[18:19]
	s_andn2_b64 exec, exec, s[12:13]
	s_cbranch_execnz .LBB249_3
; %bb.4:
	s_or_b64 exec, exec, s[12:13]
.LBB249_5:
	s_or_b64 exec, exec, s[10:11]
	v_mbcnt_lo_u32_b32 v4, -1, 0
	v_mbcnt_hi_u32_b32 v6, -1, v4
	v_and_b32_e32 v7, 63, v6
	v_cmp_gt_u32_e32 vcc, 48, v7
	v_cndmask_b32_e64 v4, 0, 1, vcc
	v_lshlrev_b32_e32 v4, 4, v4
	v_add_lshl_u32 v5, v4, v6, 2
	ds_bpermute_b32 v4, v5, v2
	ds_bpermute_b32 v5, v5, v3
	v_cmp_gt_u32_e32 vcc, 56, v7
	v_cndmask_b32_e64 v9, 0, 1, vcc
	v_lshlrev_b32_e32 v9, 3, v9
	v_add_lshl_u32 v9, v9, v6, 2
	s_waitcnt lgkmcnt(0)
	v_pk_add_f32 v[2:3], v[2:3], v[4:5]
	ds_bpermute_b32 v4, v9, v2
	ds_bpermute_b32 v5, v9, v3
	v_cmp_gt_u32_e32 vcc, 60, v7
	v_cndmask_b32_e64 v9, 0, 1, vcc
	v_lshlrev_b32_e32 v9, 2, v9
	v_add_lshl_u32 v9, v9, v6, 2
	s_waitcnt lgkmcnt(0)
	v_pk_add_f32 v[2:3], v[2:3], v[4:5]
	;; [unrolled: 8-line block ×3, first 2 shown]
	ds_bpermute_b32 v4, v9, v2
	ds_bpermute_b32 v5, v9, v3
	v_cmp_ne_u32_e32 vcc, 63, v7
	s_waitcnt lgkmcnt(0)
	s_barrier
	v_pk_add_f32 v[2:3], v[2:3], v[4:5]
	v_addc_co_u32_e32 v4, vcc, 0, v6, vcc
	v_lshlrev_b32_e32 v5, 2, v4
	ds_bpermute_b32 v4, v5, v2
	ds_bpermute_b32 v5, v5, v3
	v_cmp_eq_u32_e32 vcc, 0, v8
	s_and_b64 exec, exec, vcc
	s_cbranch_execz .LBB249_7
; %bb.6:
	v_mov_b32_e32 v6, s9
	v_add_co_u32_e32 v0, vcc, s8, v0
	v_addc_co_u32_e32 v1, vcc, v6, v1, vcc
	s_waitcnt lgkmcnt(0)
	v_pk_add_f32 v[2:3], v[2:3], v[4:5]
	global_store_dwordx2 v[0:1], v[2:3], off
.LBB249_7:
	s_endpgm
	.section	.rodata,"a",@progbits
	.p2align	6, 0x0
	.amdhsa_kernel _ZL28rocblas_dot_batched_4_kernelIlLi32ELi4ELb1E19rocblas_complex_numIfES1_PKPKS1_EviT5_lT_lS6_lS7_liPT4_
		.amdhsa_group_segment_fixed_size 0
		.amdhsa_private_segment_fixed_size 0
		.amdhsa_kernarg_size 88
		.amdhsa_user_sgpr_count 6
		.amdhsa_user_sgpr_private_segment_buffer 1
		.amdhsa_user_sgpr_dispatch_ptr 0
		.amdhsa_user_sgpr_queue_ptr 0
		.amdhsa_user_sgpr_kernarg_segment_ptr 1
		.amdhsa_user_sgpr_dispatch_id 0
		.amdhsa_user_sgpr_flat_scratch_init 0
		.amdhsa_user_sgpr_kernarg_preload_length 0
		.amdhsa_user_sgpr_kernarg_preload_offset 0
		.amdhsa_user_sgpr_private_segment_size 0
		.amdhsa_uses_dynamic_stack 0
		.amdhsa_system_sgpr_private_segment_wavefront_offset 0
		.amdhsa_system_sgpr_workgroup_id_x 1
		.amdhsa_system_sgpr_workgroup_id_y 0
		.amdhsa_system_sgpr_workgroup_id_z 0
		.amdhsa_system_sgpr_workgroup_info 0
		.amdhsa_system_vgpr_workitem_id 1
		.amdhsa_next_free_vgpr 21
		.amdhsa_next_free_sgpr 20
		.amdhsa_accum_offset 24
		.amdhsa_reserve_vcc 1
		.amdhsa_reserve_flat_scratch 0
		.amdhsa_float_round_mode_32 0
		.amdhsa_float_round_mode_16_64 0
		.amdhsa_float_denorm_mode_32 3
		.amdhsa_float_denorm_mode_16_64 3
		.amdhsa_dx10_clamp 1
		.amdhsa_ieee_mode 1
		.amdhsa_fp16_overflow 0
		.amdhsa_tg_split 0
		.amdhsa_exception_fp_ieee_invalid_op 0
		.amdhsa_exception_fp_denorm_src 0
		.amdhsa_exception_fp_ieee_div_zero 0
		.amdhsa_exception_fp_ieee_overflow 0
		.amdhsa_exception_fp_ieee_underflow 0
		.amdhsa_exception_fp_ieee_inexact 0
		.amdhsa_exception_int_div_zero 0
	.end_amdhsa_kernel
	.section	.text._ZL28rocblas_dot_batched_4_kernelIlLi32ELi4ELb1E19rocblas_complex_numIfES1_PKPKS1_EviT5_lT_lS6_lS7_liPT4_,"axG",@progbits,_ZL28rocblas_dot_batched_4_kernelIlLi32ELi4ELb1E19rocblas_complex_numIfES1_PKPKS1_EviT5_lT_lS6_lS7_liPT4_,comdat
.Lfunc_end249:
	.size	_ZL28rocblas_dot_batched_4_kernelIlLi32ELi4ELb1E19rocblas_complex_numIfES1_PKPKS1_EviT5_lT_lS6_lS7_liPT4_, .Lfunc_end249-_ZL28rocblas_dot_batched_4_kernelIlLi32ELi4ELb1E19rocblas_complex_numIfES1_PKPKS1_EviT5_lT_lS6_lS7_liPT4_
                                        ; -- End function
	.section	.AMDGPU.csdata,"",@progbits
; Kernel info:
; codeLenInByte = 744
; NumSgprs: 24
; NumVgprs: 21
; NumAgprs: 0
; TotalNumVgprs: 21
; ScratchSize: 0
; MemoryBound: 0
; FloatMode: 240
; IeeeMode: 1
; LDSByteSize: 0 bytes/workgroup (compile time only)
; SGPRBlocks: 2
; VGPRBlocks: 2
; NumSGPRsForWavesPerEU: 24
; NumVGPRsForWavesPerEU: 21
; AccumOffset: 24
; Occupancy: 8
; WaveLimiterHint : 0
; COMPUTE_PGM_RSRC2:SCRATCH_EN: 0
; COMPUTE_PGM_RSRC2:USER_SGPR: 6
; COMPUTE_PGM_RSRC2:TRAP_HANDLER: 0
; COMPUTE_PGM_RSRC2:TGID_X_EN: 1
; COMPUTE_PGM_RSRC2:TGID_Y_EN: 0
; COMPUTE_PGM_RSRC2:TGID_Z_EN: 0
; COMPUTE_PGM_RSRC2:TIDIG_COMP_CNT: 1
; COMPUTE_PGM_RSRC3_GFX90A:ACCUM_OFFSET: 5
; COMPUTE_PGM_RSRC3_GFX90A:TG_SPLIT: 0
	.section	.text._ZL28rocblas_dot_batched_4_kernelIlLi64ELi4ELb1E19rocblas_complex_numIfES1_PKPKS1_EviT5_lT_lS6_lS7_liPT4_,"axG",@progbits,_ZL28rocblas_dot_batched_4_kernelIlLi64ELi4ELb1E19rocblas_complex_numIfES1_PKPKS1_EviT5_lT_lS6_lS7_liPT4_,comdat
	.globl	_ZL28rocblas_dot_batched_4_kernelIlLi64ELi4ELb1E19rocblas_complex_numIfES1_PKPKS1_EviT5_lT_lS6_lS7_liPT4_ ; -- Begin function _ZL28rocblas_dot_batched_4_kernelIlLi64ELi4ELb1E19rocblas_complex_numIfES1_PKPKS1_EviT5_lT_lS6_lS7_liPT4_
	.p2align	8
	.type	_ZL28rocblas_dot_batched_4_kernelIlLi64ELi4ELb1E19rocblas_complex_numIfES1_PKPKS1_EviT5_lT_lS6_lS7_liPT4_,@function
_ZL28rocblas_dot_batched_4_kernelIlLi64ELi4ELb1E19rocblas_complex_numIfES1_PKPKS1_EviT5_lT_lS6_lS7_liPT4_: ; @_ZL28rocblas_dot_batched_4_kernelIlLi64ELi4ELb1E19rocblas_complex_numIfES1_PKPKS1_EviT5_lT_lS6_lS7_liPT4_
; %bb.0:
	s_load_dword s0, s[4:5], 0x48
	v_bfe_u32 v1, v0, 10, 10
	v_lshl_add_u32 v2, s6, 2, v1
	s_waitcnt lgkmcnt(0)
	v_cmp_gt_u32_e32 vcc, s0, v2
	s_and_saveexec_b64 s[0:1], vcc
	s_cbranch_execz .LBB250_7
; %bb.1:
	s_load_dword s14, s[4:5], 0x0
	s_load_dwordx2 s[8:9], s[4:5], 0x50
	v_mov_b32_e32 v3, 0
	v_and_b32_e32 v8, 0x3ff, v0
	v_lshlrev_b64 v[0:1], 3, v[2:3]
	s_waitcnt lgkmcnt(0)
	v_cmp_gt_i32_e32 vcc, s14, v8
	v_mov_b32_e32 v2, v3
	s_and_saveexec_b64 s[10:11], vcc
	s_cbranch_execz .LBB250_5
; %bb.2:
	s_load_dwordx2 s[6:7], s[4:5], 0x8
	s_load_dwordx2 s[12:13], s[4:5], 0x28
	s_load_dwordx4 s[0:3], s[4:5], 0x10
	v_mov_b32_e32 v9, v8
	s_waitcnt lgkmcnt(0)
	v_mov_b32_e32 v3, s7
	v_add_co_u32_e32 v2, vcc, s6, v0
	v_addc_co_u32_e32 v3, vcc, v3, v1, vcc
	global_load_dwordx2 v[4:5], v[2:3], off
	v_mov_b32_e32 v3, s13
	v_add_co_u32_e32 v2, vcc, s12, v0
	v_addc_co_u32_e32 v3, vcc, v3, v1, vcc
	global_load_dwordx2 v[6:7], v[2:3], off
	s_load_dwordx4 s[4:7], s[4:5], 0x30
	v_mad_u64_u32 v[12:13], s[16:17], s2, v8, 0
	v_mov_b32_e32 v16, v13
	s_lshl_b64 s[16:17], s[0:1], 3
	s_lshl_b64 s[0:1], s[2:3], 9
	s_waitcnt lgkmcnt(0)
	v_mad_u64_u32 v[14:15], s[18:19], s6, v8, 0
	v_mad_u64_u32 v[16:17], s[2:3], s3, v8, v[16:17]
	v_mov_b32_e32 v18, v15
	v_mov_b32_e32 v13, v16
	v_mad_u64_u32 v[18:19], s[2:3], s7, v8, v[18:19]
	v_lshlrev_b64 v[12:13], 3, v[12:13]
	v_mov_b32_e32 v3, s17
	v_mov_b32_e32 v15, v18
	v_add_co_u32_e32 v12, vcc, s16, v12
	s_lshl_b64 s[18:19], s[4:5], 3
	v_lshlrev_b64 v[14:15], 3, v[14:15]
	v_addc_co_u32_e32 v3, vcc, v13, v3, vcc
	v_mov_b32_e32 v20, s19
	v_add_co_u32_e32 v13, vcc, s18, v14
	v_addc_co_u32_e32 v14, vcc, v15, v20, vcc
	v_mov_b32_e32 v2, 0
	s_lshl_b64 s[4:5], s[6:7], 9
	s_mov_b64 s[12:13], 0
	v_mov_b32_e32 v10, s1
	v_mov_b32_e32 v11, s5
	s_waitcnt vmcnt(1)
	v_add_co_u32_e32 v12, vcc, v12, v4
	v_addc_co_u32_e32 v3, vcc, v3, v5, vcc
	s_waitcnt vmcnt(0)
	v_add_co_u32_e32 v4, vcc, v6, v13
	v_addc_co_u32_e32 v5, vcc, v7, v14, vcc
	v_add_co_u32_e32 v6, vcc, 4, v12
	v_addc_co_u32_e32 v7, vcc, 0, v3, vcc
	v_mov_b32_e32 v3, v2
.LBB250_3:                              ; =>This Inner Loop Header: Depth=1
	global_load_dwordx2 v[12:13], v[6:7], off offset:-4
	global_load_dwordx2 v[14:15], v[4:5], off
	v_add_co_u32_e32 v6, vcc, s0, v6
	v_addc_co_u32_e32 v7, vcc, v7, v10, vcc
	v_add_co_u32_e32 v4, vcc, s4, v4
	v_add_u32_e32 v9, 64, v9
	v_addc_co_u32_e32 v5, vcc, v5, v11, vcc
	v_cmp_le_i32_e32 vcc, s14, v9
	s_or_b64 s[12:13], vcc, s[12:13]
	s_waitcnt vmcnt(0)
	v_pk_mul_f32 v[16:17], v[12:13], v[14:15] op_sel:[1,0]
	v_pk_fma_f32 v[18:19], v[12:13], v[14:15], v[16:17] op_sel:[0,0,1] op_sel_hi:[1,1,0]
	v_pk_fma_f32 v[12:13], v[12:13], v[14:15], v[16:17] op_sel:[0,0,1] op_sel_hi:[0,1,0] neg_lo:[0,0,1] neg_hi:[0,0,1]
	v_mov_b32_e32 v19, v13
	v_pk_add_f32 v[2:3], v[2:3], v[18:19]
	s_andn2_b64 exec, exec, s[12:13]
	s_cbranch_execnz .LBB250_3
; %bb.4:
	s_or_b64 exec, exec, s[12:13]
.LBB250_5:
	s_or_b64 exec, exec, s[10:11]
	v_mbcnt_lo_u32_b32 v4, -1, 0
	v_mbcnt_hi_u32_b32 v6, -1, v4
	v_and_b32_e32 v7, 63, v6
	v_cmp_gt_u32_e32 vcc, 32, v7
	v_cndmask_b32_e64 v4, 0, 1, vcc
	v_lshlrev_b32_e32 v4, 5, v4
	v_add_lshl_u32 v5, v4, v6, 2
	ds_bpermute_b32 v4, v5, v2
	ds_bpermute_b32 v5, v5, v3
	v_cmp_gt_u32_e32 vcc, 48, v7
	v_cndmask_b32_e64 v9, 0, 1, vcc
	v_lshlrev_b32_e32 v9, 4, v9
	v_add_lshl_u32 v9, v9, v6, 2
	s_waitcnt lgkmcnt(0)
	v_pk_add_f32 v[2:3], v[2:3], v[4:5]
	ds_bpermute_b32 v4, v9, v2
	ds_bpermute_b32 v5, v9, v3
	v_cmp_gt_u32_e32 vcc, 56, v7
	v_cndmask_b32_e64 v9, 0, 1, vcc
	v_lshlrev_b32_e32 v9, 3, v9
	v_add_lshl_u32 v9, v9, v6, 2
	s_waitcnt lgkmcnt(0)
	v_pk_add_f32 v[2:3], v[2:3], v[4:5]
	ds_bpermute_b32 v4, v9, v2
	ds_bpermute_b32 v5, v9, v3
	v_cmp_gt_u32_e32 vcc, 60, v7
	v_cndmask_b32_e64 v9, 0, 1, vcc
	v_lshlrev_b32_e32 v9, 2, v9
	v_add_lshl_u32 v9, v9, v6, 2
	s_waitcnt lgkmcnt(0)
	v_pk_add_f32 v[2:3], v[2:3], v[4:5]
	ds_bpermute_b32 v4, v9, v2
	ds_bpermute_b32 v5, v9, v3
	v_cmp_gt_u32_e32 vcc, 62, v7
	v_cndmask_b32_e64 v9, 0, 1, vcc
	v_lshlrev_b32_e32 v9, 1, v9
	v_add_lshl_u32 v9, v9, v6, 2
	s_waitcnt lgkmcnt(0)
	v_pk_add_f32 v[2:3], v[2:3], v[4:5]
	ds_bpermute_b32 v4, v9, v2
	ds_bpermute_b32 v5, v9, v3
	v_cmp_ne_u32_e32 vcc, 63, v7
	s_waitcnt lgkmcnt(0)
	s_barrier
	v_pk_add_f32 v[2:3], v[2:3], v[4:5]
	v_addc_co_u32_e32 v4, vcc, 0, v6, vcc
	v_lshlrev_b32_e32 v5, 2, v4
	ds_bpermute_b32 v4, v5, v2
	ds_bpermute_b32 v5, v5, v3
	v_cmp_eq_u32_e32 vcc, 0, v8
	s_and_b64 exec, exec, vcc
	s_cbranch_execz .LBB250_7
; %bb.6:
	v_mov_b32_e32 v6, s9
	v_add_co_u32_e32 v0, vcc, s8, v0
	v_addc_co_u32_e32 v1, vcc, v6, v1, vcc
	s_waitcnt lgkmcnt(0)
	v_pk_add_f32 v[2:3], v[2:3], v[4:5]
	global_store_dwordx2 v[0:1], v[2:3], off
.LBB250_7:
	s_endpgm
	.section	.rodata,"a",@progbits
	.p2align	6, 0x0
	.amdhsa_kernel _ZL28rocblas_dot_batched_4_kernelIlLi64ELi4ELb1E19rocblas_complex_numIfES1_PKPKS1_EviT5_lT_lS6_lS7_liPT4_
		.amdhsa_group_segment_fixed_size 0
		.amdhsa_private_segment_fixed_size 0
		.amdhsa_kernarg_size 88
		.amdhsa_user_sgpr_count 6
		.amdhsa_user_sgpr_private_segment_buffer 1
		.amdhsa_user_sgpr_dispatch_ptr 0
		.amdhsa_user_sgpr_queue_ptr 0
		.amdhsa_user_sgpr_kernarg_segment_ptr 1
		.amdhsa_user_sgpr_dispatch_id 0
		.amdhsa_user_sgpr_flat_scratch_init 0
		.amdhsa_user_sgpr_kernarg_preload_length 0
		.amdhsa_user_sgpr_kernarg_preload_offset 0
		.amdhsa_user_sgpr_private_segment_size 0
		.amdhsa_uses_dynamic_stack 0
		.amdhsa_system_sgpr_private_segment_wavefront_offset 0
		.amdhsa_system_sgpr_workgroup_id_x 1
		.amdhsa_system_sgpr_workgroup_id_y 0
		.amdhsa_system_sgpr_workgroup_id_z 0
		.amdhsa_system_sgpr_workgroup_info 0
		.amdhsa_system_vgpr_workitem_id 1
		.amdhsa_next_free_vgpr 21
		.amdhsa_next_free_sgpr 20
		.amdhsa_accum_offset 24
		.amdhsa_reserve_vcc 1
		.amdhsa_reserve_flat_scratch 0
		.amdhsa_float_round_mode_32 0
		.amdhsa_float_round_mode_16_64 0
		.amdhsa_float_denorm_mode_32 3
		.amdhsa_float_denorm_mode_16_64 3
		.amdhsa_dx10_clamp 1
		.amdhsa_ieee_mode 1
		.amdhsa_fp16_overflow 0
		.amdhsa_tg_split 0
		.amdhsa_exception_fp_ieee_invalid_op 0
		.amdhsa_exception_fp_denorm_src 0
		.amdhsa_exception_fp_ieee_div_zero 0
		.amdhsa_exception_fp_ieee_overflow 0
		.amdhsa_exception_fp_ieee_underflow 0
		.amdhsa_exception_fp_ieee_inexact 0
		.amdhsa_exception_int_div_zero 0
	.end_amdhsa_kernel
	.section	.text._ZL28rocblas_dot_batched_4_kernelIlLi64ELi4ELb1E19rocblas_complex_numIfES1_PKPKS1_EviT5_lT_lS6_lS7_liPT4_,"axG",@progbits,_ZL28rocblas_dot_batched_4_kernelIlLi64ELi4ELb1E19rocblas_complex_numIfES1_PKPKS1_EviT5_lT_lS6_lS7_liPT4_,comdat
.Lfunc_end250:
	.size	_ZL28rocblas_dot_batched_4_kernelIlLi64ELi4ELb1E19rocblas_complex_numIfES1_PKPKS1_EviT5_lT_lS6_lS7_liPT4_, .Lfunc_end250-_ZL28rocblas_dot_batched_4_kernelIlLi64ELi4ELb1E19rocblas_complex_numIfES1_PKPKS1_EviT5_lT_lS6_lS7_liPT4_
                                        ; -- End function
	.section	.AMDGPU.csdata,"",@progbits
; Kernel info:
; codeLenInByte = 796
; NumSgprs: 24
; NumVgprs: 21
; NumAgprs: 0
; TotalNumVgprs: 21
; ScratchSize: 0
; MemoryBound: 0
; FloatMode: 240
; IeeeMode: 1
; LDSByteSize: 0 bytes/workgroup (compile time only)
; SGPRBlocks: 2
; VGPRBlocks: 2
; NumSGPRsForWavesPerEU: 24
; NumVGPRsForWavesPerEU: 21
; AccumOffset: 24
; Occupancy: 8
; WaveLimiterHint : 0
; COMPUTE_PGM_RSRC2:SCRATCH_EN: 0
; COMPUTE_PGM_RSRC2:USER_SGPR: 6
; COMPUTE_PGM_RSRC2:TRAP_HANDLER: 0
; COMPUTE_PGM_RSRC2:TGID_X_EN: 1
; COMPUTE_PGM_RSRC2:TGID_Y_EN: 0
; COMPUTE_PGM_RSRC2:TGID_Z_EN: 0
; COMPUTE_PGM_RSRC2:TIDIG_COMP_CNT: 1
; COMPUTE_PGM_RSRC3_GFX90A:ACCUM_OFFSET: 5
; COMPUTE_PGM_RSRC3_GFX90A:TG_SPLIT: 0
	.section	.text._ZL18rocblas_dot_kernelIlLb1ELi1024ELi32ELb1E19rocblas_complex_numIfEPKPKS1_S1_EviT5_lT_lS6_lS7_liPT6_PT4_,"axG",@progbits,_ZL18rocblas_dot_kernelIlLb1ELi1024ELi32ELb1E19rocblas_complex_numIfEPKPKS1_S1_EviT5_lT_lS6_lS7_liPT6_PT4_,comdat
	.globl	_ZL18rocblas_dot_kernelIlLb1ELi1024ELi32ELb1E19rocblas_complex_numIfEPKPKS1_S1_EviT5_lT_lS6_lS7_liPT6_PT4_ ; -- Begin function _ZL18rocblas_dot_kernelIlLb1ELi1024ELi32ELb1E19rocblas_complex_numIfEPKPKS1_S1_EviT5_lT_lS6_lS7_liPT6_PT4_
	.p2align	8
	.type	_ZL18rocblas_dot_kernelIlLb1ELi1024ELi32ELb1E19rocblas_complex_numIfEPKPKS1_S1_EviT5_lT_lS6_lS7_liPT6_PT4_,@function
_ZL18rocblas_dot_kernelIlLb1ELi1024ELi32ELb1E19rocblas_complex_numIfEPKPKS1_S1_EviT5_lT_lS6_lS7_liPT6_PT4_: ; @_ZL18rocblas_dot_kernelIlLb1ELi1024ELi32ELb1E19rocblas_complex_numIfEPKPKS1_S1_EviT5_lT_lS6_lS7_liPT6_PT4_
; %bb.0:
	s_load_dword s16, s[4:5], 0x0
	s_load_dwordx2 s[12:13], s[4:5], 0x58
	v_mov_b32_e32 v3, 0
	s_mov_b32 s6, s7
	s_mov_b32 s7, 0
	s_waitcnt lgkmcnt(0)
	v_cmp_gt_i32_e32 vcc, s16, v0
	v_mov_b32_e32 v2, v3
	s_and_saveexec_b64 s[14:15], vcc
	s_cbranch_execz .LBB251_4
; %bb.1:
	s_load_dwordx2 s[18:19], s[4:5], 0x8
	s_load_dwordx4 s[8:11], s[4:5], 0x10
	s_load_dwordx2 s[20:21], s[4:5], 0x28
	s_load_dwordx4 s[0:3], s[4:5], 0x30
	s_lshl_b64 s[22:23], s[6:7], 3
	s_waitcnt lgkmcnt(0)
	s_add_u32 s18, s18, s22
	s_addc_u32 s19, s19, s23
	s_load_dword s17, s[4:5], 0x60
	s_load_dwordx2 s[24:25], s[18:19], 0x0
	s_add_u32 s4, s20, s22
	s_addc_u32 s5, s21, s23
	s_load_dwordx2 s[18:19], s[4:5], 0x0
	v_mad_u64_u32 v[2:3], s[4:5], s10, v0, 0
	v_mov_b32_e32 v4, v3
	v_mad_u64_u32 v[4:5], s[4:5], s11, v0, v[4:5]
	s_waitcnt lgkmcnt(0)
	s_lshl_b32 s17, s17, 10
	s_lshl_b64 s[4:5], s[8:9], 3
	v_mov_b32_e32 v3, v4
	s_add_u32 s4, s24, s4
	v_lshlrev_b64 v[2:3], 3, v[2:3]
	s_addc_u32 s5, s25, s5
	s_ashr_i32 s20, s17, 31
	v_mov_b32_e32 v5, s5
	v_add_co_u32_e32 v4, vcc, s4, v2
	s_mul_i32 s4, s10, s20
	s_mul_hi_u32 s5, s10, s17
	v_addc_co_u32_e32 v5, vcc, v5, v3, vcc
	s_add_i32 s4, s5, s4
	s_mul_i32 s5, s11, s17
	v_mad_u64_u32 v[2:3], s[8:9], s2, v0, 0
	s_add_i32 s5, s4, s5
	s_mul_i32 s4, s10, s17
	v_mov_b32_e32 v6, v3
	s_lshl_b64 s[4:5], s[4:5], 3
	v_mad_u64_u32 v[6:7], s[8:9], s3, v0, v[6:7]
	s_lshl_b64 s[0:1], s[0:1], 3
	v_mov_b32_e32 v3, v6
	s_add_u32 s0, s18, s0
	v_lshlrev_b64 v[2:3], 3, v[2:3]
	s_addc_u32 s1, s19, s1
	v_mov_b32_e32 v7, s1
	v_add_co_u32_e32 v6, vcc, s0, v2
	s_mul_i32 s0, s2, s20
	s_mul_hi_u32 s1, s2, s17
	s_add_i32 s0, s1, s0
	s_mul_i32 s1, s3, s17
	s_add_i32 s1, s0, s1
	s_mul_i32 s0, s2, s17
	s_lshl_b64 s[8:9], s[0:1], 3
	v_mov_b32_e32 v2, 0
	v_or_b32_e32 v1, s17, v0
	v_addc_co_u32_e32 v7, vcc, v7, v3, vcc
	s_mov_b64 s[2:3], 0
	v_mov_b32_e32 v8, s5
	v_mov_b32_e32 v9, s9
	s_mov_b32 s5, s7
	v_mov_b32_e32 v3, v2
.LBB251_2:                              ; =>This Inner Loop Header: Depth=1
	global_load_dwordx2 v[10:11], v[6:7], off
	global_load_dwordx2 v[12:13], v[4:5], off
	v_add_co_u32_e64 v4, s[0:1], s4, v4
	v_addc_co_u32_e64 v5, s[0:1], v5, v8, s[0:1]
	s_add_i32 s9, s5, 1
	v_add_co_u32_e64 v6, s[0:1], s8, v6
	v_addc_co_u32_e64 v7, s[0:1], v7, v9, s[0:1]
	s_cmp_gt_u32 s5, 30
	v_cmp_le_i32_e32 vcc, s16, v1
	s_cselect_b64 s[0:1], -1, 0
	s_or_b64 s[0:1], s[0:1], vcc
	s_and_b64 s[0:1], exec, s[0:1]
	v_add_u32_e32 v1, s17, v1
	s_mov_b32 s5, s9
	s_or_b64 s[2:3], s[0:1], s[2:3]
	s_waitcnt vmcnt(0)
	v_pk_mul_f32 v[14:15], v[12:13], v[10:11] op_sel:[0,1]
	v_pk_fma_f32 v[16:17], v[12:13], v[10:11], v[14:15] op_sel:[0,0,1] op_sel_hi:[1,1,0]
	v_pk_fma_f32 v[10:11], v[12:13], v[10:11], v[14:15] op_sel:[0,0,1] op_sel_hi:[1,0,0] neg_lo:[1,0,0] neg_hi:[1,0,0]
	v_mov_b32_e32 v17, v11
	v_pk_add_f32 v[2:3], v[2:3], v[16:17]
	s_andn2_b64 exec, exec, s[2:3]
	s_cbranch_execnz .LBB251_2
; %bb.3:
	s_or_b64 exec, exec, s[2:3]
.LBB251_4:
	s_or_b64 exec, exec, s[14:15]
	v_and_b32_e32 v6, 63, v0
	v_cmp_gt_u32_e32 vcc, 64, v0
	v_lshlrev_b32_e32 v1, 3, v6
	s_and_saveexec_b64 s[0:1], vcc
	s_cbranch_execz .LBB251_6
; %bb.5:
	v_mov_b32_e32 v4, 0
	v_mov_b32_e32 v5, v4
	ds_write_b64 v1, v[4:5]
.LBB251_6:
	s_or_b64 exec, exec, s[0:1]
	v_mbcnt_lo_u32_b32 v4, -1, 0
	v_mbcnt_hi_u32_b32 v10, -1, v4
	v_and_b32_e32 v11, 63, v10
	v_cmp_gt_u32_e64 s[0:1], 32, v11
	v_cndmask_b32_e64 v4, 0, 1, s[0:1]
	v_lshlrev_b32_e32 v4, 5, v4
	v_add_lshl_u32 v5, v4, v10, 2
	ds_bpermute_b32 v4, v5, v2
	ds_bpermute_b32 v5, v5, v3
	v_cmp_gt_u32_e64 s[0:1], 48, v11
	v_cndmask_b32_e64 v7, 0, 1, s[0:1]
	v_lshlrev_b32_e32 v7, 4, v7
	v_add_lshl_u32 v7, v7, v10, 2
	s_waitcnt lgkmcnt(0)
	v_pk_add_f32 v[2:3], v[2:3], v[4:5]
	ds_bpermute_b32 v4, v7, v2
	ds_bpermute_b32 v5, v7, v3
	v_cmp_gt_u32_e64 s[0:1], 56, v11
	v_cndmask_b32_e64 v7, 0, 1, s[0:1]
	v_lshlrev_b32_e32 v7, 3, v7
	v_add_lshl_u32 v7, v7, v10, 2
	s_waitcnt lgkmcnt(0)
	v_pk_add_f32 v[2:3], v[2:3], v[4:5]
	;; [unrolled: 8-line block ×4, first 2 shown]
	ds_bpermute_b32 v4, v9, v2
	ds_bpermute_b32 v5, v9, v3
	v_cmp_ne_u32_e64 s[0:1], 63, v11
	s_waitcnt lgkmcnt(0)
	s_barrier
	v_pk_add_f32 v[2:3], v[2:3], v[4:5]
	v_addc_co_u32_e64 v4, s[0:1], 0, v10, s[0:1]
	v_lshlrev_b32_e32 v10, 2, v4
	ds_bpermute_b32 v4, v10, v2
	ds_bpermute_b32 v5, v10, v3
	v_cmp_eq_u32_e64 s[0:1], 0, v6
	s_and_saveexec_b64 s[2:3], s[0:1]
	s_cbranch_execz .LBB251_8
; %bb.7:
	v_lshrrev_b32_e32 v6, 3, v0
	v_and_b32_e32 v6, 0x78, v6
	s_waitcnt lgkmcnt(0)
	v_pk_add_f32 v[2:3], v[2:3], v[4:5]
	ds_write_b64 v6, v[2:3]
.LBB251_8:
	s_or_b64 exec, exec, s[2:3]
	v_cmp_gt_u32_e64 s[0:1], 16, v0
	v_mov_b32_e32 v2, 0
	v_mov_b32_e32 v3, 0
	s_waitcnt lgkmcnt(0)
	s_barrier
	s_and_saveexec_b64 s[2:3], s[0:1]
	s_cbranch_execnz .LBB251_12
; %bb.9:
	s_or_b64 exec, exec, s[2:3]
	s_and_saveexec_b64 s[0:1], vcc
	s_cbranch_execnz .LBB251_13
.LBB251_10:
	s_or_b64 exec, exec, s[0:1]
	v_cmp_eq_u32_e32 vcc, 0, v0
	s_and_saveexec_b64 s[0:1], vcc
	s_cbranch_execnz .LBB251_14
.LBB251_11:
	s_endpgm
.LBB251_12:
	ds_read_b64 v[2:3], v1
	s_or_b64 exec, exec, s[2:3]
	s_and_saveexec_b64 s[0:1], vcc
	s_cbranch_execz .LBB251_10
.LBB251_13:
	s_waitcnt lgkmcnt(0)
	ds_bpermute_b32 v4, v7, v2
	ds_bpermute_b32 v5, v7, v3
	s_waitcnt lgkmcnt(0)
	v_pk_add_f32 v[2:3], v[2:3], v[4:5]
	ds_bpermute_b32 v4, v8, v2
	ds_bpermute_b32 v5, v8, v3
	s_waitcnt lgkmcnt(0)
	v_pk_add_f32 v[2:3], v[2:3], v[4:5]
	;; [unrolled: 4-line block ×4, first 2 shown]
	s_or_b64 exec, exec, s[0:1]
	v_cmp_eq_u32_e32 vcc, 0, v0
	s_and_saveexec_b64 s[0:1], vcc
	s_cbranch_execz .LBB251_11
.LBB251_14:
	s_lshl_b64 s[0:1], s[6:7], 3
	s_add_u32 s0, s12, s0
	s_addc_u32 s1, s13, s1
	v_mov_b32_e32 v0, 0
	s_waitcnt lgkmcnt(0)
	global_store_dwordx2 v0, v[2:3], s[0:1]
	s_endpgm
	.section	.rodata,"a",@progbits
	.p2align	6, 0x0
	.amdhsa_kernel _ZL18rocblas_dot_kernelIlLb1ELi1024ELi32ELb1E19rocblas_complex_numIfEPKPKS1_S1_EviT5_lT_lS6_lS7_liPT6_PT4_
		.amdhsa_group_segment_fixed_size 512
		.amdhsa_private_segment_fixed_size 0
		.amdhsa_kernarg_size 352
		.amdhsa_user_sgpr_count 6
		.amdhsa_user_sgpr_private_segment_buffer 1
		.amdhsa_user_sgpr_dispatch_ptr 0
		.amdhsa_user_sgpr_queue_ptr 0
		.amdhsa_user_sgpr_kernarg_segment_ptr 1
		.amdhsa_user_sgpr_dispatch_id 0
		.amdhsa_user_sgpr_flat_scratch_init 0
		.amdhsa_user_sgpr_kernarg_preload_length 0
		.amdhsa_user_sgpr_kernarg_preload_offset 0
		.amdhsa_user_sgpr_private_segment_size 0
		.amdhsa_uses_dynamic_stack 0
		.amdhsa_system_sgpr_private_segment_wavefront_offset 0
		.amdhsa_system_sgpr_workgroup_id_x 1
		.amdhsa_system_sgpr_workgroup_id_y 0
		.amdhsa_system_sgpr_workgroup_id_z 1
		.amdhsa_system_sgpr_workgroup_info 0
		.amdhsa_system_vgpr_workitem_id 0
		.amdhsa_next_free_vgpr 18
		.amdhsa_next_free_sgpr 26
		.amdhsa_accum_offset 20
		.amdhsa_reserve_vcc 1
		.amdhsa_reserve_flat_scratch 0
		.amdhsa_float_round_mode_32 0
		.amdhsa_float_round_mode_16_64 0
		.amdhsa_float_denorm_mode_32 3
		.amdhsa_float_denorm_mode_16_64 3
		.amdhsa_dx10_clamp 1
		.amdhsa_ieee_mode 1
		.amdhsa_fp16_overflow 0
		.amdhsa_tg_split 0
		.amdhsa_exception_fp_ieee_invalid_op 0
		.amdhsa_exception_fp_denorm_src 0
		.amdhsa_exception_fp_ieee_div_zero 0
		.amdhsa_exception_fp_ieee_overflow 0
		.amdhsa_exception_fp_ieee_underflow 0
		.amdhsa_exception_fp_ieee_inexact 0
		.amdhsa_exception_int_div_zero 0
	.end_amdhsa_kernel
	.section	.text._ZL18rocblas_dot_kernelIlLb1ELi1024ELi32ELb1E19rocblas_complex_numIfEPKPKS1_S1_EviT5_lT_lS6_lS7_liPT6_PT4_,"axG",@progbits,_ZL18rocblas_dot_kernelIlLb1ELi1024ELi32ELb1E19rocblas_complex_numIfEPKPKS1_S1_EviT5_lT_lS6_lS7_liPT6_PT4_,comdat
.Lfunc_end251:
	.size	_ZL18rocblas_dot_kernelIlLb1ELi1024ELi32ELb1E19rocblas_complex_numIfEPKPKS1_S1_EviT5_lT_lS6_lS7_liPT6_PT4_, .Lfunc_end251-_ZL18rocblas_dot_kernelIlLb1ELi1024ELi32ELb1E19rocblas_complex_numIfEPKPKS1_S1_EviT5_lT_lS6_lS7_liPT6_PT4_
                                        ; -- End function
	.section	.AMDGPU.csdata,"",@progbits
; Kernel info:
; codeLenInByte = 1156
; NumSgprs: 30
; NumVgprs: 18
; NumAgprs: 0
; TotalNumVgprs: 18
; ScratchSize: 0
; MemoryBound: 0
; FloatMode: 240
; IeeeMode: 1
; LDSByteSize: 512 bytes/workgroup (compile time only)
; SGPRBlocks: 3
; VGPRBlocks: 2
; NumSGPRsForWavesPerEU: 30
; NumVGPRsForWavesPerEU: 18
; AccumOffset: 20
; Occupancy: 8
; WaveLimiterHint : 0
; COMPUTE_PGM_RSRC2:SCRATCH_EN: 0
; COMPUTE_PGM_RSRC2:USER_SGPR: 6
; COMPUTE_PGM_RSRC2:TRAP_HANDLER: 0
; COMPUTE_PGM_RSRC2:TGID_X_EN: 1
; COMPUTE_PGM_RSRC2:TGID_Y_EN: 0
; COMPUTE_PGM_RSRC2:TGID_Z_EN: 1
; COMPUTE_PGM_RSRC2:TIDIG_COMP_CNT: 0
; COMPUTE_PGM_RSRC3_GFX90A:ACCUM_OFFSET: 4
; COMPUTE_PGM_RSRC3_GFX90A:TG_SPLIT: 0
	.section	.text._ZL24rocblas_dot_kernel_magsqIlLb1ELi1024ELi32ELb1E19rocblas_complex_numIfEPKPKS1_S1_EviT5_lT_liPT6_PT4_,"axG",@progbits,_ZL24rocblas_dot_kernel_magsqIlLb1ELi1024ELi32ELb1E19rocblas_complex_numIfEPKPKS1_S1_EviT5_lT_liPT6_PT4_,comdat
	.globl	_ZL24rocblas_dot_kernel_magsqIlLb1ELi1024ELi32ELb1E19rocblas_complex_numIfEPKPKS1_S1_EviT5_lT_liPT6_PT4_ ; -- Begin function _ZL24rocblas_dot_kernel_magsqIlLb1ELi1024ELi32ELb1E19rocblas_complex_numIfEPKPKS1_S1_EviT5_lT_liPT6_PT4_
	.p2align	8
	.type	_ZL24rocblas_dot_kernel_magsqIlLb1ELi1024ELi32ELb1E19rocblas_complex_numIfEPKPKS1_S1_EviT5_lT_liPT6_PT4_,@function
_ZL24rocblas_dot_kernel_magsqIlLb1ELi1024ELi32ELb1E19rocblas_complex_numIfEPKPKS1_S1_EviT5_lT_liPT6_PT4_: ; @_ZL24rocblas_dot_kernel_magsqIlLb1ELi1024ELi32ELb1E19rocblas_complex_numIfEPKPKS1_S1_EviT5_lT_liPT6_PT4_
; %bb.0:
	s_mov_b32 s2, s7
	s_load_dword s12, s[4:5], 0x0
	s_load_dwordx2 s[6:7], s[4:5], 0x38
	v_mov_b32_e32 v3, 0
	s_mov_b32 s3, 0
	v_mov_b32_e32 v2, v3
	s_waitcnt lgkmcnt(0)
	v_cmp_gt_i32_e32 vcc, s12, v0
	s_and_saveexec_b64 s[8:9], vcc
	s_cbranch_execz .LBB252_4
; %bb.1:
	s_load_dwordx2 s[0:1], s[4:5], 0x8
	s_load_dword s10, s[4:5], 0x40
	s_load_dwordx4 s[16:19], s[4:5], 0x10
	s_lshl_b64 s[4:5], s[2:3], 3
	s_waitcnt lgkmcnt(0)
	s_add_u32 s0, s0, s4
	s_addc_u32 s1, s1, s5
	s_load_dwordx2 s[0:1], s[0:1], 0x0
	v_mad_u64_u32 v[2:3], s[4:5], s18, v0, 0
	v_mov_b32_e32 v4, v3
	v_mad_u64_u32 v[4:5], s[4:5], s19, v0, v[4:5]
	s_lshl_b32 s13, s10, 10
	v_mov_b32_e32 v3, v4
	s_lshl_b64 s[4:5], s[16:17], 3
	v_lshlrev_b64 v[2:3], 3, v[2:3]
	s_waitcnt lgkmcnt(0)
	s_add_u32 s0, s0, s4
	s_addc_u32 s1, s1, s5
	v_add_co_u32_e32 v4, vcc, s0, v2
	s_ashr_i32 s0, s13, 31
	v_mov_b32_e32 v5, s1
	s_mul_i32 s0, s18, s0
	s_mul_hi_u32 s1, s18, s13
	s_add_i32 s0, s1, s0
	s_mul_i32 s1, s19, s13
	s_add_i32 s1, s0, s1
	s_mul_i32 s0, s18, s13
	s_lshl_b64 s[10:11], s[0:1], 3
	v_mov_b32_e32 v2, 0
	v_or_b32_e32 v1, s13, v0
	v_addc_co_u32_e32 v5, vcc, v5, v3, vcc
	s_mov_b64 s[4:5], 0
	v_mov_b32_e32 v6, s11
	s_mov_b32 s11, s3
	v_mov_b32_e32 v3, v2
.LBB252_2:                              ; =>This Inner Loop Header: Depth=1
	global_load_dwordx2 v[8:9], v[4:5], off
	s_add_i32 s14, s11, 1
	v_add_co_u32_e64 v4, s[0:1], s10, v4
	v_addc_co_u32_e64 v5, s[0:1], v5, v6, s[0:1]
	s_cmp_gt_u32 s11, 30
	v_cmp_le_i32_e32 vcc, s12, v1
	s_cselect_b64 s[0:1], -1, 0
	s_or_b64 s[0:1], s[0:1], vcc
	s_and_b64 s[0:1], exec, s[0:1]
	v_add_u32_e32 v1, s13, v1
	s_mov_b32 s11, s14
	s_or_b64 s[4:5], s[0:1], s[4:5]
	s_waitcnt vmcnt(0)
	v_pk_mul_f32 v[10:11], v[8:9], v[8:9]
	v_pk_mul_f32 v[12:13], v[8:9], v[8:9] op_sel_hi:[0,1]
	v_mov_b32_e32 v10, v11
	v_mov_b32_e32 v11, v13
	v_pk_fma_f32 v[12:13], v[8:9], v[8:9], v[12:13] op_sel_hi:[0,1,1] neg_lo:[0,0,1] neg_hi:[0,0,1]
	v_pk_fma_f32 v[8:9], v[8:9], v[8:9], v[10:11] op_sel_hi:[0,1,1]
	v_mov_b32_e32 v9, v13
	v_pk_add_f32 v[2:3], v[2:3], v[8:9]
	s_andn2_b64 exec, exec, s[4:5]
	s_cbranch_execnz .LBB252_2
; %bb.3:
	s_or_b64 exec, exec, s[4:5]
.LBB252_4:
	s_or_b64 exec, exec, s[8:9]
	v_and_b32_e32 v6, 63, v0
	v_cmp_gt_u32_e32 vcc, 64, v0
	v_lshlrev_b32_e32 v1, 3, v6
	s_and_saveexec_b64 s[0:1], vcc
	s_cbranch_execz .LBB252_6
; %bb.5:
	v_mov_b32_e32 v4, 0
	v_mov_b32_e32 v5, v4
	ds_write_b64 v1, v[4:5]
.LBB252_6:
	s_or_b64 exec, exec, s[0:1]
	v_mbcnt_lo_u32_b32 v4, -1, 0
	v_mbcnt_hi_u32_b32 v10, -1, v4
	v_and_b32_e32 v11, 63, v10
	v_cmp_gt_u32_e64 s[0:1], 32, v11
	v_cndmask_b32_e64 v4, 0, 1, s[0:1]
	v_lshlrev_b32_e32 v4, 5, v4
	v_add_lshl_u32 v5, v4, v10, 2
	ds_bpermute_b32 v4, v5, v2
	ds_bpermute_b32 v5, v5, v3
	v_cmp_gt_u32_e64 s[0:1], 48, v11
	v_cndmask_b32_e64 v7, 0, 1, s[0:1]
	v_lshlrev_b32_e32 v7, 4, v7
	v_add_lshl_u32 v7, v7, v10, 2
	s_waitcnt lgkmcnt(0)
	v_pk_add_f32 v[2:3], v[2:3], v[4:5]
	ds_bpermute_b32 v4, v7, v2
	ds_bpermute_b32 v5, v7, v3
	v_cmp_gt_u32_e64 s[0:1], 56, v11
	v_cndmask_b32_e64 v7, 0, 1, s[0:1]
	v_lshlrev_b32_e32 v7, 3, v7
	v_add_lshl_u32 v7, v7, v10, 2
	s_waitcnt lgkmcnt(0)
	v_pk_add_f32 v[2:3], v[2:3], v[4:5]
	;; [unrolled: 8-line block ×4, first 2 shown]
	ds_bpermute_b32 v4, v9, v2
	ds_bpermute_b32 v5, v9, v3
	v_cmp_ne_u32_e64 s[0:1], 63, v11
	s_waitcnt lgkmcnt(0)
	s_barrier
	v_pk_add_f32 v[2:3], v[2:3], v[4:5]
	v_addc_co_u32_e64 v4, s[0:1], 0, v10, s[0:1]
	v_lshlrev_b32_e32 v10, 2, v4
	ds_bpermute_b32 v4, v10, v2
	ds_bpermute_b32 v5, v10, v3
	v_cmp_eq_u32_e64 s[0:1], 0, v6
	s_and_saveexec_b64 s[4:5], s[0:1]
	s_cbranch_execz .LBB252_8
; %bb.7:
	v_lshrrev_b32_e32 v6, 3, v0
	v_and_b32_e32 v6, 0x78, v6
	s_waitcnt lgkmcnt(0)
	v_pk_add_f32 v[2:3], v[2:3], v[4:5]
	ds_write_b64 v6, v[2:3]
.LBB252_8:
	s_or_b64 exec, exec, s[4:5]
	v_cmp_gt_u32_e64 s[0:1], 16, v0
	v_mov_b32_e32 v2, 0
	v_mov_b32_e32 v3, 0
	s_waitcnt lgkmcnt(0)
	s_barrier
	s_and_saveexec_b64 s[4:5], s[0:1]
	s_cbranch_execnz .LBB252_12
; %bb.9:
	s_or_b64 exec, exec, s[4:5]
	s_and_saveexec_b64 s[0:1], vcc
	s_cbranch_execnz .LBB252_13
.LBB252_10:
	s_or_b64 exec, exec, s[0:1]
	v_cmp_eq_u32_e32 vcc, 0, v0
	s_and_saveexec_b64 s[0:1], vcc
	s_cbranch_execnz .LBB252_14
.LBB252_11:
	s_endpgm
.LBB252_12:
	ds_read_b64 v[2:3], v1
	s_or_b64 exec, exec, s[4:5]
	s_and_saveexec_b64 s[0:1], vcc
	s_cbranch_execz .LBB252_10
.LBB252_13:
	s_waitcnt lgkmcnt(0)
	ds_bpermute_b32 v4, v7, v2
	ds_bpermute_b32 v5, v7, v3
	s_waitcnt lgkmcnt(0)
	v_pk_add_f32 v[2:3], v[2:3], v[4:5]
	ds_bpermute_b32 v4, v8, v2
	ds_bpermute_b32 v5, v8, v3
	s_waitcnt lgkmcnt(0)
	v_pk_add_f32 v[2:3], v[2:3], v[4:5]
	;; [unrolled: 4-line block ×4, first 2 shown]
	s_or_b64 exec, exec, s[0:1]
	v_cmp_eq_u32_e32 vcc, 0, v0
	s_and_saveexec_b64 s[0:1], vcc
	s_cbranch_execz .LBB252_11
.LBB252_14:
	s_lshl_b64 s[0:1], s[2:3], 3
	s_add_u32 s0, s6, s0
	s_addc_u32 s1, s7, s1
	v_mov_b32_e32 v0, 0
	s_waitcnt lgkmcnt(0)
	global_store_dwordx2 v0, v[2:3], s[0:1]
	s_endpgm
	.section	.rodata,"a",@progbits
	.p2align	6, 0x0
	.amdhsa_kernel _ZL24rocblas_dot_kernel_magsqIlLb1ELi1024ELi32ELb1E19rocblas_complex_numIfEPKPKS1_S1_EviT5_lT_liPT6_PT4_
		.amdhsa_group_segment_fixed_size 512
		.amdhsa_private_segment_fixed_size 0
		.amdhsa_kernarg_size 320
		.amdhsa_user_sgpr_count 6
		.amdhsa_user_sgpr_private_segment_buffer 1
		.amdhsa_user_sgpr_dispatch_ptr 0
		.amdhsa_user_sgpr_queue_ptr 0
		.amdhsa_user_sgpr_kernarg_segment_ptr 1
		.amdhsa_user_sgpr_dispatch_id 0
		.amdhsa_user_sgpr_flat_scratch_init 0
		.amdhsa_user_sgpr_kernarg_preload_length 0
		.amdhsa_user_sgpr_kernarg_preload_offset 0
		.amdhsa_user_sgpr_private_segment_size 0
		.amdhsa_uses_dynamic_stack 0
		.amdhsa_system_sgpr_private_segment_wavefront_offset 0
		.amdhsa_system_sgpr_workgroup_id_x 1
		.amdhsa_system_sgpr_workgroup_id_y 0
		.amdhsa_system_sgpr_workgroup_id_z 1
		.amdhsa_system_sgpr_workgroup_info 0
		.amdhsa_system_vgpr_workitem_id 0
		.amdhsa_next_free_vgpr 14
		.amdhsa_next_free_sgpr 20
		.amdhsa_accum_offset 16
		.amdhsa_reserve_vcc 1
		.amdhsa_reserve_flat_scratch 0
		.amdhsa_float_round_mode_32 0
		.amdhsa_float_round_mode_16_64 0
		.amdhsa_float_denorm_mode_32 3
		.amdhsa_float_denorm_mode_16_64 3
		.amdhsa_dx10_clamp 1
		.amdhsa_ieee_mode 1
		.amdhsa_fp16_overflow 0
		.amdhsa_tg_split 0
		.amdhsa_exception_fp_ieee_invalid_op 0
		.amdhsa_exception_fp_denorm_src 0
		.amdhsa_exception_fp_ieee_div_zero 0
		.amdhsa_exception_fp_ieee_overflow 0
		.amdhsa_exception_fp_ieee_underflow 0
		.amdhsa_exception_fp_ieee_inexact 0
		.amdhsa_exception_int_div_zero 0
	.end_amdhsa_kernel
	.section	.text._ZL24rocblas_dot_kernel_magsqIlLb1ELi1024ELi32ELb1E19rocblas_complex_numIfEPKPKS1_S1_EviT5_lT_liPT6_PT4_,"axG",@progbits,_ZL24rocblas_dot_kernel_magsqIlLb1ELi1024ELi32ELb1E19rocblas_complex_numIfEPKPKS1_S1_EviT5_lT_liPT6_PT4_,comdat
.Lfunc_end252:
	.size	_ZL24rocblas_dot_kernel_magsqIlLb1ELi1024ELi32ELb1E19rocblas_complex_numIfEPKPKS1_S1_EviT5_lT_liPT6_PT4_, .Lfunc_end252-_ZL24rocblas_dot_kernel_magsqIlLb1ELi1024ELi32ELb1E19rocblas_complex_numIfEPKPKS1_S1_EviT5_lT_liPT6_PT4_
                                        ; -- End function
	.section	.AMDGPU.csdata,"",@progbits
; Kernel info:
; codeLenInByte = 1028
; NumSgprs: 24
; NumVgprs: 14
; NumAgprs: 0
; TotalNumVgprs: 14
; ScratchSize: 0
; MemoryBound: 0
; FloatMode: 240
; IeeeMode: 1
; LDSByteSize: 512 bytes/workgroup (compile time only)
; SGPRBlocks: 2
; VGPRBlocks: 1
; NumSGPRsForWavesPerEU: 24
; NumVGPRsForWavesPerEU: 14
; AccumOffset: 16
; Occupancy: 8
; WaveLimiterHint : 0
; COMPUTE_PGM_RSRC2:SCRATCH_EN: 0
; COMPUTE_PGM_RSRC2:USER_SGPR: 6
; COMPUTE_PGM_RSRC2:TRAP_HANDLER: 0
; COMPUTE_PGM_RSRC2:TGID_X_EN: 1
; COMPUTE_PGM_RSRC2:TGID_Y_EN: 0
; COMPUTE_PGM_RSRC2:TGID_Z_EN: 1
; COMPUTE_PGM_RSRC2:TIDIG_COMP_CNT: 0
; COMPUTE_PGM_RSRC3_GFX90A:ACCUM_OFFSET: 3
; COMPUTE_PGM_RSRC3_GFX90A:TG_SPLIT: 0
	.section	.text._ZL18rocblas_dot_kernelIlLb0ELi512ELi2ELb1E19rocblas_complex_numIfEPKPKS1_S1_EviT5_lT_lS6_lS7_liPT6_PT4_,"axG",@progbits,_ZL18rocblas_dot_kernelIlLb0ELi512ELi2ELb1E19rocblas_complex_numIfEPKPKS1_S1_EviT5_lT_lS6_lS7_liPT6_PT4_,comdat
	.globl	_ZL18rocblas_dot_kernelIlLb0ELi512ELi2ELb1E19rocblas_complex_numIfEPKPKS1_S1_EviT5_lT_lS6_lS7_liPT6_PT4_ ; -- Begin function _ZL18rocblas_dot_kernelIlLb0ELi512ELi2ELb1E19rocblas_complex_numIfEPKPKS1_S1_EviT5_lT_lS6_lS7_liPT6_PT4_
	.p2align	8
	.type	_ZL18rocblas_dot_kernelIlLb0ELi512ELi2ELb1E19rocblas_complex_numIfEPKPKS1_S1_EviT5_lT_lS6_lS7_liPT6_PT4_,@function
_ZL18rocblas_dot_kernelIlLb0ELi512ELi2ELb1E19rocblas_complex_numIfEPKPKS1_S1_EviT5_lT_lS6_lS7_liPT6_PT4_: ; @_ZL18rocblas_dot_kernelIlLb0ELi512ELi2ELb1E19rocblas_complex_numIfEPKPKS1_S1_EviT5_lT_lS6_lS7_liPT6_PT4_
; %bb.0:
	s_mov_b32 s12, s7
	s_load_dword s7, s[4:5], 0x0
	s_load_dword s16, s[4:5], 0x60
	v_lshl_or_b32 v1, s6, 9, v0
	v_mov_b32_e32 v2, 0
	s_mov_b32 s13, 0
	s_waitcnt lgkmcnt(0)
	v_cmp_gt_i32_e32 vcc, s7, v1
	v_mov_b32_e32 v3, v2
	s_and_saveexec_b64 s[14:15], vcc
	s_cbranch_execz .LBB253_4
; %bb.1:
	s_load_dwordx2 s[18:19], s[4:5], 0x8
	s_load_dwordx4 s[8:11], s[4:5], 0x10
	s_load_dwordx2 s[20:21], s[4:5], 0x28
	s_load_dwordx4 s[0:3], s[4:5], 0x30
	s_lshl_b64 s[22:23], s[12:13], 3
	s_waitcnt lgkmcnt(0)
	s_add_u32 s18, s18, s22
	s_addc_u32 s19, s19, s23
	s_load_dwordx2 s[18:19], s[18:19], 0x0
	s_lshl_b64 s[8:9], s[8:9], 3
	v_ashrrev_i32_e32 v4, 31, v1
	v_mul_lo_u32 v5, v1, s3
	v_mul_lo_u32 v6, v4, s2
	s_waitcnt lgkmcnt(0)
	s_add_u32 s17, s18, s8
	s_addc_u32 s18, s19, s9
	s_add_u32 s8, s20, s22
	s_addc_u32 s9, s21, s23
	s_load_dwordx2 s[8:9], s[8:9], 0x0
	v_mad_u64_u32 v[2:3], s[20:21], v1, s2, 0
	s_lshl_b64 s[0:1], s[0:1], 3
	v_add3_u32 v3, v3, v5, v6
	s_waitcnt lgkmcnt(0)
	s_add_u32 s8, s8, s0
	s_addc_u32 s9, s9, s1
	v_lshlrev_b64 v[2:3], 3, v[2:3]
	v_mov_b32_e32 v5, s9
	v_add_co_u32_e32 v2, vcc, s8, v2
	v_addc_co_u32_e32 v3, vcc, v5, v3, vcc
	v_mul_lo_u32 v6, v1, s11
	v_mul_lo_u32 v7, v4, s10
	v_mad_u64_u32 v[4:5], s[0:1], v1, s10, 0
	v_add3_u32 v5, v5, v6, v7
	v_lshlrev_b64 v[4:5], 3, v[4:5]
	v_mov_b32_e32 v1, s18
	v_add_co_u32_e32 v4, vcc, s17, v4
	v_addc_co_u32_e32 v5, vcc, v1, v5, vcc
	global_load_dwordx2 v[6:7], v[4:5], off
	global_load_dwordx2 v[8:9], v[2:3], off
	s_add_i32 s0, s6, s16
	v_lshl_or_b32 v1, s0, 9, v0
	v_cmp_gt_i32_e32 vcc, s7, v1
	s_waitcnt vmcnt(0)
	v_pk_mul_f32 v[2:3], v[6:7], v[8:9] op_sel:[0,1]
	v_pk_fma_f32 v[4:5], v[6:7], v[8:9], v[2:3] op_sel:[0,0,1] op_sel_hi:[1,1,0]
	v_pk_fma_f32 v[2:3], v[6:7], v[8:9], v[2:3] op_sel:[0,0,1] op_sel_hi:[1,0,0] neg_lo:[1,0,0] neg_hi:[1,0,0]
	v_mov_b32_e32 v5, v3
	v_pk_add_f32 v[2:3], v[4:5], 0 op_sel_hi:[1,0]
	s_and_saveexec_b64 s[0:1], vcc
	s_cbranch_execz .LBB253_3
; %bb.2:
	v_ashrrev_i32_e32 v6, 31, v1
	v_mul_lo_u32 v7, v1, s11
	v_mul_lo_u32 v8, v6, s10
	v_mad_u64_u32 v[4:5], s[10:11], v1, s10, 0
	v_add3_u32 v5, v5, v7, v8
	v_lshlrev_b64 v[4:5], 3, v[4:5]
	v_mov_b32_e32 v7, s18
	v_add_co_u32_e32 v4, vcc, s17, v4
	v_addc_co_u32_e32 v5, vcc, v7, v5, vcc
	v_mul_lo_u32 v8, v1, s3
	v_mul_lo_u32 v9, v6, s2
	v_mad_u64_u32 v[6:7], s[2:3], v1, s2, 0
	v_add3_u32 v7, v7, v8, v9
	v_lshlrev_b64 v[6:7], 3, v[6:7]
	v_mov_b32_e32 v1, s9
	v_add_co_u32_e32 v6, vcc, s8, v6
	v_addc_co_u32_e32 v7, vcc, v1, v7, vcc
	global_load_dwordx2 v[4:5], v[4:5], off
	s_nop 0
	global_load_dwordx2 v[6:7], v[6:7], off
	s_waitcnt vmcnt(0)
	v_pk_mul_f32 v[8:9], v[4:5], v[6:7] op_sel:[0,1]
	v_pk_fma_f32 v[10:11], v[4:5], v[6:7], v[8:9] op_sel:[0,0,1] op_sel_hi:[1,1,0]
	v_pk_fma_f32 v[4:5], v[4:5], v[6:7], v[8:9] op_sel:[0,0,1] op_sel_hi:[1,0,0] neg_lo:[1,0,0] neg_hi:[1,0,0]
	v_mov_b32_e32 v11, v5
	v_pk_add_f32 v[2:3], v[2:3], v[10:11]
.LBB253_3:
	s_or_b64 exec, exec, s[0:1]
.LBB253_4:
	s_or_b64 exec, exec, s[14:15]
	v_and_b32_e32 v6, 63, v0
	v_cmp_gt_u32_e32 vcc, 64, v0
	v_lshlrev_b32_e32 v1, 3, v6
	s_and_saveexec_b64 s[0:1], vcc
	s_cbranch_execz .LBB253_6
; %bb.5:
	v_mov_b32_e32 v4, 0
	v_mov_b32_e32 v5, v4
	ds_write_b64 v1, v[4:5]
.LBB253_6:
	s_or_b64 exec, exec, s[0:1]
	v_mbcnt_lo_u32_b32 v4, -1, 0
	v_mbcnt_hi_u32_b32 v9, -1, v4
	v_and_b32_e32 v10, 63, v9
	v_cmp_gt_u32_e64 s[0:1], 32, v10
	v_cndmask_b32_e64 v4, 0, 1, s[0:1]
	v_lshlrev_b32_e32 v4, 5, v4
	v_add_lshl_u32 v5, v4, v9, 2
	ds_bpermute_b32 v4, v5, v2
	ds_bpermute_b32 v5, v5, v3
	v_cmp_gt_u32_e64 s[0:1], 48, v10
	v_cndmask_b32_e64 v7, 0, 1, s[0:1]
	v_lshlrev_b32_e32 v7, 4, v7
	v_add_lshl_u32 v7, v7, v9, 2
	s_waitcnt lgkmcnt(0)
	v_pk_add_f32 v[2:3], v[2:3], v[4:5]
	ds_bpermute_b32 v4, v7, v2
	ds_bpermute_b32 v5, v7, v3
	v_cmp_gt_u32_e64 s[0:1], 56, v10
	v_cndmask_b32_e64 v7, 0, 1, s[0:1]
	v_lshlrev_b32_e32 v7, 3, v7
	v_add_lshl_u32 v7, v7, v9, 2
	s_waitcnt lgkmcnt(0)
	v_pk_add_f32 v[2:3], v[2:3], v[4:5]
	;; [unrolled: 8-line block ×4, first 2 shown]
	ds_bpermute_b32 v4, v8, v2
	ds_bpermute_b32 v5, v8, v3
	v_cmp_ne_u32_e64 s[0:1], 63, v10
	s_waitcnt lgkmcnt(0)
	s_barrier
	v_pk_add_f32 v[2:3], v[2:3], v[4:5]
	v_addc_co_u32_e64 v4, s[0:1], 0, v9, s[0:1]
	v_lshlrev_b32_e32 v9, 2, v4
	ds_bpermute_b32 v4, v9, v2
	ds_bpermute_b32 v5, v9, v3
	v_cmp_eq_u32_e64 s[0:1], 0, v6
	s_and_saveexec_b64 s[2:3], s[0:1]
	s_cbranch_execz .LBB253_8
; %bb.7:
	v_lshrrev_b32_e32 v6, 3, v0
	v_and_b32_e32 v6, 56, v6
	s_waitcnt lgkmcnt(0)
	v_pk_add_f32 v[2:3], v[2:3], v[4:5]
	ds_write_b64 v6, v[2:3]
.LBB253_8:
	s_or_b64 exec, exec, s[2:3]
	v_cmp_gt_u32_e64 s[0:1], 8, v0
	v_mov_b32_e32 v2, 0
	v_mov_b32_e32 v3, 0
	s_waitcnt lgkmcnt(0)
	s_barrier
	s_and_saveexec_b64 s[2:3], s[0:1]
	s_cbranch_execnz .LBB253_12
; %bb.9:
	s_or_b64 exec, exec, s[2:3]
	s_and_saveexec_b64 s[0:1], vcc
	s_cbranch_execnz .LBB253_13
.LBB253_10:
	s_or_b64 exec, exec, s[0:1]
	v_cmp_eq_u32_e32 vcc, 0, v0
	s_and_saveexec_b64 s[0:1], vcc
	s_cbranch_execnz .LBB253_14
.LBB253_11:
	s_endpgm
.LBB253_12:
	ds_read_b64 v[2:3], v1
	s_or_b64 exec, exec, s[2:3]
	s_and_saveexec_b64 s[0:1], vcc
	s_cbranch_execz .LBB253_10
.LBB253_13:
	s_waitcnt lgkmcnt(0)
	ds_bpermute_b32 v4, v7, v2
	ds_bpermute_b32 v5, v7, v3
	s_waitcnt lgkmcnt(0)
	v_pk_add_f32 v[2:3], v[2:3], v[4:5]
	ds_bpermute_b32 v4, v8, v2
	ds_bpermute_b32 v5, v8, v3
	s_waitcnt lgkmcnt(0)
	v_pk_add_f32 v[2:3], v[2:3], v[4:5]
	;; [unrolled: 4-line block ×3, first 2 shown]
	s_or_b64 exec, exec, s[0:1]
	v_cmp_eq_u32_e32 vcc, 0, v0
	s_and_saveexec_b64 s[0:1], vcc
	s_cbranch_execz .LBB253_11
.LBB253_14:
	s_cmp_lg_u32 s16, 1
	s_cbranch_scc0 .LBB253_16
; %bb.15:
	s_load_dwordx2 s[0:1], s[4:5], 0x50
	s_mul_hi_u32 s3, s16, s12
	s_mul_i32 s2, s16, s12
	s_lshl_b64 s[2:3], s[2:3], 3
	s_mov_b32 s7, 0
	s_waitcnt lgkmcnt(0)
	s_add_u32 s2, s0, s2
	s_addc_u32 s3, s1, s3
	s_lshl_b64 s[0:1], s[6:7], 3
	s_add_u32 s0, s2, s0
	s_addc_u32 s1, s3, s1
	s_cbranch_execz .LBB253_17
	s_branch .LBB253_18
.LBB253_16:
                                        ; implicit-def: $sgpr0_sgpr1
.LBB253_17:
	s_load_dwordx2 s[0:1], s[4:5], 0x58
	s_lshl_b64 s[2:3], s[12:13], 3
	s_waitcnt lgkmcnt(0)
	s_add_u32 s0, s0, s2
	s_addc_u32 s1, s1, s3
.LBB253_18:
	v_mov_b32_e32 v0, 0
	s_waitcnt lgkmcnt(0)
	global_store_dwordx2 v0, v[2:3], s[0:1]
	s_endpgm
	.section	.rodata,"a",@progbits
	.p2align	6, 0x0
	.amdhsa_kernel _ZL18rocblas_dot_kernelIlLb0ELi512ELi2ELb1E19rocblas_complex_numIfEPKPKS1_S1_EviT5_lT_lS6_lS7_liPT6_PT4_
		.amdhsa_group_segment_fixed_size 512
		.amdhsa_private_segment_fixed_size 0
		.amdhsa_kernarg_size 352
		.amdhsa_user_sgpr_count 6
		.amdhsa_user_sgpr_private_segment_buffer 1
		.amdhsa_user_sgpr_dispatch_ptr 0
		.amdhsa_user_sgpr_queue_ptr 0
		.amdhsa_user_sgpr_kernarg_segment_ptr 1
		.amdhsa_user_sgpr_dispatch_id 0
		.amdhsa_user_sgpr_flat_scratch_init 0
		.amdhsa_user_sgpr_kernarg_preload_length 0
		.amdhsa_user_sgpr_kernarg_preload_offset 0
		.amdhsa_user_sgpr_private_segment_size 0
		.amdhsa_uses_dynamic_stack 0
		.amdhsa_system_sgpr_private_segment_wavefront_offset 0
		.amdhsa_system_sgpr_workgroup_id_x 1
		.amdhsa_system_sgpr_workgroup_id_y 0
		.amdhsa_system_sgpr_workgroup_id_z 1
		.amdhsa_system_sgpr_workgroup_info 0
		.amdhsa_system_vgpr_workitem_id 0
		.amdhsa_next_free_vgpr 12
		.amdhsa_next_free_sgpr 24
		.amdhsa_accum_offset 12
		.amdhsa_reserve_vcc 1
		.amdhsa_reserve_flat_scratch 0
		.amdhsa_float_round_mode_32 0
		.amdhsa_float_round_mode_16_64 0
		.amdhsa_float_denorm_mode_32 3
		.amdhsa_float_denorm_mode_16_64 3
		.amdhsa_dx10_clamp 1
		.amdhsa_ieee_mode 1
		.amdhsa_fp16_overflow 0
		.amdhsa_tg_split 0
		.amdhsa_exception_fp_ieee_invalid_op 0
		.amdhsa_exception_fp_denorm_src 0
		.amdhsa_exception_fp_ieee_div_zero 0
		.amdhsa_exception_fp_ieee_overflow 0
		.amdhsa_exception_fp_ieee_underflow 0
		.amdhsa_exception_fp_ieee_inexact 0
		.amdhsa_exception_int_div_zero 0
	.end_amdhsa_kernel
	.section	.text._ZL18rocblas_dot_kernelIlLb0ELi512ELi2ELb1E19rocblas_complex_numIfEPKPKS1_S1_EviT5_lT_lS6_lS7_liPT6_PT4_,"axG",@progbits,_ZL18rocblas_dot_kernelIlLb0ELi512ELi2ELb1E19rocblas_complex_numIfEPKPKS1_S1_EviT5_lT_lS6_lS7_liPT6_PT4_,comdat
.Lfunc_end253:
	.size	_ZL18rocblas_dot_kernelIlLb0ELi512ELi2ELb1E19rocblas_complex_numIfEPKPKS1_S1_EviT5_lT_lS6_lS7_liPT6_PT4_, .Lfunc_end253-_ZL18rocblas_dot_kernelIlLb0ELi512ELi2ELb1E19rocblas_complex_numIfEPKPKS1_S1_EviT5_lT_lS6_lS7_liPT6_PT4_
                                        ; -- End function
	.section	.AMDGPU.csdata,"",@progbits
; Kernel info:
; codeLenInByte = 1248
; NumSgprs: 28
; NumVgprs: 12
; NumAgprs: 0
; TotalNumVgprs: 12
; ScratchSize: 0
; MemoryBound: 0
; FloatMode: 240
; IeeeMode: 1
; LDSByteSize: 512 bytes/workgroup (compile time only)
; SGPRBlocks: 3
; VGPRBlocks: 1
; NumSGPRsForWavesPerEU: 28
; NumVGPRsForWavesPerEU: 12
; AccumOffset: 12
; Occupancy: 8
; WaveLimiterHint : 1
; COMPUTE_PGM_RSRC2:SCRATCH_EN: 0
; COMPUTE_PGM_RSRC2:USER_SGPR: 6
; COMPUTE_PGM_RSRC2:TRAP_HANDLER: 0
; COMPUTE_PGM_RSRC2:TGID_X_EN: 1
; COMPUTE_PGM_RSRC2:TGID_Y_EN: 0
; COMPUTE_PGM_RSRC2:TGID_Z_EN: 1
; COMPUTE_PGM_RSRC2:TIDIG_COMP_CNT: 0
; COMPUTE_PGM_RSRC3_GFX90A:ACCUM_OFFSET: 2
; COMPUTE_PGM_RSRC3_GFX90A:TG_SPLIT: 0
	.section	.text._ZL24rocblas_dot_kernel_magsqIlLb0ELi512ELi2ELb1E19rocblas_complex_numIfEPKPKS1_S1_EviT5_lT_liPT6_PT4_,"axG",@progbits,_ZL24rocblas_dot_kernel_magsqIlLb0ELi512ELi2ELb1E19rocblas_complex_numIfEPKPKS1_S1_EviT5_lT_liPT6_PT4_,comdat
	.globl	_ZL24rocblas_dot_kernel_magsqIlLb0ELi512ELi2ELb1E19rocblas_complex_numIfEPKPKS1_S1_EviT5_lT_liPT6_PT4_ ; -- Begin function _ZL24rocblas_dot_kernel_magsqIlLb0ELi512ELi2ELb1E19rocblas_complex_numIfEPKPKS1_S1_EviT5_lT_liPT6_PT4_
	.p2align	8
	.type	_ZL24rocblas_dot_kernel_magsqIlLb0ELi512ELi2ELb1E19rocblas_complex_numIfEPKPKS1_S1_EviT5_lT_liPT6_PT4_,@function
_ZL24rocblas_dot_kernel_magsqIlLb0ELi512ELi2ELb1E19rocblas_complex_numIfEPKPKS1_S1_EviT5_lT_liPT6_PT4_: ; @_ZL24rocblas_dot_kernel_magsqIlLb0ELi512ELi2ELb1E19rocblas_complex_numIfEPKPKS1_S1_EviT5_lT_liPT6_PT4_
; %bb.0:
	s_mov_b32 s8, s7
	s_load_dword s7, s[4:5], 0x0
	s_load_dword s12, s[4:5], 0x40
	v_lshl_or_b32 v1, s6, 9, v0
	v_mov_b32_e32 v2, 0
	s_mov_b32 s9, 0
	s_waitcnt lgkmcnt(0)
	v_cmp_gt_i32_e32 vcc, s7, v1
	v_mov_b32_e32 v3, v2
	s_and_saveexec_b64 s[10:11], vcc
	s_cbranch_execz .LBB254_4
; %bb.1:
	s_load_dwordx2 s[14:15], s[4:5], 0x8
	s_load_dwordx4 s[0:3], s[4:5], 0x10
	s_lshl_b64 s[16:17], s[8:9], 3
	v_ashrrev_i32_e32 v2, 31, v1
	s_waitcnt lgkmcnt(0)
	s_add_u32 s14, s14, s16
	s_addc_u32 s15, s15, s17
	s_load_dwordx2 s[14:15], s[14:15], 0x0
	v_mul_lo_u32 v4, v1, s3
	v_mul_lo_u32 v5, v2, s2
	v_mad_u64_u32 v[2:3], s[16:17], v1, s2, 0
	s_lshl_b64 s[0:1], s[0:1], 3
	s_waitcnt lgkmcnt(0)
	s_add_u32 s13, s14, s0
	v_add3_u32 v3, v3, v4, v5
	s_addc_u32 s14, s15, s1
	v_lshlrev_b64 v[2:3], 3, v[2:3]
	v_mov_b32_e32 v1, s14
	v_add_co_u32_e32 v2, vcc, s13, v2
	v_addc_co_u32_e32 v3, vcc, v1, v3, vcc
	global_load_dwordx2 v[2:3], v[2:3], off
	s_add_i32 s0, s6, s12
	v_lshl_or_b32 v1, s0, 9, v0
	v_cmp_gt_i32_e32 vcc, s7, v1
	s_waitcnt vmcnt(0)
	v_pk_mul_f32 v[4:5], v[2:3], v[2:3]
	v_pk_mul_f32 v[6:7], v[2:3], v[2:3] op_sel_hi:[0,1]
	v_mov_b32_e32 v4, v5
	v_mov_b32_e32 v5, v7
	v_pk_fma_f32 v[6:7], v[2:3], v[2:3], v[6:7] op_sel_hi:[0,1,1] neg_lo:[0,0,1] neg_hi:[0,0,1]
	v_pk_fma_f32 v[2:3], v[2:3], v[2:3], v[4:5] op_sel_hi:[0,1,1]
	v_mov_b32_e32 v3, v7
	v_pk_add_f32 v[2:3], v[2:3], 0 op_sel_hi:[1,0]
	s_and_saveexec_b64 s[0:1], vcc
	s_cbranch_execz .LBB254_3
; %bb.2:
	v_ashrrev_i32_e32 v4, 31, v1
	v_mul_lo_u32 v6, v1, s3
	v_mul_lo_u32 v7, v4, s2
	v_mad_u64_u32 v[4:5], s[2:3], v1, s2, 0
	v_add3_u32 v5, v5, v6, v7
	v_lshlrev_b64 v[4:5], 3, v[4:5]
	v_mov_b32_e32 v1, s14
	v_add_co_u32_e32 v4, vcc, s13, v4
	v_addc_co_u32_e32 v5, vcc, v1, v5, vcc
	global_load_dwordx2 v[4:5], v[4:5], off
	s_waitcnt vmcnt(0)
	v_pk_mul_f32 v[6:7], v[4:5], v[4:5] op_sel_hi:[0,1]
	v_pk_mul_f32 v[8:9], v[4:5], v[4:5]
	v_mov_b32_e32 v8, v9
	v_mov_b32_e32 v9, v7
	v_pk_fma_f32 v[8:9], v[4:5], v[4:5], v[8:9] op_sel_hi:[0,1,1]
	v_pk_fma_f32 v[4:5], v[4:5], v[4:5], v[6:7] op_sel_hi:[0,1,1] neg_lo:[0,0,1] neg_hi:[0,0,1]
	v_mov_b32_e32 v9, v5
	v_pk_add_f32 v[2:3], v[2:3], v[8:9]
.LBB254_3:
	s_or_b64 exec, exec, s[0:1]
.LBB254_4:
	s_or_b64 exec, exec, s[10:11]
	v_and_b32_e32 v6, 63, v0
	v_cmp_gt_u32_e32 vcc, 64, v0
	v_lshlrev_b32_e32 v1, 3, v6
	s_and_saveexec_b64 s[0:1], vcc
	s_cbranch_execz .LBB254_6
; %bb.5:
	v_mov_b32_e32 v4, 0
	v_mov_b32_e32 v5, v4
	ds_write_b64 v1, v[4:5]
.LBB254_6:
	s_or_b64 exec, exec, s[0:1]
	v_mbcnt_lo_u32_b32 v4, -1, 0
	v_mbcnt_hi_u32_b32 v9, -1, v4
	v_and_b32_e32 v10, 63, v9
	v_cmp_gt_u32_e64 s[0:1], 32, v10
	v_cndmask_b32_e64 v4, 0, 1, s[0:1]
	v_lshlrev_b32_e32 v4, 5, v4
	v_add_lshl_u32 v5, v4, v9, 2
	ds_bpermute_b32 v4, v5, v2
	ds_bpermute_b32 v5, v5, v3
	v_cmp_gt_u32_e64 s[0:1], 48, v10
	v_cndmask_b32_e64 v7, 0, 1, s[0:1]
	v_lshlrev_b32_e32 v7, 4, v7
	v_add_lshl_u32 v7, v7, v9, 2
	s_waitcnt lgkmcnt(0)
	v_pk_add_f32 v[2:3], v[2:3], v[4:5]
	ds_bpermute_b32 v4, v7, v2
	ds_bpermute_b32 v5, v7, v3
	v_cmp_gt_u32_e64 s[0:1], 56, v10
	v_cndmask_b32_e64 v7, 0, 1, s[0:1]
	v_lshlrev_b32_e32 v7, 3, v7
	v_add_lshl_u32 v7, v7, v9, 2
	s_waitcnt lgkmcnt(0)
	v_pk_add_f32 v[2:3], v[2:3], v[4:5]
	;; [unrolled: 8-line block ×4, first 2 shown]
	ds_bpermute_b32 v4, v8, v2
	ds_bpermute_b32 v5, v8, v3
	v_cmp_ne_u32_e64 s[0:1], 63, v10
	s_waitcnt lgkmcnt(0)
	s_barrier
	v_pk_add_f32 v[2:3], v[2:3], v[4:5]
	v_addc_co_u32_e64 v4, s[0:1], 0, v9, s[0:1]
	v_lshlrev_b32_e32 v9, 2, v4
	ds_bpermute_b32 v4, v9, v2
	ds_bpermute_b32 v5, v9, v3
	v_cmp_eq_u32_e64 s[0:1], 0, v6
	s_and_saveexec_b64 s[2:3], s[0:1]
	s_cbranch_execz .LBB254_8
; %bb.7:
	v_lshrrev_b32_e32 v6, 3, v0
	v_and_b32_e32 v6, 56, v6
	s_waitcnt lgkmcnt(0)
	v_pk_add_f32 v[2:3], v[2:3], v[4:5]
	ds_write_b64 v6, v[2:3]
.LBB254_8:
	s_or_b64 exec, exec, s[2:3]
	v_cmp_gt_u32_e64 s[0:1], 8, v0
	v_mov_b32_e32 v2, 0
	v_mov_b32_e32 v3, 0
	s_waitcnt lgkmcnt(0)
	s_barrier
	s_and_saveexec_b64 s[2:3], s[0:1]
	s_cbranch_execnz .LBB254_12
; %bb.9:
	s_or_b64 exec, exec, s[2:3]
	s_and_saveexec_b64 s[0:1], vcc
	s_cbranch_execnz .LBB254_13
.LBB254_10:
	s_or_b64 exec, exec, s[0:1]
	v_cmp_eq_u32_e32 vcc, 0, v0
	s_and_saveexec_b64 s[0:1], vcc
	s_cbranch_execnz .LBB254_14
.LBB254_11:
	s_endpgm
.LBB254_12:
	ds_read_b64 v[2:3], v1
	s_or_b64 exec, exec, s[2:3]
	s_and_saveexec_b64 s[0:1], vcc
	s_cbranch_execz .LBB254_10
.LBB254_13:
	s_waitcnt lgkmcnt(0)
	ds_bpermute_b32 v4, v7, v2
	ds_bpermute_b32 v5, v7, v3
	s_waitcnt lgkmcnt(0)
	v_pk_add_f32 v[2:3], v[2:3], v[4:5]
	ds_bpermute_b32 v4, v8, v2
	ds_bpermute_b32 v5, v8, v3
	s_waitcnt lgkmcnt(0)
	v_pk_add_f32 v[2:3], v[2:3], v[4:5]
	;; [unrolled: 4-line block ×3, first 2 shown]
	s_or_b64 exec, exec, s[0:1]
	v_cmp_eq_u32_e32 vcc, 0, v0
	s_and_saveexec_b64 s[0:1], vcc
	s_cbranch_execz .LBB254_11
.LBB254_14:
	s_cmp_lg_u32 s12, 1
	s_cbranch_scc0 .LBB254_16
; %bb.15:
	s_load_dwordx2 s[0:1], s[4:5], 0x30
	s_mul_hi_u32 s3, s12, s8
	s_mul_i32 s2, s12, s8
	s_lshl_b64 s[2:3], s[2:3], 3
	s_mov_b32 s7, 0
	s_waitcnt lgkmcnt(0)
	s_add_u32 s2, s0, s2
	s_addc_u32 s3, s1, s3
	s_lshl_b64 s[0:1], s[6:7], 3
	s_add_u32 s0, s2, s0
	s_addc_u32 s1, s3, s1
	s_cbranch_execz .LBB254_17
	s_branch .LBB254_18
.LBB254_16:
                                        ; implicit-def: $sgpr0_sgpr1
.LBB254_17:
	s_load_dwordx2 s[0:1], s[4:5], 0x38
	s_lshl_b64 s[2:3], s[8:9], 3
	s_waitcnt lgkmcnt(0)
	s_add_u32 s0, s0, s2
	s_addc_u32 s1, s1, s3
.LBB254_18:
	v_mov_b32_e32 v0, 0
	s_waitcnt lgkmcnt(0)
	global_store_dwordx2 v0, v[2:3], s[0:1]
	s_endpgm
	.section	.rodata,"a",@progbits
	.p2align	6, 0x0
	.amdhsa_kernel _ZL24rocblas_dot_kernel_magsqIlLb0ELi512ELi2ELb1E19rocblas_complex_numIfEPKPKS1_S1_EviT5_lT_liPT6_PT4_
		.amdhsa_group_segment_fixed_size 512
		.amdhsa_private_segment_fixed_size 0
		.amdhsa_kernarg_size 320
		.amdhsa_user_sgpr_count 6
		.amdhsa_user_sgpr_private_segment_buffer 1
		.amdhsa_user_sgpr_dispatch_ptr 0
		.amdhsa_user_sgpr_queue_ptr 0
		.amdhsa_user_sgpr_kernarg_segment_ptr 1
		.amdhsa_user_sgpr_dispatch_id 0
		.amdhsa_user_sgpr_flat_scratch_init 0
		.amdhsa_user_sgpr_kernarg_preload_length 0
		.amdhsa_user_sgpr_kernarg_preload_offset 0
		.amdhsa_user_sgpr_private_segment_size 0
		.amdhsa_uses_dynamic_stack 0
		.amdhsa_system_sgpr_private_segment_wavefront_offset 0
		.amdhsa_system_sgpr_workgroup_id_x 1
		.amdhsa_system_sgpr_workgroup_id_y 0
		.amdhsa_system_sgpr_workgroup_id_z 1
		.amdhsa_system_sgpr_workgroup_info 0
		.amdhsa_system_vgpr_workitem_id 0
		.amdhsa_next_free_vgpr 11
		.amdhsa_next_free_sgpr 18
		.amdhsa_accum_offset 12
		.amdhsa_reserve_vcc 1
		.amdhsa_reserve_flat_scratch 0
		.amdhsa_float_round_mode_32 0
		.amdhsa_float_round_mode_16_64 0
		.amdhsa_float_denorm_mode_32 3
		.amdhsa_float_denorm_mode_16_64 3
		.amdhsa_dx10_clamp 1
		.amdhsa_ieee_mode 1
		.amdhsa_fp16_overflow 0
		.amdhsa_tg_split 0
		.amdhsa_exception_fp_ieee_invalid_op 0
		.amdhsa_exception_fp_denorm_src 0
		.amdhsa_exception_fp_ieee_div_zero 0
		.amdhsa_exception_fp_ieee_overflow 0
		.amdhsa_exception_fp_ieee_underflow 0
		.amdhsa_exception_fp_ieee_inexact 0
		.amdhsa_exception_int_div_zero 0
	.end_amdhsa_kernel
	.section	.text._ZL24rocblas_dot_kernel_magsqIlLb0ELi512ELi2ELb1E19rocblas_complex_numIfEPKPKS1_S1_EviT5_lT_liPT6_PT4_,"axG",@progbits,_ZL24rocblas_dot_kernel_magsqIlLb0ELi512ELi2ELb1E19rocblas_complex_numIfEPKPKS1_S1_EviT5_lT_liPT6_PT4_,comdat
.Lfunc_end254:
	.size	_ZL24rocblas_dot_kernel_magsqIlLb0ELi512ELi2ELb1E19rocblas_complex_numIfEPKPKS1_S1_EviT5_lT_liPT6_PT4_, .Lfunc_end254-_ZL24rocblas_dot_kernel_magsqIlLb0ELi512ELi2ELb1E19rocblas_complex_numIfEPKPKS1_S1_EviT5_lT_liPT6_PT4_
                                        ; -- End function
	.section	.AMDGPU.csdata,"",@progbits
; Kernel info:
; codeLenInByte = 1108
; NumSgprs: 22
; NumVgprs: 11
; NumAgprs: 0
; TotalNumVgprs: 11
; ScratchSize: 0
; MemoryBound: 0
; FloatMode: 240
; IeeeMode: 1
; LDSByteSize: 512 bytes/workgroup (compile time only)
; SGPRBlocks: 2
; VGPRBlocks: 1
; NumSGPRsForWavesPerEU: 22
; NumVGPRsForWavesPerEU: 11
; AccumOffset: 12
; Occupancy: 8
; WaveLimiterHint : 1
; COMPUTE_PGM_RSRC2:SCRATCH_EN: 0
; COMPUTE_PGM_RSRC2:USER_SGPR: 6
; COMPUTE_PGM_RSRC2:TRAP_HANDLER: 0
; COMPUTE_PGM_RSRC2:TGID_X_EN: 1
; COMPUTE_PGM_RSRC2:TGID_Y_EN: 0
; COMPUTE_PGM_RSRC2:TGID_Z_EN: 1
; COMPUTE_PGM_RSRC2:TIDIG_COMP_CNT: 0
; COMPUTE_PGM_RSRC3_GFX90A:ACCUM_OFFSET: 2
; COMPUTE_PGM_RSRC3_GFX90A:TG_SPLIT: 0
	.section	.text._ZL28rocblas_dot_batched_4_kernelIiLi32ELi4ELb1E19rocblas_complex_numIdES1_PKPKS1_EviT5_lT_lS6_lS7_liPT4_,"axG",@progbits,_ZL28rocblas_dot_batched_4_kernelIiLi32ELi4ELb1E19rocblas_complex_numIdES1_PKPKS1_EviT5_lT_lS6_lS7_liPT4_,comdat
	.globl	_ZL28rocblas_dot_batched_4_kernelIiLi32ELi4ELb1E19rocblas_complex_numIdES1_PKPKS1_EviT5_lT_lS6_lS7_liPT4_ ; -- Begin function _ZL28rocblas_dot_batched_4_kernelIiLi32ELi4ELb1E19rocblas_complex_numIdES1_PKPKS1_EviT5_lT_lS6_lS7_liPT4_
	.p2align	8
	.type	_ZL28rocblas_dot_batched_4_kernelIiLi32ELi4ELb1E19rocblas_complex_numIdES1_PKPKS1_EviT5_lT_lS6_lS7_liPT4_,@function
_ZL28rocblas_dot_batched_4_kernelIiLi32ELi4ELb1E19rocblas_complex_numIdES1_PKPKS1_EviT5_lT_lS6_lS7_liPT4_: ; @_ZL28rocblas_dot_batched_4_kernelIiLi32ELi4ELb1E19rocblas_complex_numIdES1_PKPKS1_EviT5_lT_lS6_lS7_liPT4_
; %bb.0:
	s_load_dword s0, s[4:5], 0x48
	v_bfe_u32 v1, v0, 10, 10
	v_lshl_add_u32 v2, s6, 2, v1
	s_waitcnt lgkmcnt(0)
	v_cmp_gt_u32_e32 vcc, s0, v2
	s_and_saveexec_b64 s[0:1], vcc
	s_cbranch_execz .LBB255_7
; %bb.1:
	s_load_dword s14, s[4:5], 0x0
	s_load_dwordx2 s[6:7], s[4:5], 0x50
	v_and_b32_e32 v10, 0x3ff, v0
	v_pk_mov_b32 v[0:1], 0, 0
	v_mov_b32_e32 v3, 0
	s_waitcnt lgkmcnt(0)
	v_cmp_gt_i32_e32 vcc, s14, v10
	v_pk_mov_b32 v[4:5], v[0:1], v[0:1] op_sel:[0,1]
	s_and_saveexec_b64 s[12:13], vcc
	s_cbranch_execz .LBB255_5
; %bb.2:
	s_load_dwordx4 s[0:3], s[4:5], 0x8
	s_load_dwordx4 s[8:11], s[4:5], 0x28
	v_lshlrev_b64 v[0:1], 3, v[2:3]
	s_load_dword s16, s[4:5], 0x18
	s_load_dword s18, s[4:5], 0x38
	v_mov_b32_e32 v11, v10
	s_waitcnt lgkmcnt(0)
	v_mov_b32_e32 v6, s1
	v_mov_b32_e32 v5, s9
	v_add_co_u32_e32 v4, vcc, s8, v0
	v_addc_co_u32_e32 v5, vcc, v5, v1, vcc
	global_load_dwordx2 v[4:5], v[4:5], off
	v_add_co_u32_e32 v0, vcc, s0, v0
	v_addc_co_u32_e32 v1, vcc, v6, v1, vcc
	global_load_dwordx2 v[6:7], v[0:1], off
	v_mad_i64_i32 v[8:9], s[4:5], s18, v10, 0
	s_lshl_b64 s[8:9], s[10:11], 4
	v_lshlrev_b64 v[8:9], 4, v[8:9]
	v_mad_i64_i32 v[12:13], s[4:5], s16, v10, 0
	v_mov_b32_e32 v14, s9
	v_add_co_u32_e32 v8, vcc, s8, v8
	s_lshl_b64 s[10:11], s[2:3], 4
	v_lshlrev_b64 v[12:13], 4, v[12:13]
	v_addc_co_u32_e32 v9, vcc, v9, v14, vcc
	v_mov_b32_e32 v15, s11
	v_add_co_u32_e32 v14, vcc, s10, v12
	v_addc_co_u32_e32 v15, vcc, v13, v15, vcc
	s_ashr_i32 s17, s16, 31
	s_ashr_i32 s19, s18, 31
	v_pk_mov_b32 v[0:1], 0, 0
	s_lshl_b64 s[2:3], s[18:19], 9
	s_lshl_b64 s[4:5], s[16:17], 9
	s_mov_b64 s[0:1], 0
	v_mov_b32_e32 v12, s3
	v_mov_b32_e32 v13, s5
	s_waitcnt vmcnt(1)
	v_add_co_u32_e32 v4, vcc, v8, v4
	v_addc_co_u32_e32 v5, vcc, v9, v5, vcc
	s_waitcnt vmcnt(0)
	v_add_co_u32_e32 v8, vcc, v14, v6
	v_addc_co_u32_e32 v9, vcc, v15, v7, vcc
	v_add_co_u32_e32 v6, vcc, 8, v4
	v_addc_co_u32_e32 v7, vcc, 0, v5, vcc
	;; [unrolled: 2-line block ×3, first 2 shown]
	v_pk_mov_b32 v[4:5], v[0:1], v[0:1] op_sel:[0,1]
.LBB255_3:                              ; =>This Inner Loop Header: Depth=1
	global_load_dwordx4 v[14:17], v[8:9], off offset:-8
	global_load_dwordx4 v[18:21], v[6:7], off offset:-8
	v_add_co_u32_e32 v6, vcc, s2, v6
	v_addc_co_u32_e32 v7, vcc, v7, v12, vcc
	v_add_co_u32_e32 v8, vcc, s4, v8
	v_add_u32_e32 v11, 32, v11
	v_addc_co_u32_e32 v9, vcc, v9, v13, vcc
	v_cmp_le_i32_e32 vcc, s14, v11
	s_or_b64 s[0:1], vcc, s[0:1]
	s_waitcnt vmcnt(0)
	v_mul_f64 v[22:23], v[16:17], v[20:21]
	v_mul_f64 v[16:17], v[16:17], v[18:19]
	v_fmac_f64_e32 v[22:23], v[14:15], v[18:19]
	v_fma_f64 v[14:15], v[14:15], v[20:21], -v[16:17]
	v_add_f64 v[0:1], v[0:1], v[22:23]
	v_add_f64 v[4:5], v[4:5], v[14:15]
	s_andn2_b64 exec, exec, s[0:1]
	s_cbranch_execnz .LBB255_3
; %bb.4:
	s_or_b64 exec, exec, s[0:1]
.LBB255_5:
	s_or_b64 exec, exec, s[12:13]
	v_mbcnt_lo_u32_b32 v6, -1, 0
	v_mbcnt_hi_u32_b32 v11, -1, v6
	v_and_b32_e32 v12, 63, v11
	v_cmp_gt_u32_e32 vcc, 48, v12
	v_cndmask_b32_e64 v6, 0, 1, vcc
	v_lshlrev_b32_e32 v6, 4, v6
	v_add_lshl_u32 v9, v6, v11, 2
	ds_bpermute_b32 v6, v9, v0
	ds_bpermute_b32 v7, v9, v1
	;; [unrolled: 1-line block ×4, first 2 shown]
	v_cmp_gt_u32_e32 vcc, 56, v12
	s_waitcnt lgkmcnt(0)
	v_add_f64 v[0:1], v[0:1], v[6:7]
	v_cndmask_b32_e64 v6, 0, 1, vcc
	v_lshlrev_b32_e32 v6, 3, v6
	v_add_f64 v[4:5], v[4:5], v[8:9]
	v_add_lshl_u32 v9, v6, v11, 2
	ds_bpermute_b32 v6, v9, v0
	ds_bpermute_b32 v7, v9, v1
	;; [unrolled: 1-line block ×4, first 2 shown]
	v_cmp_gt_u32_e32 vcc, 60, v12
	s_barrier
	s_waitcnt lgkmcnt(2)
	v_add_f64 v[0:1], v[0:1], v[6:7]
	v_cndmask_b32_e64 v6, 0, 1, vcc
	v_lshlrev_b32_e32 v6, 2, v6
	s_waitcnt lgkmcnt(0)
	v_add_f64 v[4:5], v[4:5], v[8:9]
	v_add_lshl_u32 v9, v6, v11, 2
	ds_bpermute_b32 v6, v9, v0
	ds_bpermute_b32 v7, v9, v1
	;; [unrolled: 1-line block ×4, first 2 shown]
	v_cmp_gt_u32_e32 vcc, 62, v12
	s_waitcnt lgkmcnt(0)
	v_add_f64 v[0:1], v[0:1], v[6:7]
	v_cndmask_b32_e64 v6, 0, 1, vcc
	v_lshlrev_b32_e32 v6, 1, v6
	v_add_f64 v[4:5], v[4:5], v[8:9]
	v_add_lshl_u32 v9, v6, v11, 2
	ds_bpermute_b32 v6, v9, v0
	ds_bpermute_b32 v7, v9, v1
	;; [unrolled: 1-line block ×4, first 2 shown]
	v_cmp_ne_u32_e32 vcc, 63, v12
	s_waitcnt lgkmcnt(2)
	v_add_f64 v[0:1], v[0:1], v[6:7]
	s_waitcnt lgkmcnt(0)
	v_add_f64 v[6:7], v[4:5], v[8:9]
	v_addc_co_u32_e32 v4, vcc, 0, v11, vcc
	v_lshlrev_b32_e32 v9, 2, v4
	ds_bpermute_b32 v4, v9, v0
	ds_bpermute_b32 v5, v9, v1
	;; [unrolled: 1-line block ×4, first 2 shown]
	v_cmp_eq_u32_e32 vcc, 0, v10
	s_and_b64 exec, exec, vcc
	s_cbranch_execz .LBB255_7
; %bb.6:
	v_lshlrev_b64 v[2:3], 4, v[2:3]
	v_mov_b32_e32 v11, s7
	v_add_co_u32_e32 v10, vcc, s6, v2
	v_addc_co_u32_e32 v11, vcc, v11, v3, vcc
	s_waitcnt lgkmcnt(0)
	v_add_f64 v[2:3], v[6:7], v[8:9]
	v_add_f64 v[0:1], v[0:1], v[4:5]
	global_store_dwordx4 v[10:11], v[0:3], off
.LBB255_7:
	s_endpgm
	.section	.rodata,"a",@progbits
	.p2align	6, 0x0
	.amdhsa_kernel _ZL28rocblas_dot_batched_4_kernelIiLi32ELi4ELb1E19rocblas_complex_numIdES1_PKPKS1_EviT5_lT_lS6_lS7_liPT4_
		.amdhsa_group_segment_fixed_size 0
		.amdhsa_private_segment_fixed_size 0
		.amdhsa_kernarg_size 88
		.amdhsa_user_sgpr_count 6
		.amdhsa_user_sgpr_private_segment_buffer 1
		.amdhsa_user_sgpr_dispatch_ptr 0
		.amdhsa_user_sgpr_queue_ptr 0
		.amdhsa_user_sgpr_kernarg_segment_ptr 1
		.amdhsa_user_sgpr_dispatch_id 0
		.amdhsa_user_sgpr_flat_scratch_init 0
		.amdhsa_user_sgpr_kernarg_preload_length 0
		.amdhsa_user_sgpr_kernarg_preload_offset 0
		.amdhsa_user_sgpr_private_segment_size 0
		.amdhsa_uses_dynamic_stack 0
		.amdhsa_system_sgpr_private_segment_wavefront_offset 0
		.amdhsa_system_sgpr_workgroup_id_x 1
		.amdhsa_system_sgpr_workgroup_id_y 0
		.amdhsa_system_sgpr_workgroup_id_z 0
		.amdhsa_system_sgpr_workgroup_info 0
		.amdhsa_system_vgpr_workitem_id 1
		.amdhsa_next_free_vgpr 24
		.amdhsa_next_free_sgpr 20
		.amdhsa_accum_offset 24
		.amdhsa_reserve_vcc 1
		.amdhsa_reserve_flat_scratch 0
		.amdhsa_float_round_mode_32 0
		.amdhsa_float_round_mode_16_64 0
		.amdhsa_float_denorm_mode_32 3
		.amdhsa_float_denorm_mode_16_64 3
		.amdhsa_dx10_clamp 1
		.amdhsa_ieee_mode 1
		.amdhsa_fp16_overflow 0
		.amdhsa_tg_split 0
		.amdhsa_exception_fp_ieee_invalid_op 0
		.amdhsa_exception_fp_denorm_src 0
		.amdhsa_exception_fp_ieee_div_zero 0
		.amdhsa_exception_fp_ieee_overflow 0
		.amdhsa_exception_fp_ieee_underflow 0
		.amdhsa_exception_fp_ieee_inexact 0
		.amdhsa_exception_int_div_zero 0
	.end_amdhsa_kernel
	.section	.text._ZL28rocblas_dot_batched_4_kernelIiLi32ELi4ELb1E19rocblas_complex_numIdES1_PKPKS1_EviT5_lT_lS6_lS7_liPT4_,"axG",@progbits,_ZL28rocblas_dot_batched_4_kernelIiLi32ELi4ELb1E19rocblas_complex_numIdES1_PKPKS1_EviT5_lT_lS6_lS7_liPT4_,comdat
.Lfunc_end255:
	.size	_ZL28rocblas_dot_batched_4_kernelIiLi32ELi4ELb1E19rocblas_complex_numIdES1_PKPKS1_EviT5_lT_lS6_lS7_liPT4_, .Lfunc_end255-_ZL28rocblas_dot_batched_4_kernelIiLi32ELi4ELb1E19rocblas_complex_numIdES1_PKPKS1_EviT5_lT_lS6_lS7_liPT4_
                                        ; -- End function
	.section	.AMDGPU.csdata,"",@progbits
; Kernel info:
; codeLenInByte = 888
; NumSgprs: 24
; NumVgprs: 24
; NumAgprs: 0
; TotalNumVgprs: 24
; ScratchSize: 0
; MemoryBound: 0
; FloatMode: 240
; IeeeMode: 1
; LDSByteSize: 0 bytes/workgroup (compile time only)
; SGPRBlocks: 2
; VGPRBlocks: 2
; NumSGPRsForWavesPerEU: 24
; NumVGPRsForWavesPerEU: 24
; AccumOffset: 24
; Occupancy: 8
; WaveLimiterHint : 0
; COMPUTE_PGM_RSRC2:SCRATCH_EN: 0
; COMPUTE_PGM_RSRC2:USER_SGPR: 6
; COMPUTE_PGM_RSRC2:TRAP_HANDLER: 0
; COMPUTE_PGM_RSRC2:TGID_X_EN: 1
; COMPUTE_PGM_RSRC2:TGID_Y_EN: 0
; COMPUTE_PGM_RSRC2:TGID_Z_EN: 0
; COMPUTE_PGM_RSRC2:TIDIG_COMP_CNT: 1
; COMPUTE_PGM_RSRC3_GFX90A:ACCUM_OFFSET: 5
; COMPUTE_PGM_RSRC3_GFX90A:TG_SPLIT: 0
	.section	.text._ZL28rocblas_dot_batched_4_kernelIiLi64ELi4ELb1E19rocblas_complex_numIdES1_PKPKS1_EviT5_lT_lS6_lS7_liPT4_,"axG",@progbits,_ZL28rocblas_dot_batched_4_kernelIiLi64ELi4ELb1E19rocblas_complex_numIdES1_PKPKS1_EviT5_lT_lS6_lS7_liPT4_,comdat
	.globl	_ZL28rocblas_dot_batched_4_kernelIiLi64ELi4ELb1E19rocblas_complex_numIdES1_PKPKS1_EviT5_lT_lS6_lS7_liPT4_ ; -- Begin function _ZL28rocblas_dot_batched_4_kernelIiLi64ELi4ELb1E19rocblas_complex_numIdES1_PKPKS1_EviT5_lT_lS6_lS7_liPT4_
	.p2align	8
	.type	_ZL28rocblas_dot_batched_4_kernelIiLi64ELi4ELb1E19rocblas_complex_numIdES1_PKPKS1_EviT5_lT_lS6_lS7_liPT4_,@function
_ZL28rocblas_dot_batched_4_kernelIiLi64ELi4ELb1E19rocblas_complex_numIdES1_PKPKS1_EviT5_lT_lS6_lS7_liPT4_: ; @_ZL28rocblas_dot_batched_4_kernelIiLi64ELi4ELb1E19rocblas_complex_numIdES1_PKPKS1_EviT5_lT_lS6_lS7_liPT4_
; %bb.0:
	s_load_dword s0, s[4:5], 0x48
	v_bfe_u32 v1, v0, 10, 10
	v_lshl_add_u32 v2, s6, 2, v1
	s_waitcnt lgkmcnt(0)
	v_cmp_gt_u32_e32 vcc, s0, v2
	s_and_saveexec_b64 s[0:1], vcc
	s_cbranch_execz .LBB256_7
; %bb.1:
	s_load_dword s14, s[4:5], 0x0
	s_load_dwordx2 s[6:7], s[4:5], 0x50
	v_and_b32_e32 v10, 0x3ff, v0
	v_pk_mov_b32 v[0:1], 0, 0
	v_mov_b32_e32 v3, 0
	s_waitcnt lgkmcnt(0)
	v_cmp_gt_i32_e32 vcc, s14, v10
	v_pk_mov_b32 v[4:5], v[0:1], v[0:1] op_sel:[0,1]
	s_and_saveexec_b64 s[12:13], vcc
	s_cbranch_execz .LBB256_5
; %bb.2:
	s_load_dwordx4 s[0:3], s[4:5], 0x8
	s_load_dwordx4 s[8:11], s[4:5], 0x28
	v_lshlrev_b64 v[0:1], 3, v[2:3]
	s_load_dword s16, s[4:5], 0x18
	s_load_dword s18, s[4:5], 0x38
	v_mov_b32_e32 v11, v10
	s_waitcnt lgkmcnt(0)
	v_mov_b32_e32 v6, s1
	v_mov_b32_e32 v5, s9
	v_add_co_u32_e32 v4, vcc, s8, v0
	v_addc_co_u32_e32 v5, vcc, v5, v1, vcc
	global_load_dwordx2 v[4:5], v[4:5], off
	v_add_co_u32_e32 v0, vcc, s0, v0
	v_addc_co_u32_e32 v1, vcc, v6, v1, vcc
	global_load_dwordx2 v[6:7], v[0:1], off
	v_mad_i64_i32 v[8:9], s[4:5], s18, v10, 0
	s_lshl_b64 s[8:9], s[10:11], 4
	v_lshlrev_b64 v[8:9], 4, v[8:9]
	v_mad_i64_i32 v[12:13], s[4:5], s16, v10, 0
	v_mov_b32_e32 v14, s9
	v_add_co_u32_e32 v8, vcc, s8, v8
	s_lshl_b64 s[10:11], s[2:3], 4
	v_lshlrev_b64 v[12:13], 4, v[12:13]
	v_addc_co_u32_e32 v9, vcc, v9, v14, vcc
	v_mov_b32_e32 v15, s11
	v_add_co_u32_e32 v14, vcc, s10, v12
	v_addc_co_u32_e32 v15, vcc, v13, v15, vcc
	s_ashr_i32 s17, s16, 31
	s_ashr_i32 s19, s18, 31
	v_pk_mov_b32 v[0:1], 0, 0
	s_lshl_b64 s[2:3], s[18:19], 10
	s_lshl_b64 s[4:5], s[16:17], 10
	s_mov_b64 s[0:1], 0
	v_mov_b32_e32 v12, s3
	v_mov_b32_e32 v13, s5
	s_waitcnt vmcnt(1)
	v_add_co_u32_e32 v4, vcc, v8, v4
	v_addc_co_u32_e32 v5, vcc, v9, v5, vcc
	s_waitcnt vmcnt(0)
	v_add_co_u32_e32 v8, vcc, v14, v6
	v_addc_co_u32_e32 v9, vcc, v15, v7, vcc
	v_add_co_u32_e32 v6, vcc, 8, v4
	v_addc_co_u32_e32 v7, vcc, 0, v5, vcc
	;; [unrolled: 2-line block ×3, first 2 shown]
	v_pk_mov_b32 v[4:5], v[0:1], v[0:1] op_sel:[0,1]
.LBB256_3:                              ; =>This Inner Loop Header: Depth=1
	global_load_dwordx4 v[14:17], v[8:9], off offset:-8
	global_load_dwordx4 v[18:21], v[6:7], off offset:-8
	v_add_co_u32_e32 v6, vcc, s2, v6
	v_addc_co_u32_e32 v7, vcc, v7, v12, vcc
	v_add_co_u32_e32 v8, vcc, s4, v8
	v_add_u32_e32 v11, 64, v11
	v_addc_co_u32_e32 v9, vcc, v9, v13, vcc
	v_cmp_le_i32_e32 vcc, s14, v11
	s_or_b64 s[0:1], vcc, s[0:1]
	s_waitcnt vmcnt(0)
	v_mul_f64 v[22:23], v[16:17], v[20:21]
	v_mul_f64 v[16:17], v[16:17], v[18:19]
	v_fmac_f64_e32 v[22:23], v[14:15], v[18:19]
	v_fma_f64 v[14:15], v[14:15], v[20:21], -v[16:17]
	v_add_f64 v[0:1], v[0:1], v[22:23]
	v_add_f64 v[4:5], v[4:5], v[14:15]
	s_andn2_b64 exec, exec, s[0:1]
	s_cbranch_execnz .LBB256_3
; %bb.4:
	s_or_b64 exec, exec, s[0:1]
.LBB256_5:
	s_or_b64 exec, exec, s[12:13]
	v_mbcnt_lo_u32_b32 v6, -1, 0
	v_mbcnt_hi_u32_b32 v11, -1, v6
	v_and_b32_e32 v12, 63, v11
	v_cmp_gt_u32_e32 vcc, 32, v12
	v_cndmask_b32_e64 v6, 0, 1, vcc
	v_lshlrev_b32_e32 v6, 5, v6
	v_add_lshl_u32 v9, v6, v11, 2
	ds_bpermute_b32 v6, v9, v0
	ds_bpermute_b32 v7, v9, v1
	;; [unrolled: 1-line block ×4, first 2 shown]
	v_cmp_gt_u32_e32 vcc, 48, v12
	s_waitcnt lgkmcnt(0)
	v_add_f64 v[0:1], v[0:1], v[6:7]
	v_cndmask_b32_e64 v6, 0, 1, vcc
	v_lshlrev_b32_e32 v6, 4, v6
	v_add_f64 v[4:5], v[4:5], v[8:9]
	v_add_lshl_u32 v9, v6, v11, 2
	ds_bpermute_b32 v6, v9, v0
	ds_bpermute_b32 v7, v9, v1
	;; [unrolled: 1-line block ×4, first 2 shown]
	v_cmp_gt_u32_e32 vcc, 56, v12
	s_barrier
	s_waitcnt lgkmcnt(2)
	v_add_f64 v[0:1], v[0:1], v[6:7]
	v_cndmask_b32_e64 v6, 0, 1, vcc
	v_lshlrev_b32_e32 v6, 3, v6
	s_waitcnt lgkmcnt(0)
	v_add_f64 v[4:5], v[4:5], v[8:9]
	v_add_lshl_u32 v9, v6, v11, 2
	ds_bpermute_b32 v6, v9, v0
	ds_bpermute_b32 v7, v9, v1
	;; [unrolled: 1-line block ×4, first 2 shown]
	v_cmp_gt_u32_e32 vcc, 60, v12
	s_waitcnt lgkmcnt(0)
	v_add_f64 v[0:1], v[0:1], v[6:7]
	v_cndmask_b32_e64 v6, 0, 1, vcc
	v_lshlrev_b32_e32 v6, 2, v6
	v_add_f64 v[4:5], v[4:5], v[8:9]
	v_add_lshl_u32 v9, v6, v11, 2
	ds_bpermute_b32 v6, v9, v0
	ds_bpermute_b32 v7, v9, v1
	;; [unrolled: 1-line block ×4, first 2 shown]
	v_cmp_gt_u32_e32 vcc, 62, v12
	s_waitcnt lgkmcnt(2)
	v_add_f64 v[0:1], v[0:1], v[6:7]
	v_cndmask_b32_e64 v6, 0, 1, vcc
	v_lshlrev_b32_e32 v6, 1, v6
	s_waitcnt lgkmcnt(0)
	v_add_f64 v[4:5], v[4:5], v[8:9]
	v_add_lshl_u32 v9, v6, v11, 2
	ds_bpermute_b32 v6, v9, v0
	ds_bpermute_b32 v7, v9, v1
	;; [unrolled: 1-line block ×4, first 2 shown]
	v_cmp_ne_u32_e32 vcc, 63, v12
	s_waitcnt lgkmcnt(2)
	v_add_f64 v[0:1], v[0:1], v[6:7]
	s_waitcnt lgkmcnt(0)
	v_add_f64 v[6:7], v[4:5], v[8:9]
	v_addc_co_u32_e32 v4, vcc, 0, v11, vcc
	v_lshlrev_b32_e32 v9, 2, v4
	ds_bpermute_b32 v4, v9, v0
	ds_bpermute_b32 v5, v9, v1
	;; [unrolled: 1-line block ×4, first 2 shown]
	v_cmp_eq_u32_e32 vcc, 0, v10
	s_and_b64 exec, exec, vcc
	s_cbranch_execz .LBB256_7
; %bb.6:
	v_lshlrev_b64 v[2:3], 4, v[2:3]
	v_mov_b32_e32 v11, s7
	v_add_co_u32_e32 v10, vcc, s6, v2
	v_addc_co_u32_e32 v11, vcc, v11, v3, vcc
	s_waitcnt lgkmcnt(0)
	v_add_f64 v[2:3], v[6:7], v[8:9]
	v_add_f64 v[0:1], v[0:1], v[4:5]
	global_store_dwordx4 v[10:11], v[0:3], off
.LBB256_7:
	s_endpgm
	.section	.rodata,"a",@progbits
	.p2align	6, 0x0
	.amdhsa_kernel _ZL28rocblas_dot_batched_4_kernelIiLi64ELi4ELb1E19rocblas_complex_numIdES1_PKPKS1_EviT5_lT_lS6_lS7_liPT4_
		.amdhsa_group_segment_fixed_size 0
		.amdhsa_private_segment_fixed_size 0
		.amdhsa_kernarg_size 88
		.amdhsa_user_sgpr_count 6
		.amdhsa_user_sgpr_private_segment_buffer 1
		.amdhsa_user_sgpr_dispatch_ptr 0
		.amdhsa_user_sgpr_queue_ptr 0
		.amdhsa_user_sgpr_kernarg_segment_ptr 1
		.amdhsa_user_sgpr_dispatch_id 0
		.amdhsa_user_sgpr_flat_scratch_init 0
		.amdhsa_user_sgpr_kernarg_preload_length 0
		.amdhsa_user_sgpr_kernarg_preload_offset 0
		.amdhsa_user_sgpr_private_segment_size 0
		.amdhsa_uses_dynamic_stack 0
		.amdhsa_system_sgpr_private_segment_wavefront_offset 0
		.amdhsa_system_sgpr_workgroup_id_x 1
		.amdhsa_system_sgpr_workgroup_id_y 0
		.amdhsa_system_sgpr_workgroup_id_z 0
		.amdhsa_system_sgpr_workgroup_info 0
		.amdhsa_system_vgpr_workitem_id 1
		.amdhsa_next_free_vgpr 24
		.amdhsa_next_free_sgpr 20
		.amdhsa_accum_offset 24
		.amdhsa_reserve_vcc 1
		.amdhsa_reserve_flat_scratch 0
		.amdhsa_float_round_mode_32 0
		.amdhsa_float_round_mode_16_64 0
		.amdhsa_float_denorm_mode_32 3
		.amdhsa_float_denorm_mode_16_64 3
		.amdhsa_dx10_clamp 1
		.amdhsa_ieee_mode 1
		.amdhsa_fp16_overflow 0
		.amdhsa_tg_split 0
		.amdhsa_exception_fp_ieee_invalid_op 0
		.amdhsa_exception_fp_denorm_src 0
		.amdhsa_exception_fp_ieee_div_zero 0
		.amdhsa_exception_fp_ieee_overflow 0
		.amdhsa_exception_fp_ieee_underflow 0
		.amdhsa_exception_fp_ieee_inexact 0
		.amdhsa_exception_int_div_zero 0
	.end_amdhsa_kernel
	.section	.text._ZL28rocblas_dot_batched_4_kernelIiLi64ELi4ELb1E19rocblas_complex_numIdES1_PKPKS1_EviT5_lT_lS6_lS7_liPT4_,"axG",@progbits,_ZL28rocblas_dot_batched_4_kernelIiLi64ELi4ELb1E19rocblas_complex_numIdES1_PKPKS1_EviT5_lT_lS6_lS7_liPT4_,comdat
.Lfunc_end256:
	.size	_ZL28rocblas_dot_batched_4_kernelIiLi64ELi4ELb1E19rocblas_complex_numIdES1_PKPKS1_EviT5_lT_lS6_lS7_liPT4_, .Lfunc_end256-_ZL28rocblas_dot_batched_4_kernelIiLi64ELi4ELb1E19rocblas_complex_numIdES1_PKPKS1_EviT5_lT_lS6_lS7_liPT4_
                                        ; -- End function
	.section	.AMDGPU.csdata,"",@progbits
; Kernel info:
; codeLenInByte = 968
; NumSgprs: 24
; NumVgprs: 24
; NumAgprs: 0
; TotalNumVgprs: 24
; ScratchSize: 0
; MemoryBound: 0
; FloatMode: 240
; IeeeMode: 1
; LDSByteSize: 0 bytes/workgroup (compile time only)
; SGPRBlocks: 2
; VGPRBlocks: 2
; NumSGPRsForWavesPerEU: 24
; NumVGPRsForWavesPerEU: 24
; AccumOffset: 24
; Occupancy: 8
; WaveLimiterHint : 0
; COMPUTE_PGM_RSRC2:SCRATCH_EN: 0
; COMPUTE_PGM_RSRC2:USER_SGPR: 6
; COMPUTE_PGM_RSRC2:TRAP_HANDLER: 0
; COMPUTE_PGM_RSRC2:TGID_X_EN: 1
; COMPUTE_PGM_RSRC2:TGID_Y_EN: 0
; COMPUTE_PGM_RSRC2:TGID_Z_EN: 0
; COMPUTE_PGM_RSRC2:TIDIG_COMP_CNT: 1
; COMPUTE_PGM_RSRC3_GFX90A:ACCUM_OFFSET: 5
; COMPUTE_PGM_RSRC3_GFX90A:TG_SPLIT: 0
	.section	.text._ZL26rocblas_dot_kernel_inc1by2ILb1ELi1024ELi32ELb1E19rocblas_complex_numIdEPKPKS1_S1_EviT4_llS6_lliPT5_PT3_,"axG",@progbits,_ZL26rocblas_dot_kernel_inc1by2ILb1ELi1024ELi32ELb1E19rocblas_complex_numIdEPKPKS1_S1_EviT4_llS6_lliPT5_PT3_,comdat
	.globl	_ZL26rocblas_dot_kernel_inc1by2ILb1ELi1024ELi32ELb1E19rocblas_complex_numIdEPKPKS1_S1_EviT4_llS6_lliPT5_PT3_ ; -- Begin function _ZL26rocblas_dot_kernel_inc1by2ILb1ELi1024ELi32ELb1E19rocblas_complex_numIdEPKPKS1_S1_EviT4_llS6_lliPT5_PT3_
	.p2align	8
	.type	_ZL26rocblas_dot_kernel_inc1by2ILb1ELi1024ELi32ELb1E19rocblas_complex_numIdEPKPKS1_S1_EviT4_llS6_lliPT5_PT3_,@function
_ZL26rocblas_dot_kernel_inc1by2ILb1ELi1024ELi32ELb1E19rocblas_complex_numIdEPKPKS1_S1_EviT4_llS6_lliPT5_PT3_: ; @_ZL26rocblas_dot_kernel_inc1by2ILb1ELi1024ELi32ELb1E19rocblas_complex_numIdEPKPKS1_S1_EviT4_llS6_lliPT5_PT3_
; %bb.0:
	s_mov_b32 s2, s7
	s_load_dword s10, s[4:5], 0x0
	s_load_dwordx2 s[6:7], s[4:5], 0x48
	v_pk_mov_b32 v[2:3], 0, 0
	s_mov_b32 s3, 0
	v_pk_mov_b32 v[4:5], v[2:3], v[2:3] op_sel:[0,1]
	s_waitcnt lgkmcnt(0)
	v_cmp_gt_i32_e32 vcc, s10, v0
	s_and_saveexec_b64 s[8:9], vcc
	s_cbranch_execz .LBB257_4
; %bb.1:
	s_load_dwordx4 s[12:15], s[4:5], 0x8
	s_load_dwordx4 s[16:19], s[4:5], 0x20
	s_lshl_b64 s[0:1], s[2:3], 3
	v_lshlrev_b32_e32 v2, 4, v0
	v_or_b32_e32 v1, 0x400, v0
	s_waitcnt lgkmcnt(0)
	s_add_u32 s4, s12, s0
	s_addc_u32 s5, s13, s1
	s_add_u32 s0, s16, s0
	s_addc_u32 s1, s17, s1
	s_load_dwordx2 s[0:1], s[0:1], 0x0
	s_lshl_b64 s[12:13], s[18:19], 4
	s_load_dwordx2 s[4:5], s[4:5], 0x0
	s_mov_b32 s11, s3
	s_waitcnt lgkmcnt(0)
	s_add_u32 s0, s0, s12
	s_addc_u32 s1, s1, s13
	v_mov_b32_e32 v3, s1
	v_add_co_u32_e32 v4, vcc, s0, v2
	v_addc_co_u32_e32 v3, vcc, 0, v3, vcc
	s_lshl_b64 s[0:1], s[14:15], 4
	v_add_co_u32_e32 v6, vcc, 8, v4
	s_add_u32 s0, s4, s0
	v_addc_co_u32_e32 v7, vcc, 0, v3, vcc
	s_addc_u32 s1, s5, s1
	v_mov_b32_e32 v3, s1
	v_add_co_u32_e32 v2, vcc, s0, v2
	v_addc_co_u32_e32 v3, vcc, 0, v3, vcc
	v_add_co_u32_e32 v8, vcc, 8, v2
	v_addc_co_u32_e32 v9, vcc, 0, v3, vcc
	v_pk_mov_b32 v[2:3], 0, 0
	s_mov_b64 s[4:5], 0
	v_pk_mov_b32 v[4:5], v[2:3], v[2:3] op_sel:[0,1]
.LBB257_2:                              ; =>This Inner Loop Header: Depth=1
	global_load_dwordx4 v[10:13], v[6:7], off offset:-8
	global_load_dwordx4 v[14:17], v[8:9], off offset:-8
	s_add_i32 s12, s11, 1
	s_cmp_gt_u32 s11, 30
	v_cmp_le_i32_e64 s[0:1], s10, v1
	v_add_co_u32_e32 v6, vcc, 0x4000, v6
	s_mov_b32 s11, s12
	s_cselect_b64 s[12:13], -1, 0
	v_addc_co_u32_e32 v7, vcc, 0, v7, vcc
	s_or_b64 s[0:1], s[12:13], s[0:1]
	v_add_co_u32_e32 v8, vcc, 0x4000, v8
	s_and_b64 s[0:1], exec, s[0:1]
	v_add_u32_e32 v1, 0x400, v1
	v_addc_co_u32_e32 v9, vcc, 0, v9, vcc
	s_or_b64 s[4:5], s[0:1], s[4:5]
	s_waitcnt vmcnt(0)
	v_mul_f64 v[18:19], v[12:13], v[16:17]
	v_mul_f64 v[16:17], v[10:11], v[16:17]
	v_fmac_f64_e32 v[18:19], v[10:11], v[14:15]
	v_fma_f64 v[10:11], v[12:13], v[14:15], -v[16:17]
	v_add_f64 v[4:5], v[4:5], v[18:19]
	v_add_f64 v[2:3], v[2:3], v[10:11]
	s_andn2_b64 exec, exec, s[4:5]
	s_cbranch_execnz .LBB257_2
; %bb.3:
	s_or_b64 exec, exec, s[4:5]
.LBB257_4:
	s_or_b64 exec, exec, s[8:9]
	v_and_b32_e32 v13, 63, v0
	v_cmp_gt_u32_e32 vcc, 64, v0
	v_lshlrev_b32_e32 v1, 4, v13
	s_and_saveexec_b64 s[0:1], vcc
	s_cbranch_execz .LBB257_6
; %bb.5:
	v_mov_b32_e32 v6, 0
	v_mov_b32_e32 v7, v6
	;; [unrolled: 1-line block ×4, first 2 shown]
	ds_write_b128 v1, v[6:9]
.LBB257_6:
	s_or_b64 exec, exec, s[0:1]
	v_mbcnt_lo_u32_b32 v6, -1, 0
	v_mbcnt_hi_u32_b32 v14, -1, v6
	v_and_b32_e32 v15, 63, v14
	v_cmp_gt_u32_e64 s[0:1], 32, v15
	v_cndmask_b32_e64 v6, 0, 1, s[0:1]
	v_lshlrev_b32_e32 v6, 5, v6
	v_add_lshl_u32 v9, v6, v14, 2
	ds_bpermute_b32 v6, v9, v4
	ds_bpermute_b32 v7, v9, v5
	;; [unrolled: 1-line block ×4, first 2 shown]
	v_cmp_gt_u32_e64 s[0:1], 48, v15
	s_waitcnt lgkmcnt(0)
	v_add_f64 v[4:5], v[4:5], v[6:7]
	v_cndmask_b32_e64 v6, 0, 1, s[0:1]
	v_lshlrev_b32_e32 v6, 4, v6
	v_add_f64 v[2:3], v[2:3], v[8:9]
	v_add_lshl_u32 v9, v6, v14, 2
	ds_bpermute_b32 v6, v9, v4
	ds_bpermute_b32 v7, v9, v5
	;; [unrolled: 1-line block ×4, first 2 shown]
	v_cmp_gt_u32_e64 s[0:1], 56, v15
	s_barrier
	s_waitcnt lgkmcnt(2)
	v_add_f64 v[4:5], v[4:5], v[6:7]
	v_cndmask_b32_e64 v6, 0, 1, s[0:1]
	v_lshlrev_b32_e32 v6, 3, v6
	v_add_lshl_u32 v10, v6, v14, 2
	ds_bpermute_b32 v6, v10, v4
	ds_bpermute_b32 v7, v10, v5
	s_waitcnt lgkmcnt(2)
	v_add_f64 v[2:3], v[2:3], v[8:9]
	ds_bpermute_b32 v8, v10, v2
	ds_bpermute_b32 v9, v10, v3
	v_cmp_gt_u32_e64 s[0:1], 60, v15
	s_waitcnt lgkmcnt(2)
	v_add_f64 v[4:5], v[4:5], v[6:7]
	v_cndmask_b32_e64 v6, 0, 1, s[0:1]
	v_lshlrev_b32_e32 v6, 2, v6
	s_waitcnt lgkmcnt(0)
	v_add_f64 v[2:3], v[2:3], v[8:9]
	v_add_lshl_u32 v11, v6, v14, 2
	ds_bpermute_b32 v6, v11, v4
	ds_bpermute_b32 v7, v11, v5
	;; [unrolled: 1-line block ×4, first 2 shown]
	v_cmp_gt_u32_e64 s[0:1], 62, v15
	s_waitcnt lgkmcnt(0)
	v_add_f64 v[4:5], v[4:5], v[6:7]
	v_add_f64 v[6:7], v[2:3], v[8:9]
	v_cndmask_b32_e64 v2, 0, 1, s[0:1]
	v_lshlrev_b32_e32 v2, 1, v2
	v_add_lshl_u32 v12, v2, v14, 2
	ds_bpermute_b32 v2, v12, v4
	ds_bpermute_b32 v3, v12, v5
	;; [unrolled: 1-line block ×4, first 2 shown]
	v_cmp_ne_u32_e64 s[0:1], 63, v15
	s_waitcnt lgkmcnt(2)
	v_add_f64 v[2:3], v[4:5], v[2:3]
	v_addc_co_u32_e64 v4, s[0:1], 0, v14, s[0:1]
	s_waitcnt lgkmcnt(0)
	v_add_f64 v[6:7], v[6:7], v[8:9]
	v_lshlrev_b32_e32 v14, 2, v4
	ds_bpermute_b32 v4, v14, v2
	ds_bpermute_b32 v5, v14, v3
	;; [unrolled: 1-line block ×4, first 2 shown]
	v_cmp_eq_u32_e64 s[0:1], 0, v13
	s_and_saveexec_b64 s[4:5], s[0:1]
	s_cbranch_execz .LBB257_8
; %bb.7:
	v_lshrrev_b32_e32 v13, 2, v0
	v_and_b32_e32 v13, 0xf0, v13
	s_waitcnt lgkmcnt(0)
	v_add_f64 v[6:7], v[6:7], v[8:9]
	v_add_f64 v[4:5], v[2:3], v[4:5]
	ds_write_b128 v13, v[4:7]
.LBB257_8:
	s_or_b64 exec, exec, s[4:5]
	s_waitcnt lgkmcnt(2)
	v_pk_mov_b32 v[4:5], 0, 0
	v_cmp_gt_u32_e64 s[0:1], 16, v0
	v_pk_mov_b32 v[2:3], v[4:5], v[4:5] op_sel:[0,1]
	s_waitcnt lgkmcnt(0)
	s_barrier
	s_and_saveexec_b64 s[4:5], s[0:1]
	s_cbranch_execnz .LBB257_12
; %bb.9:
	s_or_b64 exec, exec, s[4:5]
	s_and_saveexec_b64 s[0:1], vcc
	s_cbranch_execnz .LBB257_13
.LBB257_10:
	s_or_b64 exec, exec, s[0:1]
	v_cmp_eq_u32_e32 vcc, 0, v0
	s_and_saveexec_b64 s[0:1], vcc
	s_cbranch_execnz .LBB257_14
.LBB257_11:
	s_endpgm
.LBB257_12:
	ds_read_b128 v[2:5], v1
	s_or_b64 exec, exec, s[4:5]
	s_and_saveexec_b64 s[0:1], vcc
	s_cbranch_execz .LBB257_10
.LBB257_13:
	s_waitcnt lgkmcnt(0)
	ds_bpermute_b32 v6, v10, v2
	ds_bpermute_b32 v7, v10, v3
	ds_bpermute_b32 v8, v10, v4
	ds_bpermute_b32 v9, v10, v5
	s_waitcnt lgkmcnt(2)
	v_add_f64 v[2:3], v[2:3], v[6:7]
	ds_bpermute_b32 v6, v11, v2
	s_waitcnt lgkmcnt(1)
	v_add_f64 v[4:5], v[4:5], v[8:9]
	ds_bpermute_b32 v7, v11, v3
	ds_bpermute_b32 v8, v11, v4
	ds_bpermute_b32 v9, v11, v5
	s_waitcnt lgkmcnt(2)
	v_add_f64 v[2:3], v[2:3], v[6:7]
	ds_bpermute_b32 v6, v12, v2
	s_waitcnt lgkmcnt(1)
	v_add_f64 v[4:5], v[4:5], v[8:9]
	ds_bpermute_b32 v7, v12, v3
	ds_bpermute_b32 v8, v12, v4
	ds_bpermute_b32 v9, v12, v5
	;; [unrolled: 8-line block ×3, first 2 shown]
	s_waitcnt lgkmcnt(2)
	v_add_f64 v[2:3], v[2:3], v[6:7]
	s_waitcnt lgkmcnt(0)
	v_add_f64 v[4:5], v[4:5], v[8:9]
	s_or_b64 exec, exec, s[0:1]
	v_cmp_eq_u32_e32 vcc, 0, v0
	s_and_saveexec_b64 s[0:1], vcc
	s_cbranch_execz .LBB257_11
.LBB257_14:
	s_lshl_b64 s[0:1], s[2:3], 4
	s_add_u32 s0, s6, s0
	s_addc_u32 s1, s7, s1
	v_mov_b32_e32 v0, 0
	s_waitcnt lgkmcnt(0)
	global_store_dwordx4 v0, v[2:5], s[0:1]
	s_endpgm
	.section	.rodata,"a",@progbits
	.p2align	6, 0x0
	.amdhsa_kernel _ZL26rocblas_dot_kernel_inc1by2ILb1ELi1024ELi32ELb1E19rocblas_complex_numIdEPKPKS1_S1_EviT4_llS6_lliPT5_PT3_
		.amdhsa_group_segment_fixed_size 1024
		.amdhsa_private_segment_fixed_size 0
		.amdhsa_kernarg_size 80
		.amdhsa_user_sgpr_count 6
		.amdhsa_user_sgpr_private_segment_buffer 1
		.amdhsa_user_sgpr_dispatch_ptr 0
		.amdhsa_user_sgpr_queue_ptr 0
		.amdhsa_user_sgpr_kernarg_segment_ptr 1
		.amdhsa_user_sgpr_dispatch_id 0
		.amdhsa_user_sgpr_flat_scratch_init 0
		.amdhsa_user_sgpr_kernarg_preload_length 0
		.amdhsa_user_sgpr_kernarg_preload_offset 0
		.amdhsa_user_sgpr_private_segment_size 0
		.amdhsa_uses_dynamic_stack 0
		.amdhsa_system_sgpr_private_segment_wavefront_offset 0
		.amdhsa_system_sgpr_workgroup_id_x 1
		.amdhsa_system_sgpr_workgroup_id_y 0
		.amdhsa_system_sgpr_workgroup_id_z 1
		.amdhsa_system_sgpr_workgroup_info 0
		.amdhsa_system_vgpr_workitem_id 0
		.amdhsa_next_free_vgpr 20
		.amdhsa_next_free_sgpr 20
		.amdhsa_accum_offset 20
		.amdhsa_reserve_vcc 1
		.amdhsa_reserve_flat_scratch 0
		.amdhsa_float_round_mode_32 0
		.amdhsa_float_round_mode_16_64 0
		.amdhsa_float_denorm_mode_32 3
		.amdhsa_float_denorm_mode_16_64 3
		.amdhsa_dx10_clamp 1
		.amdhsa_ieee_mode 1
		.amdhsa_fp16_overflow 0
		.amdhsa_tg_split 0
		.amdhsa_exception_fp_ieee_invalid_op 0
		.amdhsa_exception_fp_denorm_src 0
		.amdhsa_exception_fp_ieee_div_zero 0
		.amdhsa_exception_fp_ieee_overflow 0
		.amdhsa_exception_fp_ieee_underflow 0
		.amdhsa_exception_fp_ieee_inexact 0
		.amdhsa_exception_int_div_zero 0
	.end_amdhsa_kernel
	.section	.text._ZL26rocblas_dot_kernel_inc1by2ILb1ELi1024ELi32ELb1E19rocblas_complex_numIdEPKPKS1_S1_EviT4_llS6_lliPT5_PT3_,"axG",@progbits,_ZL26rocblas_dot_kernel_inc1by2ILb1ELi1024ELi32ELb1E19rocblas_complex_numIdEPKPKS1_S1_EviT4_llS6_lliPT5_PT3_,comdat
.Lfunc_end257:
	.size	_ZL26rocblas_dot_kernel_inc1by2ILb1ELi1024ELi32ELb1E19rocblas_complex_numIdEPKPKS1_S1_EviT4_llS6_lliPT5_PT3_, .Lfunc_end257-_ZL26rocblas_dot_kernel_inc1by2ILb1ELi1024ELi32ELb1E19rocblas_complex_numIdEPKPKS1_S1_EviT4_llS6_lliPT5_PT3_
                                        ; -- End function
	.section	.AMDGPU.csdata,"",@progbits
; Kernel info:
; codeLenInByte = 1332
; NumSgprs: 24
; NumVgprs: 20
; NumAgprs: 0
; TotalNumVgprs: 20
; ScratchSize: 0
; MemoryBound: 0
; FloatMode: 240
; IeeeMode: 1
; LDSByteSize: 1024 bytes/workgroup (compile time only)
; SGPRBlocks: 2
; VGPRBlocks: 2
; NumSGPRsForWavesPerEU: 24
; NumVGPRsForWavesPerEU: 20
; AccumOffset: 20
; Occupancy: 8
; WaveLimiterHint : 0
; COMPUTE_PGM_RSRC2:SCRATCH_EN: 0
; COMPUTE_PGM_RSRC2:USER_SGPR: 6
; COMPUTE_PGM_RSRC2:TRAP_HANDLER: 0
; COMPUTE_PGM_RSRC2:TGID_X_EN: 1
; COMPUTE_PGM_RSRC2:TGID_Y_EN: 0
; COMPUTE_PGM_RSRC2:TGID_Z_EN: 1
; COMPUTE_PGM_RSRC2:TIDIG_COMP_CNT: 0
; COMPUTE_PGM_RSRC3_GFX90A:ACCUM_OFFSET: 4
; COMPUTE_PGM_RSRC3_GFX90A:TG_SPLIT: 0
	.section	.text._ZL18rocblas_dot_kernelIiLb1ELi1024ELi32ELb1E19rocblas_complex_numIdEPKPKS1_S1_EviT5_lT_lS6_lS7_liPT6_PT4_,"axG",@progbits,_ZL18rocblas_dot_kernelIiLb1ELi1024ELi32ELb1E19rocblas_complex_numIdEPKPKS1_S1_EviT5_lT_lS6_lS7_liPT6_PT4_,comdat
	.globl	_ZL18rocblas_dot_kernelIiLb1ELi1024ELi32ELb1E19rocblas_complex_numIdEPKPKS1_S1_EviT5_lT_lS6_lS7_liPT6_PT4_ ; -- Begin function _ZL18rocblas_dot_kernelIiLb1ELi1024ELi32ELb1E19rocblas_complex_numIdEPKPKS1_S1_EviT5_lT_lS6_lS7_liPT6_PT4_
	.p2align	8
	.type	_ZL18rocblas_dot_kernelIiLb1ELi1024ELi32ELb1E19rocblas_complex_numIdEPKPKS1_S1_EviT5_lT_lS6_lS7_liPT6_PT4_,@function
_ZL18rocblas_dot_kernelIiLb1ELi1024ELi32ELb1E19rocblas_complex_numIdEPKPKS1_S1_EviT5_lT_lS6_lS7_liPT6_PT4_: ; @_ZL18rocblas_dot_kernelIiLb1ELi1024ELi32ELb1E19rocblas_complex_numIdEPKPKS1_S1_EviT5_lT_lS6_lS7_liPT6_PT4_
; %bb.0:
	s_mov_b32 s2, s7
	s_load_dword s14, s[4:5], 0x0
	s_load_dwordx2 s[6:7], s[4:5], 0x58
	v_pk_mov_b32 v[2:3], 0, 0
	s_mov_b32 s3, 0
	v_pk_mov_b32 v[4:5], v[2:3], v[2:3] op_sel:[0,1]
	s_waitcnt lgkmcnt(0)
	v_cmp_gt_i32_e32 vcc, s14, v0
	s_and_saveexec_b64 s[8:9], vcc
	s_cbranch_execz .LBB258_4
; %bb.1:
	s_load_dwordx4 s[16:19], s[4:5], 0x8
	s_load_dword s24, s[4:5], 0x18
	s_lshl_b64 s[0:1], s[2:3], 3
	s_load_dwordx4 s[20:23], s[4:5], 0x28
	s_waitcnt lgkmcnt(0)
	s_add_u32 s10, s16, s0
	s_addc_u32 s11, s17, s1
	s_load_dword s16, s[4:5], 0x38
	s_load_dword s15, s[4:5], 0x60
	s_load_dwordx2 s[12:13], s[10:11], 0x0
	s_add_u32 s0, s20, s0
	v_mad_i64_i32 v[2:3], s[4:5], s24, v0, 0
	s_addc_u32 s1, s21, s1
	s_waitcnt lgkmcnt(0)
	s_lshl_b32 s15, s15, 10
	s_lshl_b64 s[4:5], s[18:19], 4
	s_add_u32 s4, s12, s4
	v_lshlrev_b64 v[2:3], 4, v[2:3]
	s_addc_u32 s5, s13, s5
	s_load_dwordx2 s[0:1], s[0:1], 0x0
	v_mov_b32_e32 v4, s5
	v_add_co_u32_e32 v2, vcc, s4, v2
	v_addc_co_u32_e32 v3, vcc, v4, v3, vcc
	v_add_co_u32_e32 v6, vcc, 8, v2
	v_addc_co_u32_e32 v7, vcc, 0, v3, vcc
	s_mul_hi_i32 s5, s24, s15
	s_mul_i32 s4, s24, s15
	v_mad_i64_i32 v[2:3], s[10:11], s16, v0, 0
	s_lshl_b64 s[4:5], s[4:5], 4
	s_lshl_b64 s[10:11], s[22:23], 4
	s_waitcnt lgkmcnt(0)
	s_add_u32 s0, s0, s10
	v_lshlrev_b64 v[2:3], 4, v[2:3]
	s_addc_u32 s1, s1, s11
	v_mov_b32_e32 v4, s1
	v_add_co_u32_e32 v2, vcc, s0, v2
	v_addc_co_u32_e32 v3, vcc, v4, v3, vcc
	v_add_co_u32_e32 v8, vcc, 8, v2
	s_mul_hi_i32 s1, s16, s15
	s_mul_i32 s0, s16, s15
	v_addc_co_u32_e32 v9, vcc, 0, v3, vcc
	s_lshl_b64 s[12:13], s[0:1], 4
	v_pk_mov_b32 v[2:3], 0, 0
	v_or_b32_e32 v1, s15, v0
	s_mov_b64 s[10:11], 0
	v_mov_b32_e32 v10, s5
	v_mov_b32_e32 v11, s13
	s_mov_b32 s5, s3
	v_pk_mov_b32 v[4:5], v[2:3], v[2:3] op_sel:[0,1]
.LBB258_2:                              ; =>This Inner Loop Header: Depth=1
	global_load_dwordx4 v[12:15], v[8:9], off offset:-8
	global_load_dwordx4 v[16:19], v[6:7], off offset:-8
	v_add_co_u32_e64 v6, s[0:1], s4, v6
	v_addc_co_u32_e64 v7, s[0:1], v7, v10, s[0:1]
	s_add_i32 s13, s5, 1
	v_add_co_u32_e64 v8, s[0:1], s12, v8
	v_addc_co_u32_e64 v9, s[0:1], v9, v11, s[0:1]
	s_cmp_gt_u32 s5, 30
	v_cmp_le_i32_e32 vcc, s14, v1
	s_cselect_b64 s[0:1], -1, 0
	s_or_b64 s[0:1], s[0:1], vcc
	s_and_b64 s[0:1], exec, s[0:1]
	v_add_u32_e32 v1, s15, v1
	s_mov_b32 s5, s13
	s_or_b64 s[10:11], s[0:1], s[10:11]
	s_waitcnt vmcnt(0)
	v_mul_f64 v[20:21], v[14:15], v[18:19]
	v_mul_f64 v[18:19], v[12:13], v[18:19]
	v_fmac_f64_e32 v[20:21], v[12:13], v[16:17]
	v_fma_f64 v[12:13], v[14:15], v[16:17], -v[18:19]
	v_add_f64 v[4:5], v[4:5], v[20:21]
	v_add_f64 v[2:3], v[2:3], v[12:13]
	s_andn2_b64 exec, exec, s[10:11]
	s_cbranch_execnz .LBB258_2
; %bb.3:
	s_or_b64 exec, exec, s[10:11]
.LBB258_4:
	s_or_b64 exec, exec, s[8:9]
	v_and_b32_e32 v13, 63, v0
	v_cmp_gt_u32_e32 vcc, 64, v0
	v_lshlrev_b32_e32 v1, 4, v13
	s_and_saveexec_b64 s[0:1], vcc
	s_cbranch_execz .LBB258_6
; %bb.5:
	v_mov_b32_e32 v6, 0
	v_mov_b32_e32 v7, v6
	;; [unrolled: 1-line block ×4, first 2 shown]
	ds_write_b128 v1, v[6:9]
.LBB258_6:
	s_or_b64 exec, exec, s[0:1]
	v_mbcnt_lo_u32_b32 v6, -1, 0
	v_mbcnt_hi_u32_b32 v14, -1, v6
	v_and_b32_e32 v15, 63, v14
	v_cmp_gt_u32_e64 s[0:1], 32, v15
	v_cndmask_b32_e64 v6, 0, 1, s[0:1]
	v_lshlrev_b32_e32 v6, 5, v6
	v_add_lshl_u32 v9, v6, v14, 2
	ds_bpermute_b32 v6, v9, v4
	ds_bpermute_b32 v7, v9, v5
	;; [unrolled: 1-line block ×4, first 2 shown]
	v_cmp_gt_u32_e64 s[0:1], 48, v15
	s_waitcnt lgkmcnt(0)
	v_add_f64 v[4:5], v[4:5], v[6:7]
	v_cndmask_b32_e64 v6, 0, 1, s[0:1]
	v_lshlrev_b32_e32 v6, 4, v6
	v_add_f64 v[2:3], v[2:3], v[8:9]
	v_add_lshl_u32 v9, v6, v14, 2
	ds_bpermute_b32 v6, v9, v4
	ds_bpermute_b32 v7, v9, v5
	;; [unrolled: 1-line block ×4, first 2 shown]
	v_cmp_gt_u32_e64 s[0:1], 56, v15
	s_barrier
	s_waitcnt lgkmcnt(2)
	v_add_f64 v[4:5], v[4:5], v[6:7]
	v_cndmask_b32_e64 v6, 0, 1, s[0:1]
	v_lshlrev_b32_e32 v6, 3, v6
	v_add_lshl_u32 v10, v6, v14, 2
	ds_bpermute_b32 v6, v10, v4
	ds_bpermute_b32 v7, v10, v5
	s_waitcnt lgkmcnt(2)
	v_add_f64 v[2:3], v[2:3], v[8:9]
	ds_bpermute_b32 v8, v10, v2
	ds_bpermute_b32 v9, v10, v3
	v_cmp_gt_u32_e64 s[0:1], 60, v15
	s_waitcnt lgkmcnt(2)
	v_add_f64 v[4:5], v[4:5], v[6:7]
	v_cndmask_b32_e64 v6, 0, 1, s[0:1]
	v_lshlrev_b32_e32 v6, 2, v6
	s_waitcnt lgkmcnt(0)
	v_add_f64 v[2:3], v[2:3], v[8:9]
	v_add_lshl_u32 v11, v6, v14, 2
	ds_bpermute_b32 v6, v11, v4
	ds_bpermute_b32 v7, v11, v5
	;; [unrolled: 1-line block ×4, first 2 shown]
	v_cmp_gt_u32_e64 s[0:1], 62, v15
	s_waitcnt lgkmcnt(0)
	v_add_f64 v[4:5], v[4:5], v[6:7]
	v_add_f64 v[6:7], v[2:3], v[8:9]
	v_cndmask_b32_e64 v2, 0, 1, s[0:1]
	v_lshlrev_b32_e32 v2, 1, v2
	v_add_lshl_u32 v12, v2, v14, 2
	ds_bpermute_b32 v2, v12, v4
	ds_bpermute_b32 v3, v12, v5
	;; [unrolled: 1-line block ×4, first 2 shown]
	v_cmp_ne_u32_e64 s[0:1], 63, v15
	s_waitcnt lgkmcnt(2)
	v_add_f64 v[2:3], v[4:5], v[2:3]
	v_addc_co_u32_e64 v4, s[0:1], 0, v14, s[0:1]
	s_waitcnt lgkmcnt(0)
	v_add_f64 v[6:7], v[6:7], v[8:9]
	v_lshlrev_b32_e32 v14, 2, v4
	ds_bpermute_b32 v4, v14, v2
	ds_bpermute_b32 v5, v14, v3
	;; [unrolled: 1-line block ×4, first 2 shown]
	v_cmp_eq_u32_e64 s[0:1], 0, v13
	s_and_saveexec_b64 s[4:5], s[0:1]
	s_cbranch_execz .LBB258_8
; %bb.7:
	v_lshrrev_b32_e32 v13, 2, v0
	v_and_b32_e32 v13, 0xf0, v13
	s_waitcnt lgkmcnt(0)
	v_add_f64 v[6:7], v[6:7], v[8:9]
	v_add_f64 v[4:5], v[2:3], v[4:5]
	ds_write_b128 v13, v[4:7]
.LBB258_8:
	s_or_b64 exec, exec, s[4:5]
	s_waitcnt lgkmcnt(2)
	v_pk_mov_b32 v[4:5], 0, 0
	v_cmp_gt_u32_e64 s[0:1], 16, v0
	v_pk_mov_b32 v[2:3], v[4:5], v[4:5] op_sel:[0,1]
	s_waitcnt lgkmcnt(0)
	s_barrier
	s_and_saveexec_b64 s[4:5], s[0:1]
	s_cbranch_execnz .LBB258_12
; %bb.9:
	s_or_b64 exec, exec, s[4:5]
	s_and_saveexec_b64 s[0:1], vcc
	s_cbranch_execnz .LBB258_13
.LBB258_10:
	s_or_b64 exec, exec, s[0:1]
	v_cmp_eq_u32_e32 vcc, 0, v0
	s_and_saveexec_b64 s[0:1], vcc
	s_cbranch_execnz .LBB258_14
.LBB258_11:
	s_endpgm
.LBB258_12:
	ds_read_b128 v[2:5], v1
	s_or_b64 exec, exec, s[4:5]
	s_and_saveexec_b64 s[0:1], vcc
	s_cbranch_execz .LBB258_10
.LBB258_13:
	s_waitcnt lgkmcnt(0)
	ds_bpermute_b32 v6, v10, v2
	ds_bpermute_b32 v7, v10, v3
	;; [unrolled: 1-line block ×4, first 2 shown]
	s_waitcnt lgkmcnt(2)
	v_add_f64 v[2:3], v[2:3], v[6:7]
	ds_bpermute_b32 v6, v11, v2
	s_waitcnt lgkmcnt(1)
	v_add_f64 v[4:5], v[4:5], v[8:9]
	ds_bpermute_b32 v7, v11, v3
	ds_bpermute_b32 v8, v11, v4
	ds_bpermute_b32 v9, v11, v5
	s_waitcnt lgkmcnt(2)
	v_add_f64 v[2:3], v[2:3], v[6:7]
	ds_bpermute_b32 v6, v12, v2
	s_waitcnt lgkmcnt(1)
	v_add_f64 v[4:5], v[4:5], v[8:9]
	ds_bpermute_b32 v7, v12, v3
	ds_bpermute_b32 v8, v12, v4
	ds_bpermute_b32 v9, v12, v5
	;; [unrolled: 8-line block ×3, first 2 shown]
	s_waitcnt lgkmcnt(2)
	v_add_f64 v[2:3], v[2:3], v[6:7]
	s_waitcnt lgkmcnt(0)
	v_add_f64 v[4:5], v[4:5], v[8:9]
	s_or_b64 exec, exec, s[0:1]
	v_cmp_eq_u32_e32 vcc, 0, v0
	s_and_saveexec_b64 s[0:1], vcc
	s_cbranch_execz .LBB258_11
.LBB258_14:
	s_lshl_b64 s[0:1], s[2:3], 4
	s_add_u32 s0, s6, s0
	s_addc_u32 s1, s7, s1
	v_mov_b32_e32 v0, 0
	s_waitcnt lgkmcnt(0)
	global_store_dwordx4 v0, v[2:5], s[0:1]
	s_endpgm
	.section	.rodata,"a",@progbits
	.p2align	6, 0x0
	.amdhsa_kernel _ZL18rocblas_dot_kernelIiLb1ELi1024ELi32ELb1E19rocblas_complex_numIdEPKPKS1_S1_EviT5_lT_lS6_lS7_liPT6_PT4_
		.amdhsa_group_segment_fixed_size 1024
		.amdhsa_private_segment_fixed_size 0
		.amdhsa_kernarg_size 352
		.amdhsa_user_sgpr_count 6
		.amdhsa_user_sgpr_private_segment_buffer 1
		.amdhsa_user_sgpr_dispatch_ptr 0
		.amdhsa_user_sgpr_queue_ptr 0
		.amdhsa_user_sgpr_kernarg_segment_ptr 1
		.amdhsa_user_sgpr_dispatch_id 0
		.amdhsa_user_sgpr_flat_scratch_init 0
		.amdhsa_user_sgpr_kernarg_preload_length 0
		.amdhsa_user_sgpr_kernarg_preload_offset 0
		.amdhsa_user_sgpr_private_segment_size 0
		.amdhsa_uses_dynamic_stack 0
		.amdhsa_system_sgpr_private_segment_wavefront_offset 0
		.amdhsa_system_sgpr_workgroup_id_x 1
		.amdhsa_system_sgpr_workgroup_id_y 0
		.amdhsa_system_sgpr_workgroup_id_z 1
		.amdhsa_system_sgpr_workgroup_info 0
		.amdhsa_system_vgpr_workitem_id 0
		.amdhsa_next_free_vgpr 22
		.amdhsa_next_free_sgpr 25
		.amdhsa_accum_offset 24
		.amdhsa_reserve_vcc 1
		.amdhsa_reserve_flat_scratch 0
		.amdhsa_float_round_mode_32 0
		.amdhsa_float_round_mode_16_64 0
		.amdhsa_float_denorm_mode_32 3
		.amdhsa_float_denorm_mode_16_64 3
		.amdhsa_dx10_clamp 1
		.amdhsa_ieee_mode 1
		.amdhsa_fp16_overflow 0
		.amdhsa_tg_split 0
		.amdhsa_exception_fp_ieee_invalid_op 0
		.amdhsa_exception_fp_denorm_src 0
		.amdhsa_exception_fp_ieee_div_zero 0
		.amdhsa_exception_fp_ieee_overflow 0
		.amdhsa_exception_fp_ieee_underflow 0
		.amdhsa_exception_fp_ieee_inexact 0
		.amdhsa_exception_int_div_zero 0
	.end_amdhsa_kernel
	.section	.text._ZL18rocblas_dot_kernelIiLb1ELi1024ELi32ELb1E19rocblas_complex_numIdEPKPKS1_S1_EviT5_lT_lS6_lS7_liPT6_PT4_,"axG",@progbits,_ZL18rocblas_dot_kernelIiLb1ELi1024ELi32ELb1E19rocblas_complex_numIdEPKPKS1_S1_EviT5_lT_lS6_lS7_liPT6_PT4_,comdat
.Lfunc_end258:
	.size	_ZL18rocblas_dot_kernelIiLb1ELi1024ELi32ELb1E19rocblas_complex_numIdEPKPKS1_S1_EviT5_lT_lS6_lS7_liPT6_PT4_, .Lfunc_end258-_ZL18rocblas_dot_kernelIiLb1ELi1024ELi32ELb1E19rocblas_complex_numIdEPKPKS1_S1_EviT5_lT_lS6_lS7_liPT6_PT4_
                                        ; -- End function
	.section	.AMDGPU.csdata,"",@progbits
; Kernel info:
; codeLenInByte = 1420
; NumSgprs: 29
; NumVgprs: 22
; NumAgprs: 0
; TotalNumVgprs: 22
; ScratchSize: 0
; MemoryBound: 0
; FloatMode: 240
; IeeeMode: 1
; LDSByteSize: 1024 bytes/workgroup (compile time only)
; SGPRBlocks: 3
; VGPRBlocks: 2
; NumSGPRsForWavesPerEU: 29
; NumVGPRsForWavesPerEU: 22
; AccumOffset: 24
; Occupancy: 8
; WaveLimiterHint : 0
; COMPUTE_PGM_RSRC2:SCRATCH_EN: 0
; COMPUTE_PGM_RSRC2:USER_SGPR: 6
; COMPUTE_PGM_RSRC2:TRAP_HANDLER: 0
; COMPUTE_PGM_RSRC2:TGID_X_EN: 1
; COMPUTE_PGM_RSRC2:TGID_Y_EN: 0
; COMPUTE_PGM_RSRC2:TGID_Z_EN: 1
; COMPUTE_PGM_RSRC2:TIDIG_COMP_CNT: 0
; COMPUTE_PGM_RSRC3_GFX90A:ACCUM_OFFSET: 5
; COMPUTE_PGM_RSRC3_GFX90A:TG_SPLIT: 0
	.section	.text._ZL24rocblas_dot_kernel_magsqIiLb1ELi1024ELi32ELb1E19rocblas_complex_numIdEPKPKS1_S1_EviT5_lT_liPT6_PT4_,"axG",@progbits,_ZL24rocblas_dot_kernel_magsqIiLb1ELi1024ELi32ELb1E19rocblas_complex_numIdEPKPKS1_S1_EviT5_lT_liPT6_PT4_,comdat
	.globl	_ZL24rocblas_dot_kernel_magsqIiLb1ELi1024ELi32ELb1E19rocblas_complex_numIdEPKPKS1_S1_EviT5_lT_liPT6_PT4_ ; -- Begin function _ZL24rocblas_dot_kernel_magsqIiLb1ELi1024ELi32ELb1E19rocblas_complex_numIdEPKPKS1_S1_EviT5_lT_liPT6_PT4_
	.p2align	8
	.type	_ZL24rocblas_dot_kernel_magsqIiLb1ELi1024ELi32ELb1E19rocblas_complex_numIdEPKPKS1_S1_EviT5_lT_liPT6_PT4_,@function
_ZL24rocblas_dot_kernel_magsqIiLb1ELi1024ELi32ELb1E19rocblas_complex_numIdEPKPKS1_S1_EviT5_lT_liPT6_PT4_: ; @_ZL24rocblas_dot_kernel_magsqIiLb1ELi1024ELi32ELb1E19rocblas_complex_numIdEPKPKS1_S1_EviT5_lT_liPT6_PT4_
; %bb.0:
	s_mov_b32 s2, s7
	s_load_dword s12, s[4:5], 0x0
	s_load_dwordx2 s[6:7], s[4:5], 0x38
	v_pk_mov_b32 v[2:3], 0, 0
	s_mov_b32 s3, 0
	v_pk_mov_b32 v[4:5], v[2:3], v[2:3] op_sel:[0,1]
	s_waitcnt lgkmcnt(0)
	v_cmp_gt_i32_e32 vcc, s12, v0
	s_and_saveexec_b64 s[8:9], vcc
	s_cbranch_execz .LBB259_4
; %bb.1:
	s_load_dwordx4 s[16:19], s[4:5], 0x8
	s_load_dword s10, s[4:5], 0x40
	s_load_dword s11, s[4:5], 0x18
	s_lshl_b64 s[0:1], s[2:3], 3
	s_waitcnt lgkmcnt(0)
	s_add_u32 s0, s16, s0
	s_addc_u32 s1, s17, s1
	s_load_dwordx2 s[0:1], s[0:1], 0x0
	v_mad_i64_i32 v[2:3], s[4:5], s11, v0, 0
	s_lshl_b32 s13, s10, 10
	s_lshl_b64 s[4:5], s[18:19], 4
	s_waitcnt lgkmcnt(0)
	s_add_u32 s0, s0, s4
	v_lshlrev_b64 v[2:3], 4, v[2:3]
	s_addc_u32 s1, s1, s5
	v_mov_b32_e32 v4, s1
	v_add_co_u32_e32 v6, vcc, s0, v2
	s_mul_hi_i32 s1, s11, s13
	s_mul_i32 s0, s11, s13
	v_addc_co_u32_e32 v7, vcc, v4, v3, vcc
	s_lshl_b64 s[10:11], s[0:1], 4
	v_pk_mov_b32 v[2:3], 0, 0
	v_or_b32_e32 v1, s13, v0
	s_mov_b64 s[4:5], 0
	v_mov_b32_e32 v8, s11
	s_mov_b32 s11, s3
	v_pk_mov_b32 v[4:5], v[2:3], v[2:3] op_sel:[0,1]
.LBB259_2:                              ; =>This Inner Loop Header: Depth=1
	global_load_dwordx4 v[10:13], v[6:7], off
	s_add_i32 s14, s11, 1
	v_add_co_u32_e64 v6, s[0:1], s10, v6
	v_addc_co_u32_e64 v7, s[0:1], v7, v8, s[0:1]
	s_cmp_gt_u32 s11, 30
	v_cmp_le_i32_e32 vcc, s12, v1
	s_cselect_b64 s[0:1], -1, 0
	s_or_b64 s[0:1], s[0:1], vcc
	s_and_b64 s[0:1], exec, s[0:1]
	v_add_u32_e32 v1, s13, v1
	s_mov_b32 s11, s14
	s_or_b64 s[4:5], s[0:1], s[4:5]
	s_waitcnt vmcnt(0)
	v_mul_f64 v[14:15], v[12:13], v[12:13]
	v_mul_f64 v[16:17], v[10:11], v[12:13]
	v_fmac_f64_e32 v[14:15], v[10:11], v[10:11]
	v_fma_f64 v[10:11], v[10:11], v[12:13], -v[16:17]
	v_add_f64 v[4:5], v[4:5], v[14:15]
	v_add_f64 v[2:3], v[2:3], v[10:11]
	s_andn2_b64 exec, exec, s[4:5]
	s_cbranch_execnz .LBB259_2
; %bb.3:
	s_or_b64 exec, exec, s[4:5]
.LBB259_4:
	s_or_b64 exec, exec, s[8:9]
	v_and_b32_e32 v13, 63, v0
	v_cmp_gt_u32_e32 vcc, 64, v0
	v_lshlrev_b32_e32 v1, 4, v13
	s_and_saveexec_b64 s[0:1], vcc
	s_cbranch_execz .LBB259_6
; %bb.5:
	v_mov_b32_e32 v6, 0
	v_mov_b32_e32 v7, v6
	;; [unrolled: 1-line block ×4, first 2 shown]
	ds_write_b128 v1, v[6:9]
.LBB259_6:
	s_or_b64 exec, exec, s[0:1]
	v_mbcnt_lo_u32_b32 v6, -1, 0
	v_mbcnt_hi_u32_b32 v14, -1, v6
	v_and_b32_e32 v15, 63, v14
	v_cmp_gt_u32_e64 s[0:1], 32, v15
	v_cndmask_b32_e64 v6, 0, 1, s[0:1]
	v_lshlrev_b32_e32 v6, 5, v6
	v_add_lshl_u32 v9, v6, v14, 2
	ds_bpermute_b32 v6, v9, v4
	ds_bpermute_b32 v7, v9, v5
	;; [unrolled: 1-line block ×4, first 2 shown]
	v_cmp_gt_u32_e64 s[0:1], 48, v15
	s_waitcnt lgkmcnt(0)
	v_add_f64 v[4:5], v[4:5], v[6:7]
	v_cndmask_b32_e64 v6, 0, 1, s[0:1]
	v_lshlrev_b32_e32 v6, 4, v6
	v_add_f64 v[2:3], v[2:3], v[8:9]
	v_add_lshl_u32 v9, v6, v14, 2
	ds_bpermute_b32 v6, v9, v4
	ds_bpermute_b32 v7, v9, v5
	;; [unrolled: 1-line block ×4, first 2 shown]
	v_cmp_gt_u32_e64 s[0:1], 56, v15
	s_barrier
	s_waitcnt lgkmcnt(2)
	v_add_f64 v[4:5], v[4:5], v[6:7]
	v_cndmask_b32_e64 v6, 0, 1, s[0:1]
	v_lshlrev_b32_e32 v6, 3, v6
	v_add_lshl_u32 v10, v6, v14, 2
	ds_bpermute_b32 v6, v10, v4
	ds_bpermute_b32 v7, v10, v5
	s_waitcnt lgkmcnt(2)
	v_add_f64 v[2:3], v[2:3], v[8:9]
	ds_bpermute_b32 v8, v10, v2
	ds_bpermute_b32 v9, v10, v3
	v_cmp_gt_u32_e64 s[0:1], 60, v15
	s_waitcnt lgkmcnt(2)
	v_add_f64 v[4:5], v[4:5], v[6:7]
	v_cndmask_b32_e64 v6, 0, 1, s[0:1]
	v_lshlrev_b32_e32 v6, 2, v6
	s_waitcnt lgkmcnt(0)
	v_add_f64 v[2:3], v[2:3], v[8:9]
	v_add_lshl_u32 v11, v6, v14, 2
	ds_bpermute_b32 v6, v11, v4
	ds_bpermute_b32 v7, v11, v5
	;; [unrolled: 1-line block ×4, first 2 shown]
	v_cmp_gt_u32_e64 s[0:1], 62, v15
	s_waitcnt lgkmcnt(0)
	v_add_f64 v[4:5], v[4:5], v[6:7]
	v_add_f64 v[6:7], v[2:3], v[8:9]
	v_cndmask_b32_e64 v2, 0, 1, s[0:1]
	v_lshlrev_b32_e32 v2, 1, v2
	v_add_lshl_u32 v12, v2, v14, 2
	ds_bpermute_b32 v2, v12, v4
	ds_bpermute_b32 v3, v12, v5
	;; [unrolled: 1-line block ×4, first 2 shown]
	v_cmp_ne_u32_e64 s[0:1], 63, v15
	s_waitcnt lgkmcnt(2)
	v_add_f64 v[2:3], v[4:5], v[2:3]
	v_addc_co_u32_e64 v4, s[0:1], 0, v14, s[0:1]
	s_waitcnt lgkmcnt(0)
	v_add_f64 v[6:7], v[6:7], v[8:9]
	v_lshlrev_b32_e32 v14, 2, v4
	ds_bpermute_b32 v4, v14, v2
	ds_bpermute_b32 v5, v14, v3
	;; [unrolled: 1-line block ×4, first 2 shown]
	v_cmp_eq_u32_e64 s[0:1], 0, v13
	s_and_saveexec_b64 s[4:5], s[0:1]
	s_cbranch_execz .LBB259_8
; %bb.7:
	v_lshrrev_b32_e32 v13, 2, v0
	v_and_b32_e32 v13, 0xf0, v13
	s_waitcnt lgkmcnt(0)
	v_add_f64 v[6:7], v[6:7], v[8:9]
	v_add_f64 v[4:5], v[2:3], v[4:5]
	ds_write_b128 v13, v[4:7]
.LBB259_8:
	s_or_b64 exec, exec, s[4:5]
	s_waitcnt lgkmcnt(2)
	v_pk_mov_b32 v[4:5], 0, 0
	v_cmp_gt_u32_e64 s[0:1], 16, v0
	v_pk_mov_b32 v[2:3], v[4:5], v[4:5] op_sel:[0,1]
	s_waitcnt lgkmcnt(0)
	s_barrier
	s_and_saveexec_b64 s[4:5], s[0:1]
	s_cbranch_execnz .LBB259_12
; %bb.9:
	s_or_b64 exec, exec, s[4:5]
	s_and_saveexec_b64 s[0:1], vcc
	s_cbranch_execnz .LBB259_13
.LBB259_10:
	s_or_b64 exec, exec, s[0:1]
	v_cmp_eq_u32_e32 vcc, 0, v0
	s_and_saveexec_b64 s[0:1], vcc
	s_cbranch_execnz .LBB259_14
.LBB259_11:
	s_endpgm
.LBB259_12:
	ds_read_b128 v[2:5], v1
	s_or_b64 exec, exec, s[4:5]
	s_and_saveexec_b64 s[0:1], vcc
	s_cbranch_execz .LBB259_10
.LBB259_13:
	s_waitcnt lgkmcnt(0)
	ds_bpermute_b32 v6, v10, v2
	ds_bpermute_b32 v7, v10, v3
	;; [unrolled: 1-line block ×4, first 2 shown]
	s_waitcnt lgkmcnt(2)
	v_add_f64 v[2:3], v[2:3], v[6:7]
	ds_bpermute_b32 v6, v11, v2
	s_waitcnt lgkmcnt(1)
	v_add_f64 v[4:5], v[4:5], v[8:9]
	ds_bpermute_b32 v7, v11, v3
	ds_bpermute_b32 v8, v11, v4
	ds_bpermute_b32 v9, v11, v5
	s_waitcnt lgkmcnt(2)
	v_add_f64 v[2:3], v[2:3], v[6:7]
	ds_bpermute_b32 v6, v12, v2
	s_waitcnt lgkmcnt(1)
	v_add_f64 v[4:5], v[4:5], v[8:9]
	ds_bpermute_b32 v7, v12, v3
	ds_bpermute_b32 v8, v12, v4
	ds_bpermute_b32 v9, v12, v5
	;; [unrolled: 8-line block ×3, first 2 shown]
	s_waitcnt lgkmcnt(2)
	v_add_f64 v[2:3], v[2:3], v[6:7]
	s_waitcnt lgkmcnt(0)
	v_add_f64 v[4:5], v[4:5], v[8:9]
	s_or_b64 exec, exec, s[0:1]
	v_cmp_eq_u32_e32 vcc, 0, v0
	s_and_saveexec_b64 s[0:1], vcc
	s_cbranch_execz .LBB259_11
.LBB259_14:
	s_lshl_b64 s[0:1], s[2:3], 4
	s_add_u32 s0, s6, s0
	s_addc_u32 s1, s7, s1
	v_mov_b32_e32 v0, 0
	s_waitcnt lgkmcnt(0)
	global_store_dwordx4 v0, v[2:5], s[0:1]
	s_endpgm
	.section	.rodata,"a",@progbits
	.p2align	6, 0x0
	.amdhsa_kernel _ZL24rocblas_dot_kernel_magsqIiLb1ELi1024ELi32ELb1E19rocblas_complex_numIdEPKPKS1_S1_EviT5_lT_liPT6_PT4_
		.amdhsa_group_segment_fixed_size 1024
		.amdhsa_private_segment_fixed_size 0
		.amdhsa_kernarg_size 320
		.amdhsa_user_sgpr_count 6
		.amdhsa_user_sgpr_private_segment_buffer 1
		.amdhsa_user_sgpr_dispatch_ptr 0
		.amdhsa_user_sgpr_queue_ptr 0
		.amdhsa_user_sgpr_kernarg_segment_ptr 1
		.amdhsa_user_sgpr_dispatch_id 0
		.amdhsa_user_sgpr_flat_scratch_init 0
		.amdhsa_user_sgpr_kernarg_preload_length 0
		.amdhsa_user_sgpr_kernarg_preload_offset 0
		.amdhsa_user_sgpr_private_segment_size 0
		.amdhsa_uses_dynamic_stack 0
		.amdhsa_system_sgpr_private_segment_wavefront_offset 0
		.amdhsa_system_sgpr_workgroup_id_x 1
		.amdhsa_system_sgpr_workgroup_id_y 0
		.amdhsa_system_sgpr_workgroup_id_z 1
		.amdhsa_system_sgpr_workgroup_info 0
		.amdhsa_system_vgpr_workitem_id 0
		.amdhsa_next_free_vgpr 18
		.amdhsa_next_free_sgpr 20
		.amdhsa_accum_offset 20
		.amdhsa_reserve_vcc 1
		.amdhsa_reserve_flat_scratch 0
		.amdhsa_float_round_mode_32 0
		.amdhsa_float_round_mode_16_64 0
		.amdhsa_float_denorm_mode_32 3
		.amdhsa_float_denorm_mode_16_64 3
		.amdhsa_dx10_clamp 1
		.amdhsa_ieee_mode 1
		.amdhsa_fp16_overflow 0
		.amdhsa_tg_split 0
		.amdhsa_exception_fp_ieee_invalid_op 0
		.amdhsa_exception_fp_denorm_src 0
		.amdhsa_exception_fp_ieee_div_zero 0
		.amdhsa_exception_fp_ieee_overflow 0
		.amdhsa_exception_fp_ieee_underflow 0
		.amdhsa_exception_fp_ieee_inexact 0
		.amdhsa_exception_int_div_zero 0
	.end_amdhsa_kernel
	.section	.text._ZL24rocblas_dot_kernel_magsqIiLb1ELi1024ELi32ELb1E19rocblas_complex_numIdEPKPKS1_S1_EviT5_lT_liPT6_PT4_,"axG",@progbits,_ZL24rocblas_dot_kernel_magsqIiLb1ELi1024ELi32ELb1E19rocblas_complex_numIdEPKPKS1_S1_EviT5_lT_liPT6_PT4_,comdat
.Lfunc_end259:
	.size	_ZL24rocblas_dot_kernel_magsqIiLb1ELi1024ELi32ELb1E19rocblas_complex_numIdEPKPKS1_S1_EviT5_lT_liPT6_PT4_, .Lfunc_end259-_ZL24rocblas_dot_kernel_magsqIiLb1ELi1024ELi32ELb1E19rocblas_complex_numIdEPKPKS1_S1_EviT5_lT_liPT6_PT4_
                                        ; -- End function
	.section	.AMDGPU.csdata,"",@progbits
; Kernel info:
; codeLenInByte = 1288
; NumSgprs: 24
; NumVgprs: 18
; NumAgprs: 0
; TotalNumVgprs: 18
; ScratchSize: 0
; MemoryBound: 0
; FloatMode: 240
; IeeeMode: 1
; LDSByteSize: 1024 bytes/workgroup (compile time only)
; SGPRBlocks: 2
; VGPRBlocks: 2
; NumSGPRsForWavesPerEU: 24
; NumVGPRsForWavesPerEU: 18
; AccumOffset: 20
; Occupancy: 8
; WaveLimiterHint : 0
; COMPUTE_PGM_RSRC2:SCRATCH_EN: 0
; COMPUTE_PGM_RSRC2:USER_SGPR: 6
; COMPUTE_PGM_RSRC2:TRAP_HANDLER: 0
; COMPUTE_PGM_RSRC2:TGID_X_EN: 1
; COMPUTE_PGM_RSRC2:TGID_Y_EN: 0
; COMPUTE_PGM_RSRC2:TGID_Z_EN: 1
; COMPUTE_PGM_RSRC2:TIDIG_COMP_CNT: 0
; COMPUTE_PGM_RSRC3_GFX90A:ACCUM_OFFSET: 4
; COMPUTE_PGM_RSRC3_GFX90A:TG_SPLIT: 0
	.section	.text._ZL23rocblas_dot_kernel_inc1ILb0ELi512ELi2ELb1E19rocblas_complex_numIdEPKPKS1_S1_EviT4_llS6_lliPT5_PT3_,"axG",@progbits,_ZL23rocblas_dot_kernel_inc1ILb0ELi512ELi2ELb1E19rocblas_complex_numIdEPKPKS1_S1_EviT4_llS6_lliPT5_PT3_,comdat
	.globl	_ZL23rocblas_dot_kernel_inc1ILb0ELi512ELi2ELb1E19rocblas_complex_numIdEPKPKS1_S1_EviT4_llS6_lliPT5_PT3_ ; -- Begin function _ZL23rocblas_dot_kernel_inc1ILb0ELi512ELi2ELb1E19rocblas_complex_numIdEPKPKS1_S1_EviT4_llS6_lliPT5_PT3_
	.p2align	8
	.type	_ZL23rocblas_dot_kernel_inc1ILb0ELi512ELi2ELb1E19rocblas_complex_numIdEPKPKS1_S1_EviT4_llS6_lliPT5_PT3_,@function
_ZL23rocblas_dot_kernel_inc1ILb0ELi512ELi2ELb1E19rocblas_complex_numIdEPKPKS1_S1_EviT4_llS6_lliPT5_PT3_: ; @_ZL23rocblas_dot_kernel_inc1ILb0ELi512ELi2ELb1E19rocblas_complex_numIdEPKPKS1_S1_EviT4_llS6_lliPT5_PT3_
; %bb.0:
	s_load_dword s8, s[4:5], 0x0
	s_load_dword s10, s[4:5], 0x50
	v_lshl_or_b32 v6, s6, 9, v0
	v_pk_mov_b32 v[4:5], 0, 0
	s_mov_b32 s2, s7
	s_mov_b32 s3, 0
	s_waitcnt lgkmcnt(0)
	v_cmp_gt_i32_e32 vcc, s8, v6
	v_pk_mov_b32 v[2:3], v[4:5], v[4:5] op_sel:[0,1]
	s_and_saveexec_b64 s[0:1], vcc
	s_cbranch_execz .LBB260_4
; %bb.1:
	s_load_dwordx4 s[12:15], s[4:5], 0x8
	s_load_dwordx4 s[16:19], s[4:5], 0x20
	s_lshl_b64 s[20:21], s[2:3], 3
	v_ashrrev_i32_e32 v7, 31, v6
	v_lshlrev_b64 v[2:3], 4, v[6:7]
	s_waitcnt lgkmcnt(0)
	s_add_u32 s12, s12, s20
	s_addc_u32 s13, s13, s21
	s_load_dwordx2 s[12:13], s[12:13], 0x0
	s_lshl_b64 s[14:15], s[14:15], 4
	s_waitcnt lgkmcnt(0)
	s_add_u32 s7, s12, s14
	s_addc_u32 s11, s13, s15
	s_add_u32 s12, s16, s20
	s_addc_u32 s13, s17, s21
	s_load_dwordx2 s[12:13], s[12:13], 0x0
	s_lshl_b64 s[14:15], s[18:19], 4
	v_mov_b32_e32 v1, s11
	s_waitcnt lgkmcnt(0)
	s_add_u32 s12, s12, s14
	s_addc_u32 s13, s13, s15
	v_mov_b32_e32 v4, s13
	v_add_co_u32_e32 v6, vcc, s12, v2
	v_addc_co_u32_e32 v7, vcc, v4, v3, vcc
	v_add_co_u32_e32 v12, vcc, s7, v2
	v_addc_co_u32_e32 v13, vcc, v1, v3, vcc
	global_load_dwordx4 v[2:5], v[12:13], off
	global_load_dwordx4 v[8:11], v[6:7], off
	s_add_i32 s9, s6, s10
	v_lshl_or_b32 v6, s9, 9, v0
	v_cmp_gt_i32_e32 vcc, s8, v6
	s_waitcnt vmcnt(0)
	v_mul_f64 v[12:13], v[10:11], v[4:5]
	v_mul_f64 v[4:5], v[8:9], v[4:5]
	v_fmac_f64_e32 v[12:13], v[8:9], v[2:3]
	v_fma_f64 v[2:3], v[10:11], v[2:3], -v[4:5]
	v_add_f64 v[4:5], v[12:13], 0
	v_add_f64 v[2:3], v[2:3], 0
	s_and_saveexec_b64 s[8:9], vcc
	s_cbranch_execz .LBB260_3
; %bb.2:
	v_ashrrev_i32_e32 v7, 31, v6
	v_lshlrev_b64 v[10:11], 4, v[6:7]
	v_mov_b32_e32 v1, s13
	v_add_co_u32_e32 v6, vcc, s12, v10
	v_addc_co_u32_e32 v7, vcc, v1, v11, vcc
	v_mov_b32_e32 v1, s11
	v_add_co_u32_e32 v10, vcc, s7, v10
	v_addc_co_u32_e32 v11, vcc, v1, v11, vcc
	global_load_dwordx4 v[6:9], v[6:7], off
	s_nop 0
	global_load_dwordx4 v[10:13], v[10:11], off
	s_waitcnt vmcnt(0)
	v_mul_f64 v[14:15], v[6:7], v[12:13]
	v_mul_f64 v[12:13], v[8:9], v[12:13]
	v_fma_f64 v[8:9], v[8:9], v[10:11], -v[14:15]
	v_fmac_f64_e32 v[12:13], v[6:7], v[10:11]
	v_add_f64 v[2:3], v[2:3], v[8:9]
	v_add_f64 v[4:5], v[4:5], v[12:13]
.LBB260_3:
	s_or_b64 exec, exec, s[8:9]
.LBB260_4:
	s_or_b64 exec, exec, s[0:1]
	v_and_b32_e32 v10, 63, v0
	v_cmp_gt_u32_e32 vcc, 64, v0
	v_lshlrev_b32_e32 v1, 4, v10
	s_and_saveexec_b64 s[0:1], vcc
	s_cbranch_execz .LBB260_6
; %bb.5:
	v_mov_b32_e32 v6, 0
	v_mov_b32_e32 v7, v6
	;; [unrolled: 1-line block ×4, first 2 shown]
	ds_write_b128 v1, v[6:9]
.LBB260_6:
	s_or_b64 exec, exec, s[0:1]
	v_mbcnt_lo_u32_b32 v6, -1, 0
	v_mbcnt_hi_u32_b32 v13, -1, v6
	v_and_b32_e32 v14, 63, v13
	v_cmp_gt_u32_e64 s[0:1], 32, v14
	v_cndmask_b32_e64 v6, 0, 1, s[0:1]
	v_lshlrev_b32_e32 v6, 5, v6
	v_add_lshl_u32 v9, v6, v13, 2
	ds_bpermute_b32 v6, v9, v4
	ds_bpermute_b32 v7, v9, v5
	;; [unrolled: 1-line block ×4, first 2 shown]
	v_cmp_gt_u32_e64 s[0:1], 48, v14
	s_waitcnt lgkmcnt(0)
	v_add_f64 v[4:5], v[4:5], v[6:7]
	v_cndmask_b32_e64 v6, 0, 1, s[0:1]
	v_lshlrev_b32_e32 v6, 4, v6
	v_add_f64 v[2:3], v[2:3], v[8:9]
	v_add_lshl_u32 v9, v6, v13, 2
	ds_bpermute_b32 v6, v9, v4
	ds_bpermute_b32 v7, v9, v5
	;; [unrolled: 1-line block ×4, first 2 shown]
	v_cmp_gt_u32_e64 s[0:1], 56, v14
	s_barrier
	s_waitcnt lgkmcnt(2)
	v_add_f64 v[4:5], v[4:5], v[6:7]
	v_cndmask_b32_e64 v6, 0, 1, s[0:1]
	v_lshlrev_b32_e32 v6, 3, v6
	s_waitcnt lgkmcnt(0)
	v_add_f64 v[2:3], v[2:3], v[8:9]
	v_add_lshl_u32 v9, v6, v13, 2
	ds_bpermute_b32 v6, v9, v4
	ds_bpermute_b32 v7, v9, v5
	;; [unrolled: 1-line block ×4, first 2 shown]
	v_cmp_gt_u32_e64 s[0:1], 60, v14
	s_waitcnt lgkmcnt(0)
	v_add_f64 v[4:5], v[4:5], v[6:7]
	v_cndmask_b32_e64 v6, 0, 1, s[0:1]
	v_lshlrev_b32_e32 v6, 2, v6
	v_add_f64 v[2:3], v[2:3], v[8:9]
	v_add_lshl_u32 v11, v6, v13, 2
	ds_bpermute_b32 v6, v11, v4
	ds_bpermute_b32 v7, v11, v5
	;; [unrolled: 1-line block ×4, first 2 shown]
	v_cmp_gt_u32_e64 s[0:1], 62, v14
	s_waitcnt lgkmcnt(2)
	v_add_f64 v[4:5], v[4:5], v[6:7]
	s_waitcnt lgkmcnt(0)
	v_add_f64 v[6:7], v[2:3], v[8:9]
	v_cndmask_b32_e64 v2, 0, 1, s[0:1]
	v_lshlrev_b32_e32 v2, 1, v2
	v_add_lshl_u32 v12, v2, v13, 2
	ds_bpermute_b32 v2, v12, v4
	ds_bpermute_b32 v3, v12, v5
	;; [unrolled: 1-line block ×4, first 2 shown]
	v_cmp_ne_u32_e64 s[0:1], 63, v14
	s_waitcnt lgkmcnt(2)
	v_add_f64 v[2:3], v[4:5], v[2:3]
	v_addc_co_u32_e64 v4, s[0:1], 0, v13, s[0:1]
	s_waitcnt lgkmcnt(0)
	v_add_f64 v[6:7], v[6:7], v[8:9]
	v_lshlrev_b32_e32 v13, 2, v4
	ds_bpermute_b32 v4, v13, v2
	ds_bpermute_b32 v5, v13, v3
	ds_bpermute_b32 v8, v13, v6
	ds_bpermute_b32 v9, v13, v7
	v_cmp_eq_u32_e64 s[0:1], 0, v10
	s_and_saveexec_b64 s[8:9], s[0:1]
	s_cbranch_execz .LBB260_8
; %bb.7:
	v_lshrrev_b32_e32 v10, 2, v0
	v_and_b32_e32 v10, 0x70, v10
	s_waitcnt lgkmcnt(0)
	v_add_f64 v[6:7], v[6:7], v[8:9]
	v_add_f64 v[4:5], v[2:3], v[4:5]
	ds_write_b128 v10, v[4:7]
.LBB260_8:
	s_or_b64 exec, exec, s[8:9]
	s_waitcnt lgkmcnt(2)
	v_pk_mov_b32 v[4:5], 0, 0
	v_cmp_gt_u32_e64 s[0:1], 8, v0
	v_pk_mov_b32 v[2:3], v[4:5], v[4:5] op_sel:[0,1]
	s_waitcnt lgkmcnt(0)
	s_barrier
	s_and_saveexec_b64 s[8:9], s[0:1]
	s_cbranch_execnz .LBB260_12
; %bb.9:
	s_or_b64 exec, exec, s[8:9]
	s_and_saveexec_b64 s[0:1], vcc
	s_cbranch_execnz .LBB260_13
.LBB260_10:
	s_or_b64 exec, exec, s[0:1]
	v_cmp_eq_u32_e32 vcc, 0, v0
	s_and_saveexec_b64 s[0:1], vcc
	s_cbranch_execnz .LBB260_14
.LBB260_11:
	s_endpgm
.LBB260_12:
	ds_read_b128 v[2:5], v1
	s_or_b64 exec, exec, s[8:9]
	s_and_saveexec_b64 s[0:1], vcc
	s_cbranch_execz .LBB260_10
.LBB260_13:
	s_waitcnt lgkmcnt(0)
	ds_bpermute_b32 v6, v11, v2
	ds_bpermute_b32 v7, v11, v3
	;; [unrolled: 1-line block ×4, first 2 shown]
	s_waitcnt lgkmcnt(2)
	v_add_f64 v[2:3], v[2:3], v[6:7]
	ds_bpermute_b32 v6, v12, v2
	s_waitcnt lgkmcnt(1)
	v_add_f64 v[4:5], v[4:5], v[8:9]
	ds_bpermute_b32 v7, v12, v3
	ds_bpermute_b32 v8, v12, v4
	;; [unrolled: 1-line block ×3, first 2 shown]
	s_waitcnt lgkmcnt(2)
	v_add_f64 v[2:3], v[2:3], v[6:7]
	ds_bpermute_b32 v6, v13, v2
	s_waitcnt lgkmcnt(1)
	v_add_f64 v[4:5], v[4:5], v[8:9]
	ds_bpermute_b32 v7, v13, v3
	ds_bpermute_b32 v8, v13, v4
	;; [unrolled: 1-line block ×3, first 2 shown]
	s_waitcnt lgkmcnt(2)
	v_add_f64 v[2:3], v[2:3], v[6:7]
	s_waitcnt lgkmcnt(0)
	v_add_f64 v[4:5], v[4:5], v[8:9]
	s_or_b64 exec, exec, s[0:1]
	v_cmp_eq_u32_e32 vcc, 0, v0
	s_and_saveexec_b64 s[0:1], vcc
	s_cbranch_execz .LBB260_11
.LBB260_14:
	s_cmp_lg_u32 s10, 1
	s_cbranch_scc0 .LBB260_16
; %bb.15:
	s_load_dwordx2 s[0:1], s[4:5], 0x40
	s_mul_hi_u32 s9, s10, s2
	s_mul_i32 s8, s10, s2
	s_lshl_b64 s[8:9], s[8:9], 4
	s_mov_b32 s7, 0
	s_waitcnt lgkmcnt(0)
	s_add_u32 s8, s0, s8
	s_addc_u32 s9, s1, s9
	s_lshl_b64 s[0:1], s[6:7], 4
	s_add_u32 s0, s8, s0
	s_addc_u32 s1, s9, s1
	s_cbranch_execz .LBB260_17
	s_branch .LBB260_18
.LBB260_16:
                                        ; implicit-def: $sgpr0_sgpr1
.LBB260_17:
	s_load_dwordx2 s[0:1], s[4:5], 0x48
	s_lshl_b64 s[2:3], s[2:3], 4
	s_waitcnt lgkmcnt(0)
	s_add_u32 s0, s0, s2
	s_addc_u32 s1, s1, s3
.LBB260_18:
	v_mov_b32_e32 v0, 0
	s_waitcnt lgkmcnt(0)
	global_store_dwordx4 v0, v[2:5], s[0:1]
	s_endpgm
	.section	.rodata,"a",@progbits
	.p2align	6, 0x0
	.amdhsa_kernel _ZL23rocblas_dot_kernel_inc1ILb0ELi512ELi2ELb1E19rocblas_complex_numIdEPKPKS1_S1_EviT4_llS6_lliPT5_PT3_
		.amdhsa_group_segment_fixed_size 1024
		.amdhsa_private_segment_fixed_size 0
		.amdhsa_kernarg_size 336
		.amdhsa_user_sgpr_count 6
		.amdhsa_user_sgpr_private_segment_buffer 1
		.amdhsa_user_sgpr_dispatch_ptr 0
		.amdhsa_user_sgpr_queue_ptr 0
		.amdhsa_user_sgpr_kernarg_segment_ptr 1
		.amdhsa_user_sgpr_dispatch_id 0
		.amdhsa_user_sgpr_flat_scratch_init 0
		.amdhsa_user_sgpr_kernarg_preload_length 0
		.amdhsa_user_sgpr_kernarg_preload_offset 0
		.amdhsa_user_sgpr_private_segment_size 0
		.amdhsa_uses_dynamic_stack 0
		.amdhsa_system_sgpr_private_segment_wavefront_offset 0
		.amdhsa_system_sgpr_workgroup_id_x 1
		.amdhsa_system_sgpr_workgroup_id_y 0
		.amdhsa_system_sgpr_workgroup_id_z 1
		.amdhsa_system_sgpr_workgroup_info 0
		.amdhsa_system_vgpr_workitem_id 0
		.amdhsa_next_free_vgpr 16
		.amdhsa_next_free_sgpr 22
		.amdhsa_accum_offset 16
		.amdhsa_reserve_vcc 1
		.amdhsa_reserve_flat_scratch 0
		.amdhsa_float_round_mode_32 0
		.amdhsa_float_round_mode_16_64 0
		.amdhsa_float_denorm_mode_32 3
		.amdhsa_float_denorm_mode_16_64 3
		.amdhsa_dx10_clamp 1
		.amdhsa_ieee_mode 1
		.amdhsa_fp16_overflow 0
		.amdhsa_tg_split 0
		.amdhsa_exception_fp_ieee_invalid_op 0
		.amdhsa_exception_fp_denorm_src 0
		.amdhsa_exception_fp_ieee_div_zero 0
		.amdhsa_exception_fp_ieee_overflow 0
		.amdhsa_exception_fp_ieee_underflow 0
		.amdhsa_exception_fp_ieee_inexact 0
		.amdhsa_exception_int_div_zero 0
	.end_amdhsa_kernel
	.section	.text._ZL23rocblas_dot_kernel_inc1ILb0ELi512ELi2ELb1E19rocblas_complex_numIdEPKPKS1_S1_EviT4_llS6_lliPT5_PT3_,"axG",@progbits,_ZL23rocblas_dot_kernel_inc1ILb0ELi512ELi2ELb1E19rocblas_complex_numIdEPKPKS1_S1_EviT4_llS6_lliPT5_PT3_,comdat
.Lfunc_end260:
	.size	_ZL23rocblas_dot_kernel_inc1ILb0ELi512ELi2ELb1E19rocblas_complex_numIdEPKPKS1_S1_EviT4_llS6_lliPT5_PT3_, .Lfunc_end260-_ZL23rocblas_dot_kernel_inc1ILb0ELi512ELi2ELb1E19rocblas_complex_numIdEPKPKS1_S1_EviT4_llS6_lliPT5_PT3_
                                        ; -- End function
	.section	.AMDGPU.csdata,"",@progbits
; Kernel info:
; codeLenInByte = 1376
; NumSgprs: 26
; NumVgprs: 16
; NumAgprs: 0
; TotalNumVgprs: 16
; ScratchSize: 0
; MemoryBound: 0
; FloatMode: 240
; IeeeMode: 1
; LDSByteSize: 1024 bytes/workgroup (compile time only)
; SGPRBlocks: 3
; VGPRBlocks: 1
; NumSGPRsForWavesPerEU: 26
; NumVGPRsForWavesPerEU: 16
; AccumOffset: 16
; Occupancy: 8
; WaveLimiterHint : 1
; COMPUTE_PGM_RSRC2:SCRATCH_EN: 0
; COMPUTE_PGM_RSRC2:USER_SGPR: 6
; COMPUTE_PGM_RSRC2:TRAP_HANDLER: 0
; COMPUTE_PGM_RSRC2:TGID_X_EN: 1
; COMPUTE_PGM_RSRC2:TGID_Y_EN: 0
; COMPUTE_PGM_RSRC2:TGID_Z_EN: 1
; COMPUTE_PGM_RSRC2:TIDIG_COMP_CNT: 0
; COMPUTE_PGM_RSRC3_GFX90A:ACCUM_OFFSET: 3
; COMPUTE_PGM_RSRC3_GFX90A:TG_SPLIT: 0
	.section	.text._ZL18rocblas_dot_kernelIiLb0ELi512ELi2ELb1E19rocblas_complex_numIdEPKPKS1_S1_EviT5_lT_lS6_lS7_liPT6_PT4_,"axG",@progbits,_ZL18rocblas_dot_kernelIiLb0ELi512ELi2ELb1E19rocblas_complex_numIdEPKPKS1_S1_EviT5_lT_lS6_lS7_liPT6_PT4_,comdat
	.globl	_ZL18rocblas_dot_kernelIiLb0ELi512ELi2ELb1E19rocblas_complex_numIdEPKPKS1_S1_EviT5_lT_lS6_lS7_liPT6_PT4_ ; -- Begin function _ZL18rocblas_dot_kernelIiLb0ELi512ELi2ELb1E19rocblas_complex_numIdEPKPKS1_S1_EviT5_lT_lS6_lS7_liPT6_PT4_
	.p2align	8
	.type	_ZL18rocblas_dot_kernelIiLb0ELi512ELi2ELb1E19rocblas_complex_numIdEPKPKS1_S1_EviT5_lT_lS6_lS7_liPT6_PT4_,@function
_ZL18rocblas_dot_kernelIiLb0ELi512ELi2ELb1E19rocblas_complex_numIdEPKPKS1_S1_EviT5_lT_lS6_lS7_liPT6_PT4_: ; @_ZL18rocblas_dot_kernelIiLb0ELi512ELi2ELb1E19rocblas_complex_numIdEPKPKS1_S1_EviT5_lT_lS6_lS7_liPT6_PT4_
; %bb.0:
	s_load_dword s8, s[4:5], 0x0
	s_load_dword s10, s[4:5], 0x60
	v_lshl_or_b32 v1, s6, 9, v0
	v_pk_mov_b32 v[4:5], 0, 0
	s_mov_b32 s2, s7
	s_mov_b32 s3, 0
	s_waitcnt lgkmcnt(0)
	v_cmp_gt_i32_e32 vcc, s8, v1
	v_pk_mov_b32 v[2:3], v[4:5], v[4:5] op_sel:[0,1]
	s_and_saveexec_b64 s[0:1], vcc
	s_cbranch_execz .LBB261_4
; %bb.1:
	s_load_dwordx4 s[12:15], s[4:5], 0x8
	s_load_dword s7, s[4:5], 0x18
	s_lshl_b64 s[20:21], s[2:3], 3
	s_waitcnt lgkmcnt(0)
	s_add_u32 s22, s12, s20
	s_addc_u32 s23, s13, s21
	s_load_dwordx2 s[24:25], s[22:23], 0x0
	s_load_dwordx4 s[16:19], s[4:5], 0x28
	s_load_dword s13, s[4:5], 0x38
	s_lshl_b64 s[14:15], s[14:15], 4
	s_waitcnt lgkmcnt(0)
	s_add_u32 s11, s24, s14
	s_addc_u32 s12, s25, s15
	s_add_u32 s14, s16, s20
	s_addc_u32 s15, s17, s21
	s_load_dwordx2 s[14:15], s[14:15], 0x0
	v_mad_i64_i32 v[2:3], s[16:17], v1, s13, 0
	s_lshl_b64 s[16:17], s[18:19], 4
	v_lshlrev_b64 v[2:3], 4, v[2:3]
	s_waitcnt lgkmcnt(0)
	s_add_u32 s14, s14, s16
	s_addc_u32 s15, s15, s17
	v_mov_b32_e32 v4, s15
	v_add_co_u32_e32 v10, vcc, s14, v2
	v_addc_co_u32_e32 v11, vcc, v4, v3, vcc
	v_mad_i64_i32 v[2:3], s[16:17], v1, s7, 0
	v_lshlrev_b64 v[2:3], 4, v[2:3]
	v_mov_b32_e32 v1, s12
	v_add_co_u32_e32 v12, vcc, s11, v2
	v_addc_co_u32_e32 v13, vcc, v1, v3, vcc
	global_load_dwordx4 v[2:5], v[12:13], off
	global_load_dwordx4 v[6:9], v[10:11], off
	s_add_i32 s9, s6, s10
	v_lshl_or_b32 v1, s9, 9, v0
	v_cmp_gt_i32_e32 vcc, s8, v1
	s_waitcnt vmcnt(0)
	v_mul_f64 v[10:11], v[8:9], v[4:5]
	v_mul_f64 v[4:5], v[6:7], v[4:5]
	v_fmac_f64_e32 v[10:11], v[6:7], v[2:3]
	v_fma_f64 v[2:3], v[8:9], v[2:3], -v[4:5]
	v_add_f64 v[4:5], v[10:11], 0
	v_add_f64 v[2:3], v[2:3], 0
	s_and_saveexec_b64 s[8:9], vcc
	s_cbranch_execz .LBB261_3
; %bb.2:
	v_mad_i64_i32 v[6:7], s[16:17], v1, s13, 0
	v_lshlrev_b64 v[6:7], 4, v[6:7]
	v_mov_b32_e32 v8, s15
	v_add_co_u32_e32 v6, vcc, s14, v6
	v_mad_i64_i32 v[10:11], s[14:15], v1, s7, 0
	v_addc_co_u32_e32 v7, vcc, v8, v7, vcc
	v_lshlrev_b64 v[10:11], 4, v[10:11]
	v_mov_b32_e32 v1, s12
	v_add_co_u32_e32 v10, vcc, s11, v10
	v_addc_co_u32_e32 v11, vcc, v1, v11, vcc
	global_load_dwordx4 v[6:9], v[6:7], off
	s_nop 0
	global_load_dwordx4 v[10:13], v[10:11], off
	s_waitcnt vmcnt(0)
	v_mul_f64 v[14:15], v[6:7], v[12:13]
	v_mul_f64 v[12:13], v[8:9], v[12:13]
	v_fma_f64 v[8:9], v[8:9], v[10:11], -v[14:15]
	v_fmac_f64_e32 v[12:13], v[6:7], v[10:11]
	v_add_f64 v[2:3], v[2:3], v[8:9]
	v_add_f64 v[4:5], v[4:5], v[12:13]
.LBB261_3:
	s_or_b64 exec, exec, s[8:9]
.LBB261_4:
	s_or_b64 exec, exec, s[0:1]
	v_and_b32_e32 v10, 63, v0
	v_cmp_gt_u32_e32 vcc, 64, v0
	v_lshlrev_b32_e32 v1, 4, v10
	s_and_saveexec_b64 s[0:1], vcc
	s_cbranch_execz .LBB261_6
; %bb.5:
	v_mov_b32_e32 v6, 0
	v_mov_b32_e32 v7, v6
	;; [unrolled: 1-line block ×4, first 2 shown]
	ds_write_b128 v1, v[6:9]
.LBB261_6:
	s_or_b64 exec, exec, s[0:1]
	v_mbcnt_lo_u32_b32 v6, -1, 0
	v_mbcnt_hi_u32_b32 v13, -1, v6
	v_and_b32_e32 v14, 63, v13
	v_cmp_gt_u32_e64 s[0:1], 32, v14
	v_cndmask_b32_e64 v6, 0, 1, s[0:1]
	v_lshlrev_b32_e32 v6, 5, v6
	v_add_lshl_u32 v9, v6, v13, 2
	ds_bpermute_b32 v6, v9, v4
	ds_bpermute_b32 v7, v9, v5
	;; [unrolled: 1-line block ×4, first 2 shown]
	v_cmp_gt_u32_e64 s[0:1], 48, v14
	s_waitcnt lgkmcnt(0)
	v_add_f64 v[4:5], v[4:5], v[6:7]
	v_cndmask_b32_e64 v6, 0, 1, s[0:1]
	v_lshlrev_b32_e32 v6, 4, v6
	v_add_f64 v[2:3], v[2:3], v[8:9]
	v_add_lshl_u32 v9, v6, v13, 2
	ds_bpermute_b32 v6, v9, v4
	ds_bpermute_b32 v7, v9, v5
	;; [unrolled: 1-line block ×4, first 2 shown]
	v_cmp_gt_u32_e64 s[0:1], 56, v14
	s_barrier
	s_waitcnt lgkmcnt(2)
	v_add_f64 v[4:5], v[4:5], v[6:7]
	v_cndmask_b32_e64 v6, 0, 1, s[0:1]
	v_lshlrev_b32_e32 v6, 3, v6
	s_waitcnt lgkmcnt(0)
	v_add_f64 v[2:3], v[2:3], v[8:9]
	v_add_lshl_u32 v9, v6, v13, 2
	ds_bpermute_b32 v6, v9, v4
	ds_bpermute_b32 v7, v9, v5
	;; [unrolled: 1-line block ×4, first 2 shown]
	v_cmp_gt_u32_e64 s[0:1], 60, v14
	s_waitcnt lgkmcnt(0)
	v_add_f64 v[4:5], v[4:5], v[6:7]
	v_cndmask_b32_e64 v6, 0, 1, s[0:1]
	v_lshlrev_b32_e32 v6, 2, v6
	v_add_f64 v[2:3], v[2:3], v[8:9]
	v_add_lshl_u32 v11, v6, v13, 2
	ds_bpermute_b32 v6, v11, v4
	ds_bpermute_b32 v7, v11, v5
	;; [unrolled: 1-line block ×4, first 2 shown]
	v_cmp_gt_u32_e64 s[0:1], 62, v14
	s_waitcnt lgkmcnt(2)
	v_add_f64 v[4:5], v[4:5], v[6:7]
	s_waitcnt lgkmcnt(0)
	v_add_f64 v[6:7], v[2:3], v[8:9]
	v_cndmask_b32_e64 v2, 0, 1, s[0:1]
	v_lshlrev_b32_e32 v2, 1, v2
	v_add_lshl_u32 v12, v2, v13, 2
	ds_bpermute_b32 v2, v12, v4
	ds_bpermute_b32 v3, v12, v5
	ds_bpermute_b32 v8, v12, v6
	ds_bpermute_b32 v9, v12, v7
	v_cmp_ne_u32_e64 s[0:1], 63, v14
	s_waitcnt lgkmcnt(2)
	v_add_f64 v[2:3], v[4:5], v[2:3]
	v_addc_co_u32_e64 v4, s[0:1], 0, v13, s[0:1]
	s_waitcnt lgkmcnt(0)
	v_add_f64 v[6:7], v[6:7], v[8:9]
	v_lshlrev_b32_e32 v13, 2, v4
	ds_bpermute_b32 v4, v13, v2
	ds_bpermute_b32 v5, v13, v3
	;; [unrolled: 1-line block ×4, first 2 shown]
	v_cmp_eq_u32_e64 s[0:1], 0, v10
	s_and_saveexec_b64 s[8:9], s[0:1]
	s_cbranch_execz .LBB261_8
; %bb.7:
	v_lshrrev_b32_e32 v10, 2, v0
	v_and_b32_e32 v10, 0x70, v10
	s_waitcnt lgkmcnt(0)
	v_add_f64 v[6:7], v[6:7], v[8:9]
	v_add_f64 v[4:5], v[2:3], v[4:5]
	ds_write_b128 v10, v[4:7]
.LBB261_8:
	s_or_b64 exec, exec, s[8:9]
	s_waitcnt lgkmcnt(2)
	v_pk_mov_b32 v[4:5], 0, 0
	v_cmp_gt_u32_e64 s[0:1], 8, v0
	v_pk_mov_b32 v[2:3], v[4:5], v[4:5] op_sel:[0,1]
	s_waitcnt lgkmcnt(0)
	s_barrier
	s_and_saveexec_b64 s[8:9], s[0:1]
	s_cbranch_execnz .LBB261_12
; %bb.9:
	s_or_b64 exec, exec, s[8:9]
	s_and_saveexec_b64 s[0:1], vcc
	s_cbranch_execnz .LBB261_13
.LBB261_10:
	s_or_b64 exec, exec, s[0:1]
	v_cmp_eq_u32_e32 vcc, 0, v0
	s_and_saveexec_b64 s[0:1], vcc
	s_cbranch_execnz .LBB261_14
.LBB261_11:
	s_endpgm
.LBB261_12:
	ds_read_b128 v[2:5], v1
	s_or_b64 exec, exec, s[8:9]
	s_and_saveexec_b64 s[0:1], vcc
	s_cbranch_execz .LBB261_10
.LBB261_13:
	s_waitcnt lgkmcnt(0)
	ds_bpermute_b32 v6, v11, v2
	ds_bpermute_b32 v7, v11, v3
	;; [unrolled: 1-line block ×4, first 2 shown]
	s_waitcnt lgkmcnt(2)
	v_add_f64 v[2:3], v[2:3], v[6:7]
	ds_bpermute_b32 v6, v12, v2
	s_waitcnt lgkmcnt(1)
	v_add_f64 v[4:5], v[4:5], v[8:9]
	ds_bpermute_b32 v7, v12, v3
	ds_bpermute_b32 v8, v12, v4
	;; [unrolled: 1-line block ×3, first 2 shown]
	s_waitcnt lgkmcnt(2)
	v_add_f64 v[2:3], v[2:3], v[6:7]
	ds_bpermute_b32 v6, v13, v2
	s_waitcnt lgkmcnt(1)
	v_add_f64 v[4:5], v[4:5], v[8:9]
	ds_bpermute_b32 v7, v13, v3
	ds_bpermute_b32 v8, v13, v4
	;; [unrolled: 1-line block ×3, first 2 shown]
	s_waitcnt lgkmcnt(2)
	v_add_f64 v[2:3], v[2:3], v[6:7]
	s_waitcnt lgkmcnt(0)
	v_add_f64 v[4:5], v[4:5], v[8:9]
	s_or_b64 exec, exec, s[0:1]
	v_cmp_eq_u32_e32 vcc, 0, v0
	s_and_saveexec_b64 s[0:1], vcc
	s_cbranch_execz .LBB261_11
.LBB261_14:
	s_cmp_lg_u32 s10, 1
	s_cbranch_scc0 .LBB261_16
; %bb.15:
	s_load_dwordx2 s[0:1], s[4:5], 0x50
	s_mul_hi_u32 s9, s10, s2
	s_mul_i32 s8, s10, s2
	s_lshl_b64 s[8:9], s[8:9], 4
	s_mov_b32 s7, 0
	s_waitcnt lgkmcnt(0)
	s_add_u32 s8, s0, s8
	s_addc_u32 s9, s1, s9
	s_lshl_b64 s[0:1], s[6:7], 4
	s_add_u32 s0, s8, s0
	s_addc_u32 s1, s9, s1
	s_cbranch_execz .LBB261_17
	s_branch .LBB261_18
.LBB261_16:
                                        ; implicit-def: $sgpr0_sgpr1
.LBB261_17:
	s_load_dwordx2 s[0:1], s[4:5], 0x58
	s_lshl_b64 s[2:3], s[2:3], 4
	s_waitcnt lgkmcnt(0)
	s_add_u32 s0, s0, s2
	s_addc_u32 s1, s1, s3
.LBB261_18:
	v_mov_b32_e32 v0, 0
	s_waitcnt lgkmcnt(0)
	global_store_dwordx4 v0, v[2:5], s[0:1]
	s_endpgm
	.section	.rodata,"a",@progbits
	.p2align	6, 0x0
	.amdhsa_kernel _ZL18rocblas_dot_kernelIiLb0ELi512ELi2ELb1E19rocblas_complex_numIdEPKPKS1_S1_EviT5_lT_lS6_lS7_liPT6_PT4_
		.amdhsa_group_segment_fixed_size 1024
		.amdhsa_private_segment_fixed_size 0
		.amdhsa_kernarg_size 352
		.amdhsa_user_sgpr_count 6
		.amdhsa_user_sgpr_private_segment_buffer 1
		.amdhsa_user_sgpr_dispatch_ptr 0
		.amdhsa_user_sgpr_queue_ptr 0
		.amdhsa_user_sgpr_kernarg_segment_ptr 1
		.amdhsa_user_sgpr_dispatch_id 0
		.amdhsa_user_sgpr_flat_scratch_init 0
		.amdhsa_user_sgpr_kernarg_preload_length 0
		.amdhsa_user_sgpr_kernarg_preload_offset 0
		.amdhsa_user_sgpr_private_segment_size 0
		.amdhsa_uses_dynamic_stack 0
		.amdhsa_system_sgpr_private_segment_wavefront_offset 0
		.amdhsa_system_sgpr_workgroup_id_x 1
		.amdhsa_system_sgpr_workgroup_id_y 0
		.amdhsa_system_sgpr_workgroup_id_z 1
		.amdhsa_system_sgpr_workgroup_info 0
		.amdhsa_system_vgpr_workitem_id 0
		.amdhsa_next_free_vgpr 16
		.amdhsa_next_free_sgpr 26
		.amdhsa_accum_offset 16
		.amdhsa_reserve_vcc 1
		.amdhsa_reserve_flat_scratch 0
		.amdhsa_float_round_mode_32 0
		.amdhsa_float_round_mode_16_64 0
		.amdhsa_float_denorm_mode_32 3
		.amdhsa_float_denorm_mode_16_64 3
		.amdhsa_dx10_clamp 1
		.amdhsa_ieee_mode 1
		.amdhsa_fp16_overflow 0
		.amdhsa_tg_split 0
		.amdhsa_exception_fp_ieee_invalid_op 0
		.amdhsa_exception_fp_denorm_src 0
		.amdhsa_exception_fp_ieee_div_zero 0
		.amdhsa_exception_fp_ieee_overflow 0
		.amdhsa_exception_fp_ieee_underflow 0
		.amdhsa_exception_fp_ieee_inexact 0
		.amdhsa_exception_int_div_zero 0
	.end_amdhsa_kernel
	.section	.text._ZL18rocblas_dot_kernelIiLb0ELi512ELi2ELb1E19rocblas_complex_numIdEPKPKS1_S1_EviT5_lT_lS6_lS7_liPT6_PT4_,"axG",@progbits,_ZL18rocblas_dot_kernelIiLb0ELi512ELi2ELb1E19rocblas_complex_numIdEPKPKS1_S1_EviT5_lT_lS6_lS7_liPT6_PT4_,comdat
.Lfunc_end261:
	.size	_ZL18rocblas_dot_kernelIiLb0ELi512ELi2ELb1E19rocblas_complex_numIdEPKPKS1_S1_EviT5_lT_lS6_lS7_liPT6_PT4_, .Lfunc_end261-_ZL18rocblas_dot_kernelIiLb0ELi512ELi2ELb1E19rocblas_complex_numIdEPKPKS1_S1_EviT5_lT_lS6_lS7_liPT6_PT4_
                                        ; -- End function
	.section	.AMDGPU.csdata,"",@progbits
; Kernel info:
; codeLenInByte = 1432
; NumSgprs: 30
; NumVgprs: 16
; NumAgprs: 0
; TotalNumVgprs: 16
; ScratchSize: 0
; MemoryBound: 0
; FloatMode: 240
; IeeeMode: 1
; LDSByteSize: 1024 bytes/workgroup (compile time only)
; SGPRBlocks: 3
; VGPRBlocks: 1
; NumSGPRsForWavesPerEU: 30
; NumVGPRsForWavesPerEU: 16
; AccumOffset: 16
; Occupancy: 8
; WaveLimiterHint : 1
; COMPUTE_PGM_RSRC2:SCRATCH_EN: 0
; COMPUTE_PGM_RSRC2:USER_SGPR: 6
; COMPUTE_PGM_RSRC2:TRAP_HANDLER: 0
; COMPUTE_PGM_RSRC2:TGID_X_EN: 1
; COMPUTE_PGM_RSRC2:TGID_Y_EN: 0
; COMPUTE_PGM_RSRC2:TGID_Z_EN: 1
; COMPUTE_PGM_RSRC2:TIDIG_COMP_CNT: 0
; COMPUTE_PGM_RSRC3_GFX90A:ACCUM_OFFSET: 3
; COMPUTE_PGM_RSRC3_GFX90A:TG_SPLIT: 0
	.section	.text._ZL24rocblas_dot_kernel_magsqIiLb0ELi512ELi2ELb1E19rocblas_complex_numIdEPKPKS1_S1_EviT5_lT_liPT6_PT4_,"axG",@progbits,_ZL24rocblas_dot_kernel_magsqIiLb0ELi512ELi2ELb1E19rocblas_complex_numIdEPKPKS1_S1_EviT5_lT_liPT6_PT4_,comdat
	.globl	_ZL24rocblas_dot_kernel_magsqIiLb0ELi512ELi2ELb1E19rocblas_complex_numIdEPKPKS1_S1_EviT5_lT_liPT6_PT4_ ; -- Begin function _ZL24rocblas_dot_kernel_magsqIiLb0ELi512ELi2ELb1E19rocblas_complex_numIdEPKPKS1_S1_EviT5_lT_liPT6_PT4_
	.p2align	8
	.type	_ZL24rocblas_dot_kernel_magsqIiLb0ELi512ELi2ELb1E19rocblas_complex_numIdEPKPKS1_S1_EviT5_lT_liPT6_PT4_,@function
_ZL24rocblas_dot_kernel_magsqIiLb0ELi512ELi2ELb1E19rocblas_complex_numIdEPKPKS1_S1_EviT5_lT_liPT6_PT4_: ; @_ZL24rocblas_dot_kernel_magsqIiLb0ELi512ELi2ELb1E19rocblas_complex_numIdEPKPKS1_S1_EviT5_lT_liPT6_PT4_
; %bb.0:
	s_mov_b32 s2, s7
	s_load_dword s7, s[4:5], 0x0
	s_load_dword s10, s[4:5], 0x40
	v_lshl_or_b32 v1, s6, 9, v0
	v_pk_mov_b32 v[2:3], 0, 0
	s_mov_b32 s3, 0
	s_waitcnt lgkmcnt(0)
	v_cmp_gt_i32_e32 vcc, s7, v1
	v_pk_mov_b32 v[4:5], v[2:3], v[2:3] op_sel:[0,1]
	s_and_saveexec_b64 s[0:1], vcc
	s_cbranch_execz .LBB262_4
; %bb.1:
	s_load_dwordx4 s[12:15], s[4:5], 0x8
	s_load_dword s11, s[4:5], 0x18
	s_lshl_b64 s[8:9], s[2:3], 3
	s_waitcnt lgkmcnt(0)
	s_add_u32 s8, s12, s8
	s_addc_u32 s9, s13, s9
	s_load_dwordx2 s[8:9], s[8:9], 0x0
	v_mad_i64_i32 v[2:3], s[12:13], v1, s11, 0
	s_lshl_b64 s[12:13], s[14:15], 4
	v_lshlrev_b64 v[2:3], 4, v[2:3]
	s_waitcnt lgkmcnt(0)
	s_add_u32 s12, s8, s12
	s_addc_u32 s13, s9, s13
	v_mov_b32_e32 v1, s13
	v_add_co_u32_e32 v2, vcc, s12, v2
	v_addc_co_u32_e32 v3, vcc, v1, v3, vcc
	global_load_dwordx4 v[4:7], v[2:3], off
	s_add_i32 s8, s6, s10
	v_lshl_or_b32 v1, s8, 9, v0
	v_cmp_gt_i32_e32 vcc, s7, v1
	s_waitcnt vmcnt(0)
	v_mul_f64 v[2:3], v[6:7], v[6:7]
	v_mul_f64 v[8:9], v[4:5], v[6:7]
	v_fmac_f64_e32 v[2:3], v[4:5], v[4:5]
	v_fma_f64 v[4:5], v[4:5], v[6:7], -v[8:9]
	v_add_f64 v[4:5], v[4:5], 0
	s_and_saveexec_b64 s[8:9], vcc
	s_cbranch_execz .LBB262_3
; %bb.2:
	v_mad_i64_i32 v[6:7], s[14:15], v1, s11, 0
	v_lshlrev_b64 v[6:7], 4, v[6:7]
	v_mov_b32_e32 v1, s13
	v_add_co_u32_e32 v6, vcc, s12, v6
	v_addc_co_u32_e32 v7, vcc, v1, v7, vcc
	global_load_dwordx4 v[6:9], v[6:7], off
	s_waitcnt vmcnt(0)
	v_mul_f64 v[10:11], v[6:7], v[8:9]
	v_mul_f64 v[12:13], v[8:9], v[8:9]
	v_fma_f64 v[8:9], v[6:7], v[8:9], -v[10:11]
	v_fmac_f64_e32 v[12:13], v[6:7], v[6:7]
	v_add_f64 v[4:5], v[4:5], v[8:9]
	v_add_f64 v[2:3], v[2:3], v[12:13]
.LBB262_3:
	s_or_b64 exec, exec, s[8:9]
.LBB262_4:
	s_or_b64 exec, exec, s[0:1]
	v_and_b32_e32 v10, 63, v0
	v_cmp_gt_u32_e32 vcc, 64, v0
	v_lshlrev_b32_e32 v1, 4, v10
	s_and_saveexec_b64 s[0:1], vcc
	s_cbranch_execz .LBB262_6
; %bb.5:
	v_mov_b32_e32 v6, 0
	v_mov_b32_e32 v7, v6
	;; [unrolled: 1-line block ×4, first 2 shown]
	ds_write_b128 v1, v[6:9]
.LBB262_6:
	s_or_b64 exec, exec, s[0:1]
	v_mbcnt_lo_u32_b32 v6, -1, 0
	v_mbcnt_hi_u32_b32 v13, -1, v6
	v_and_b32_e32 v14, 63, v13
	v_cmp_gt_u32_e64 s[0:1], 32, v14
	v_cndmask_b32_e64 v6, 0, 1, s[0:1]
	v_lshlrev_b32_e32 v6, 5, v6
	v_add_lshl_u32 v9, v6, v13, 2
	ds_bpermute_b32 v6, v9, v2
	ds_bpermute_b32 v7, v9, v3
	;; [unrolled: 1-line block ×4, first 2 shown]
	v_cmp_gt_u32_e64 s[0:1], 48, v14
	s_waitcnt lgkmcnt(0)
	v_add_f64 v[2:3], v[2:3], v[6:7]
	v_cndmask_b32_e64 v6, 0, 1, s[0:1]
	v_lshlrev_b32_e32 v6, 4, v6
	v_add_f64 v[4:5], v[4:5], v[8:9]
	v_add_lshl_u32 v9, v6, v13, 2
	ds_bpermute_b32 v6, v9, v2
	ds_bpermute_b32 v7, v9, v3
	ds_bpermute_b32 v8, v9, v4
	ds_bpermute_b32 v9, v9, v5
	v_cmp_gt_u32_e64 s[0:1], 56, v14
	s_barrier
	s_waitcnt lgkmcnt(2)
	v_add_f64 v[2:3], v[2:3], v[6:7]
	v_cndmask_b32_e64 v6, 0, 1, s[0:1]
	v_lshlrev_b32_e32 v6, 3, v6
	s_waitcnt lgkmcnt(0)
	v_add_f64 v[4:5], v[4:5], v[8:9]
	v_add_lshl_u32 v9, v6, v13, 2
	ds_bpermute_b32 v6, v9, v2
	ds_bpermute_b32 v7, v9, v3
	;; [unrolled: 1-line block ×4, first 2 shown]
	v_cmp_gt_u32_e64 s[0:1], 60, v14
	s_waitcnt lgkmcnt(0)
	v_add_f64 v[2:3], v[2:3], v[6:7]
	v_cndmask_b32_e64 v6, 0, 1, s[0:1]
	v_lshlrev_b32_e32 v6, 2, v6
	v_add_lshl_u32 v11, v6, v13, 2
	ds_bpermute_b32 v6, v11, v2
	ds_bpermute_b32 v7, v11, v3
	v_add_f64 v[4:5], v[4:5], v[8:9]
	ds_bpermute_b32 v8, v11, v4
	ds_bpermute_b32 v9, v11, v5
	v_cmp_gt_u32_e64 s[0:1], 62, v14
	s_waitcnt lgkmcnt(2)
	v_add_f64 v[2:3], v[2:3], v[6:7]
	v_cndmask_b32_e64 v6, 0, 1, s[0:1]
	v_lshlrev_b32_e32 v6, 1, v6
	s_waitcnt lgkmcnt(0)
	v_add_f64 v[4:5], v[4:5], v[8:9]
	v_add_lshl_u32 v12, v6, v13, 2
	ds_bpermute_b32 v6, v12, v2
	ds_bpermute_b32 v7, v12, v3
	;; [unrolled: 1-line block ×4, first 2 shown]
	v_cmp_ne_u32_e64 s[0:1], 63, v14
	s_waitcnt lgkmcnt(2)
	v_add_f64 v[2:3], v[2:3], v[6:7]
	s_waitcnt lgkmcnt(0)
	v_add_f64 v[6:7], v[4:5], v[8:9]
	v_addc_co_u32_e64 v4, s[0:1], 0, v13, s[0:1]
	v_lshlrev_b32_e32 v13, 2, v4
	ds_bpermute_b32 v4, v13, v2
	ds_bpermute_b32 v5, v13, v3
	;; [unrolled: 1-line block ×4, first 2 shown]
	v_cmp_eq_u32_e64 s[0:1], 0, v10
	s_and_saveexec_b64 s[8:9], s[0:1]
	s_cbranch_execz .LBB262_8
; %bb.7:
	v_lshrrev_b32_e32 v10, 2, v0
	v_and_b32_e32 v10, 0x70, v10
	s_waitcnt lgkmcnt(0)
	v_add_f64 v[6:7], v[6:7], v[8:9]
	v_add_f64 v[4:5], v[2:3], v[4:5]
	ds_write_b128 v10, v[4:7]
.LBB262_8:
	s_or_b64 exec, exec, s[8:9]
	s_waitcnt lgkmcnt(2)
	v_pk_mov_b32 v[4:5], 0, 0
	v_cmp_gt_u32_e64 s[0:1], 8, v0
	v_pk_mov_b32 v[2:3], v[4:5], v[4:5] op_sel:[0,1]
	s_waitcnt lgkmcnt(0)
	s_barrier
	s_and_saveexec_b64 s[8:9], s[0:1]
	s_cbranch_execnz .LBB262_12
; %bb.9:
	s_or_b64 exec, exec, s[8:9]
	s_and_saveexec_b64 s[0:1], vcc
	s_cbranch_execnz .LBB262_13
.LBB262_10:
	s_or_b64 exec, exec, s[0:1]
	v_cmp_eq_u32_e32 vcc, 0, v0
	s_and_saveexec_b64 s[0:1], vcc
	s_cbranch_execnz .LBB262_14
.LBB262_11:
	s_endpgm
.LBB262_12:
	ds_read_b128 v[2:5], v1
	s_or_b64 exec, exec, s[8:9]
	s_and_saveexec_b64 s[0:1], vcc
	s_cbranch_execz .LBB262_10
.LBB262_13:
	s_waitcnt lgkmcnt(0)
	ds_bpermute_b32 v6, v11, v2
	ds_bpermute_b32 v7, v11, v3
	ds_bpermute_b32 v8, v11, v4
	ds_bpermute_b32 v9, v11, v5
	s_waitcnt lgkmcnt(2)
	v_add_f64 v[2:3], v[2:3], v[6:7]
	ds_bpermute_b32 v6, v12, v2
	s_waitcnt lgkmcnt(1)
	v_add_f64 v[4:5], v[4:5], v[8:9]
	ds_bpermute_b32 v7, v12, v3
	ds_bpermute_b32 v8, v12, v4
	;; [unrolled: 1-line block ×3, first 2 shown]
	s_waitcnt lgkmcnt(2)
	v_add_f64 v[2:3], v[2:3], v[6:7]
	ds_bpermute_b32 v6, v13, v2
	s_waitcnt lgkmcnt(1)
	v_add_f64 v[4:5], v[4:5], v[8:9]
	ds_bpermute_b32 v7, v13, v3
	ds_bpermute_b32 v8, v13, v4
	;; [unrolled: 1-line block ×3, first 2 shown]
	s_waitcnt lgkmcnt(2)
	v_add_f64 v[2:3], v[2:3], v[6:7]
	s_waitcnt lgkmcnt(0)
	v_add_f64 v[4:5], v[4:5], v[8:9]
	s_or_b64 exec, exec, s[0:1]
	v_cmp_eq_u32_e32 vcc, 0, v0
	s_and_saveexec_b64 s[0:1], vcc
	s_cbranch_execz .LBB262_11
.LBB262_14:
	s_cmp_lg_u32 s10, 1
	s_cbranch_scc0 .LBB262_16
; %bb.15:
	s_load_dwordx2 s[0:1], s[4:5], 0x30
	s_mul_hi_u32 s9, s10, s2
	s_mul_i32 s8, s10, s2
	s_lshl_b64 s[8:9], s[8:9], 4
	s_mov_b32 s7, 0
	s_waitcnt lgkmcnt(0)
	s_add_u32 s8, s0, s8
	s_addc_u32 s9, s1, s9
	s_lshl_b64 s[0:1], s[6:7], 4
	s_add_u32 s0, s8, s0
	s_addc_u32 s1, s9, s1
	s_cbranch_execz .LBB262_17
	s_branch .LBB262_18
.LBB262_16:
                                        ; implicit-def: $sgpr0_sgpr1
.LBB262_17:
	s_load_dwordx2 s[0:1], s[4:5], 0x38
	s_lshl_b64 s[2:3], s[2:3], 4
	s_waitcnt lgkmcnt(0)
	s_add_u32 s0, s0, s2
	s_addc_u32 s1, s1, s3
.LBB262_18:
	v_mov_b32_e32 v0, 0
	s_waitcnt lgkmcnt(0)
	global_store_dwordx4 v0, v[2:5], s[0:1]
	s_endpgm
	.section	.rodata,"a",@progbits
	.p2align	6, 0x0
	.amdhsa_kernel _ZL24rocblas_dot_kernel_magsqIiLb0ELi512ELi2ELb1E19rocblas_complex_numIdEPKPKS1_S1_EviT5_lT_liPT6_PT4_
		.amdhsa_group_segment_fixed_size 1024
		.amdhsa_private_segment_fixed_size 0
		.amdhsa_kernarg_size 320
		.amdhsa_user_sgpr_count 6
		.amdhsa_user_sgpr_private_segment_buffer 1
		.amdhsa_user_sgpr_dispatch_ptr 0
		.amdhsa_user_sgpr_queue_ptr 0
		.amdhsa_user_sgpr_kernarg_segment_ptr 1
		.amdhsa_user_sgpr_dispatch_id 0
		.amdhsa_user_sgpr_flat_scratch_init 0
		.amdhsa_user_sgpr_kernarg_preload_length 0
		.amdhsa_user_sgpr_kernarg_preload_offset 0
		.amdhsa_user_sgpr_private_segment_size 0
		.amdhsa_uses_dynamic_stack 0
		.amdhsa_system_sgpr_private_segment_wavefront_offset 0
		.amdhsa_system_sgpr_workgroup_id_x 1
		.amdhsa_system_sgpr_workgroup_id_y 0
		.amdhsa_system_sgpr_workgroup_id_z 1
		.amdhsa_system_sgpr_workgroup_info 0
		.amdhsa_system_vgpr_workitem_id 0
		.amdhsa_next_free_vgpr 15
		.amdhsa_next_free_sgpr 16
		.amdhsa_accum_offset 16
		.amdhsa_reserve_vcc 1
		.amdhsa_reserve_flat_scratch 0
		.amdhsa_float_round_mode_32 0
		.amdhsa_float_round_mode_16_64 0
		.amdhsa_float_denorm_mode_32 3
		.amdhsa_float_denorm_mode_16_64 3
		.amdhsa_dx10_clamp 1
		.amdhsa_ieee_mode 1
		.amdhsa_fp16_overflow 0
		.amdhsa_tg_split 0
		.amdhsa_exception_fp_ieee_invalid_op 0
		.amdhsa_exception_fp_denorm_src 0
		.amdhsa_exception_fp_ieee_div_zero 0
		.amdhsa_exception_fp_ieee_overflow 0
		.amdhsa_exception_fp_ieee_underflow 0
		.amdhsa_exception_fp_ieee_inexact 0
		.amdhsa_exception_int_div_zero 0
	.end_amdhsa_kernel
	.section	.text._ZL24rocblas_dot_kernel_magsqIiLb0ELi512ELi2ELb1E19rocblas_complex_numIdEPKPKS1_S1_EviT5_lT_liPT6_PT4_,"axG",@progbits,_ZL24rocblas_dot_kernel_magsqIiLb0ELi512ELi2ELb1E19rocblas_complex_numIdEPKPKS1_S1_EviT5_lT_liPT6_PT4_,comdat
.Lfunc_end262:
	.size	_ZL24rocblas_dot_kernel_magsqIiLb0ELi512ELi2ELb1E19rocblas_complex_numIdEPKPKS1_S1_EviT5_lT_liPT6_PT4_, .Lfunc_end262-_ZL24rocblas_dot_kernel_magsqIiLb0ELi512ELi2ELb1E19rocblas_complex_numIdEPKPKS1_S1_EviT5_lT_liPT6_PT4_
                                        ; -- End function
	.section	.AMDGPU.csdata,"",@progbits
; Kernel info:
; codeLenInByte = 1300
; NumSgprs: 20
; NumVgprs: 15
; NumAgprs: 0
; TotalNumVgprs: 15
; ScratchSize: 0
; MemoryBound: 0
; FloatMode: 240
; IeeeMode: 1
; LDSByteSize: 1024 bytes/workgroup (compile time only)
; SGPRBlocks: 2
; VGPRBlocks: 1
; NumSGPRsForWavesPerEU: 20
; NumVGPRsForWavesPerEU: 15
; AccumOffset: 16
; Occupancy: 8
; WaveLimiterHint : 1
; COMPUTE_PGM_RSRC2:SCRATCH_EN: 0
; COMPUTE_PGM_RSRC2:USER_SGPR: 6
; COMPUTE_PGM_RSRC2:TRAP_HANDLER: 0
; COMPUTE_PGM_RSRC2:TGID_X_EN: 1
; COMPUTE_PGM_RSRC2:TGID_Y_EN: 0
; COMPUTE_PGM_RSRC2:TGID_Z_EN: 1
; COMPUTE_PGM_RSRC2:TIDIG_COMP_CNT: 0
; COMPUTE_PGM_RSRC3_GFX90A:ACCUM_OFFSET: 3
; COMPUTE_PGM_RSRC3_GFX90A:TG_SPLIT: 0
	.section	.text._ZL28rocblas_dot_batched_4_kernelIlLi32ELi4ELb1E19rocblas_complex_numIdES1_PKPKS1_EviT5_lT_lS6_lS7_liPT4_,"axG",@progbits,_ZL28rocblas_dot_batched_4_kernelIlLi32ELi4ELb1E19rocblas_complex_numIdES1_PKPKS1_EviT5_lT_lS6_lS7_liPT4_,comdat
	.globl	_ZL28rocblas_dot_batched_4_kernelIlLi32ELi4ELb1E19rocblas_complex_numIdES1_PKPKS1_EviT5_lT_lS6_lS7_liPT4_ ; -- Begin function _ZL28rocblas_dot_batched_4_kernelIlLi32ELi4ELb1E19rocblas_complex_numIdES1_PKPKS1_EviT5_lT_lS6_lS7_liPT4_
	.p2align	8
	.type	_ZL28rocblas_dot_batched_4_kernelIlLi32ELi4ELb1E19rocblas_complex_numIdES1_PKPKS1_EviT5_lT_lS6_lS7_liPT4_,@function
_ZL28rocblas_dot_batched_4_kernelIlLi32ELi4ELb1E19rocblas_complex_numIdES1_PKPKS1_EviT5_lT_lS6_lS7_liPT4_: ; @_ZL28rocblas_dot_batched_4_kernelIlLi32ELi4ELb1E19rocblas_complex_numIdES1_PKPKS1_EviT5_lT_lS6_lS7_liPT4_
; %bb.0:
	s_load_dword s0, s[4:5], 0x48
	v_bfe_u32 v1, v0, 10, 10
	v_lshl_add_u32 v2, s6, 2, v1
	s_waitcnt lgkmcnt(0)
	v_cmp_gt_u32_e32 vcc, s0, v2
	s_and_saveexec_b64 s[0:1], vcc
	s_cbranch_execz .LBB263_7
; %bb.1:
	s_load_dword s14, s[4:5], 0x0
	s_load_dwordx2 s[6:7], s[4:5], 0x50
	v_and_b32_e32 v10, 0x3ff, v0
	v_pk_mov_b32 v[0:1], 0, 0
	v_mov_b32_e32 v3, 0
	s_waitcnt lgkmcnt(0)
	v_cmp_gt_i32_e32 vcc, s14, v10
	v_pk_mov_b32 v[4:5], v[0:1], v[0:1] op_sel:[0,1]
	s_and_saveexec_b64 s[12:13], vcc
	s_cbranch_execz .LBB263_5
; %bb.2:
	s_load_dwordx2 s[16:17], s[4:5], 0x8
	s_load_dwordx2 s[18:19], s[4:5], 0x28
	v_lshlrev_b64 v[0:1], 3, v[2:3]
	s_load_dwordx4 s[0:3], s[4:5], 0x10
	s_load_dwordx4 s[8:11], s[4:5], 0x30
	s_mov_b64 s[4:5], 0
	s_waitcnt lgkmcnt(0)
	v_mov_b32_e32 v6, s17
	v_mov_b32_e32 v5, s19
	v_add_co_u32_e32 v4, vcc, s18, v0
	v_addc_co_u32_e32 v5, vcc, v5, v1, vcc
	global_load_dwordx2 v[4:5], v[4:5], off
	v_add_co_u32_e32 v0, vcc, s16, v0
	v_addc_co_u32_e32 v1, vcc, v6, v1, vcc
	global_load_dwordx2 v[6:7], v[0:1], off
	v_mad_u64_u32 v[8:9], s[16:17], s10, v10, 0
	v_mov_b32_e32 v16, v9
	s_lshl_b64 s[16:17], s[8:9], 4
	s_lshl_b64 s[8:9], s[10:11], 9
	v_mad_u64_u32 v[14:15], s[18:19], s2, v10, 0
	v_mad_u64_u32 v[16:17], s[10:11], s11, v10, v[16:17]
	v_mov_b32_e32 v18, v15
	v_mov_b32_e32 v9, v16
	s_lshl_b64 s[18:19], s[0:1], 4
	s_lshl_b64 s[0:1], s[2:3], 9
	v_mad_u64_u32 v[18:19], s[2:3], s3, v10, v[18:19]
	v_lshlrev_b64 v[8:9], 4, v[8:9]
	v_mov_b32_e32 v20, s17
	v_mov_b32_e32 v15, v18
	v_add_co_u32_e32 v8, vcc, s16, v8
	v_lshlrev_b64 v[14:15], 4, v[14:15]
	v_addc_co_u32_e32 v9, vcc, v9, v20, vcc
	v_mov_b32_e32 v21, s19
	v_add_co_u32_e32 v14, vcc, s18, v14
	v_addc_co_u32_e32 v15, vcc, v15, v21, vcc
	v_pk_mov_b32 v[0:1], 0, 0
	v_mov_b32_e32 v11, v10
	v_mov_b32_e32 v12, s9
	;; [unrolled: 1-line block ×3, first 2 shown]
	s_waitcnt vmcnt(1)
	v_add_co_u32_e32 v4, vcc, v8, v4
	v_addc_co_u32_e32 v5, vcc, v9, v5, vcc
	s_waitcnt vmcnt(0)
	v_add_co_u32_e32 v8, vcc, v14, v6
	v_addc_co_u32_e32 v9, vcc, v15, v7, vcc
	v_add_co_u32_e32 v6, vcc, 8, v4
	v_addc_co_u32_e32 v7, vcc, 0, v5, vcc
	;; [unrolled: 2-line block ×3, first 2 shown]
	v_pk_mov_b32 v[4:5], v[0:1], v[0:1] op_sel:[0,1]
.LBB263_3:                              ; =>This Inner Loop Header: Depth=1
	global_load_dwordx4 v[14:17], v[8:9], off offset:-8
	global_load_dwordx4 v[18:21], v[6:7], off offset:-8
	v_add_co_u32_e32 v6, vcc, s8, v6
	v_addc_co_u32_e32 v7, vcc, v7, v12, vcc
	v_add_co_u32_e32 v8, vcc, s0, v8
	v_add_u32_e32 v11, 32, v11
	v_addc_co_u32_e32 v9, vcc, v9, v13, vcc
	v_cmp_le_i32_e32 vcc, s14, v11
	s_or_b64 s[4:5], vcc, s[4:5]
	s_waitcnt vmcnt(0)
	v_mul_f64 v[22:23], v[16:17], v[20:21]
	v_mul_f64 v[16:17], v[16:17], v[18:19]
	v_fmac_f64_e32 v[22:23], v[14:15], v[18:19]
	v_fma_f64 v[14:15], v[14:15], v[20:21], -v[16:17]
	v_add_f64 v[0:1], v[0:1], v[22:23]
	v_add_f64 v[4:5], v[4:5], v[14:15]
	s_andn2_b64 exec, exec, s[4:5]
	s_cbranch_execnz .LBB263_3
; %bb.4:
	s_or_b64 exec, exec, s[4:5]
.LBB263_5:
	s_or_b64 exec, exec, s[12:13]
	v_mbcnt_lo_u32_b32 v6, -1, 0
	v_mbcnt_hi_u32_b32 v11, -1, v6
	v_and_b32_e32 v12, 63, v11
	v_cmp_gt_u32_e32 vcc, 48, v12
	v_cndmask_b32_e64 v6, 0, 1, vcc
	v_lshlrev_b32_e32 v6, 4, v6
	v_add_lshl_u32 v9, v6, v11, 2
	ds_bpermute_b32 v6, v9, v0
	ds_bpermute_b32 v7, v9, v1
	;; [unrolled: 1-line block ×4, first 2 shown]
	v_cmp_gt_u32_e32 vcc, 56, v12
	s_waitcnt lgkmcnt(0)
	v_add_f64 v[0:1], v[0:1], v[6:7]
	v_cndmask_b32_e64 v6, 0, 1, vcc
	v_lshlrev_b32_e32 v6, 3, v6
	v_add_f64 v[4:5], v[4:5], v[8:9]
	v_add_lshl_u32 v9, v6, v11, 2
	ds_bpermute_b32 v6, v9, v0
	ds_bpermute_b32 v7, v9, v1
	;; [unrolled: 1-line block ×4, first 2 shown]
	v_cmp_gt_u32_e32 vcc, 60, v12
	s_barrier
	s_waitcnt lgkmcnt(2)
	v_add_f64 v[0:1], v[0:1], v[6:7]
	v_cndmask_b32_e64 v6, 0, 1, vcc
	v_lshlrev_b32_e32 v6, 2, v6
	s_waitcnt lgkmcnt(0)
	v_add_f64 v[4:5], v[4:5], v[8:9]
	v_add_lshl_u32 v9, v6, v11, 2
	ds_bpermute_b32 v6, v9, v0
	ds_bpermute_b32 v7, v9, v1
	ds_bpermute_b32 v8, v9, v4
	ds_bpermute_b32 v9, v9, v5
	v_cmp_gt_u32_e32 vcc, 62, v12
	s_waitcnt lgkmcnt(0)
	v_add_f64 v[0:1], v[0:1], v[6:7]
	v_cndmask_b32_e64 v6, 0, 1, vcc
	v_lshlrev_b32_e32 v6, 1, v6
	v_add_f64 v[4:5], v[4:5], v[8:9]
	v_add_lshl_u32 v9, v6, v11, 2
	ds_bpermute_b32 v6, v9, v0
	ds_bpermute_b32 v7, v9, v1
	;; [unrolled: 1-line block ×4, first 2 shown]
	v_cmp_ne_u32_e32 vcc, 63, v12
	s_waitcnt lgkmcnt(2)
	v_add_f64 v[0:1], v[0:1], v[6:7]
	s_waitcnt lgkmcnt(0)
	v_add_f64 v[6:7], v[4:5], v[8:9]
	v_addc_co_u32_e32 v4, vcc, 0, v11, vcc
	v_lshlrev_b32_e32 v9, 2, v4
	ds_bpermute_b32 v4, v9, v0
	ds_bpermute_b32 v5, v9, v1
	;; [unrolled: 1-line block ×4, first 2 shown]
	v_cmp_eq_u32_e32 vcc, 0, v10
	s_and_b64 exec, exec, vcc
	s_cbranch_execz .LBB263_7
; %bb.6:
	v_lshlrev_b64 v[2:3], 4, v[2:3]
	v_mov_b32_e32 v11, s7
	v_add_co_u32_e32 v10, vcc, s6, v2
	v_addc_co_u32_e32 v11, vcc, v11, v3, vcc
	s_waitcnt lgkmcnt(0)
	v_add_f64 v[2:3], v[6:7], v[8:9]
	v_add_f64 v[0:1], v[0:1], v[4:5]
	global_store_dwordx4 v[10:11], v[0:3], off
.LBB263_7:
	s_endpgm
	.section	.rodata,"a",@progbits
	.p2align	6, 0x0
	.amdhsa_kernel _ZL28rocblas_dot_batched_4_kernelIlLi32ELi4ELb1E19rocblas_complex_numIdES1_PKPKS1_EviT5_lT_lS6_lS7_liPT4_
		.amdhsa_group_segment_fixed_size 0
		.amdhsa_private_segment_fixed_size 0
		.amdhsa_kernarg_size 88
		.amdhsa_user_sgpr_count 6
		.amdhsa_user_sgpr_private_segment_buffer 1
		.amdhsa_user_sgpr_dispatch_ptr 0
		.amdhsa_user_sgpr_queue_ptr 0
		.amdhsa_user_sgpr_kernarg_segment_ptr 1
		.amdhsa_user_sgpr_dispatch_id 0
		.amdhsa_user_sgpr_flat_scratch_init 0
		.amdhsa_user_sgpr_kernarg_preload_length 0
		.amdhsa_user_sgpr_kernarg_preload_offset 0
		.amdhsa_user_sgpr_private_segment_size 0
		.amdhsa_uses_dynamic_stack 0
		.amdhsa_system_sgpr_private_segment_wavefront_offset 0
		.amdhsa_system_sgpr_workgroup_id_x 1
		.amdhsa_system_sgpr_workgroup_id_y 0
		.amdhsa_system_sgpr_workgroup_id_z 0
		.amdhsa_system_sgpr_workgroup_info 0
		.amdhsa_system_vgpr_workitem_id 1
		.amdhsa_next_free_vgpr 24
		.amdhsa_next_free_sgpr 20
		.amdhsa_accum_offset 24
		.amdhsa_reserve_vcc 1
		.amdhsa_reserve_flat_scratch 0
		.amdhsa_float_round_mode_32 0
		.amdhsa_float_round_mode_16_64 0
		.amdhsa_float_denorm_mode_32 3
		.amdhsa_float_denorm_mode_16_64 3
		.amdhsa_dx10_clamp 1
		.amdhsa_ieee_mode 1
		.amdhsa_fp16_overflow 0
		.amdhsa_tg_split 0
		.amdhsa_exception_fp_ieee_invalid_op 0
		.amdhsa_exception_fp_denorm_src 0
		.amdhsa_exception_fp_ieee_div_zero 0
		.amdhsa_exception_fp_ieee_overflow 0
		.amdhsa_exception_fp_ieee_underflow 0
		.amdhsa_exception_fp_ieee_inexact 0
		.amdhsa_exception_int_div_zero 0
	.end_amdhsa_kernel
	.section	.text._ZL28rocblas_dot_batched_4_kernelIlLi32ELi4ELb1E19rocblas_complex_numIdES1_PKPKS1_EviT5_lT_lS6_lS7_liPT4_,"axG",@progbits,_ZL28rocblas_dot_batched_4_kernelIlLi32ELi4ELb1E19rocblas_complex_numIdES1_PKPKS1_EviT5_lT_lS6_lS7_liPT4_,comdat
.Lfunc_end263:
	.size	_ZL28rocblas_dot_batched_4_kernelIlLi32ELi4ELb1E19rocblas_complex_numIdES1_PKPKS1_EviT5_lT_lS6_lS7_liPT4_, .Lfunc_end263-_ZL28rocblas_dot_batched_4_kernelIlLi32ELi4ELb1E19rocblas_complex_numIdES1_PKPKS1_EviT5_lT_lS6_lS7_liPT4_
                                        ; -- End function
	.section	.AMDGPU.csdata,"",@progbits
; Kernel info:
; codeLenInByte = 912
; NumSgprs: 24
; NumVgprs: 24
; NumAgprs: 0
; TotalNumVgprs: 24
; ScratchSize: 0
; MemoryBound: 0
; FloatMode: 240
; IeeeMode: 1
; LDSByteSize: 0 bytes/workgroup (compile time only)
; SGPRBlocks: 2
; VGPRBlocks: 2
; NumSGPRsForWavesPerEU: 24
; NumVGPRsForWavesPerEU: 24
; AccumOffset: 24
; Occupancy: 8
; WaveLimiterHint : 0
; COMPUTE_PGM_RSRC2:SCRATCH_EN: 0
; COMPUTE_PGM_RSRC2:USER_SGPR: 6
; COMPUTE_PGM_RSRC2:TRAP_HANDLER: 0
; COMPUTE_PGM_RSRC2:TGID_X_EN: 1
; COMPUTE_PGM_RSRC2:TGID_Y_EN: 0
; COMPUTE_PGM_RSRC2:TGID_Z_EN: 0
; COMPUTE_PGM_RSRC2:TIDIG_COMP_CNT: 1
; COMPUTE_PGM_RSRC3_GFX90A:ACCUM_OFFSET: 5
; COMPUTE_PGM_RSRC3_GFX90A:TG_SPLIT: 0
	.section	.text._ZL28rocblas_dot_batched_4_kernelIlLi64ELi4ELb1E19rocblas_complex_numIdES1_PKPKS1_EviT5_lT_lS6_lS7_liPT4_,"axG",@progbits,_ZL28rocblas_dot_batched_4_kernelIlLi64ELi4ELb1E19rocblas_complex_numIdES1_PKPKS1_EviT5_lT_lS6_lS7_liPT4_,comdat
	.globl	_ZL28rocblas_dot_batched_4_kernelIlLi64ELi4ELb1E19rocblas_complex_numIdES1_PKPKS1_EviT5_lT_lS6_lS7_liPT4_ ; -- Begin function _ZL28rocblas_dot_batched_4_kernelIlLi64ELi4ELb1E19rocblas_complex_numIdES1_PKPKS1_EviT5_lT_lS6_lS7_liPT4_
	.p2align	8
	.type	_ZL28rocblas_dot_batched_4_kernelIlLi64ELi4ELb1E19rocblas_complex_numIdES1_PKPKS1_EviT5_lT_lS6_lS7_liPT4_,@function
_ZL28rocblas_dot_batched_4_kernelIlLi64ELi4ELb1E19rocblas_complex_numIdES1_PKPKS1_EviT5_lT_lS6_lS7_liPT4_: ; @_ZL28rocblas_dot_batched_4_kernelIlLi64ELi4ELb1E19rocblas_complex_numIdES1_PKPKS1_EviT5_lT_lS6_lS7_liPT4_
; %bb.0:
	s_load_dword s0, s[4:5], 0x48
	v_bfe_u32 v1, v0, 10, 10
	v_lshl_add_u32 v2, s6, 2, v1
	s_waitcnt lgkmcnt(0)
	v_cmp_gt_u32_e32 vcc, s0, v2
	s_and_saveexec_b64 s[0:1], vcc
	s_cbranch_execz .LBB264_7
; %bb.1:
	s_load_dword s14, s[4:5], 0x0
	s_load_dwordx2 s[6:7], s[4:5], 0x50
	v_and_b32_e32 v10, 0x3ff, v0
	v_pk_mov_b32 v[0:1], 0, 0
	v_mov_b32_e32 v3, 0
	s_waitcnt lgkmcnt(0)
	v_cmp_gt_i32_e32 vcc, s14, v10
	v_pk_mov_b32 v[4:5], v[0:1], v[0:1] op_sel:[0,1]
	s_and_saveexec_b64 s[12:13], vcc
	s_cbranch_execz .LBB264_5
; %bb.2:
	s_load_dwordx2 s[16:17], s[4:5], 0x8
	s_load_dwordx2 s[18:19], s[4:5], 0x28
	v_lshlrev_b64 v[0:1], 3, v[2:3]
	s_load_dwordx4 s[0:3], s[4:5], 0x10
	s_load_dwordx4 s[8:11], s[4:5], 0x30
	s_mov_b64 s[4:5], 0
	s_waitcnt lgkmcnt(0)
	v_mov_b32_e32 v6, s17
	v_mov_b32_e32 v5, s19
	v_add_co_u32_e32 v4, vcc, s18, v0
	v_addc_co_u32_e32 v5, vcc, v5, v1, vcc
	global_load_dwordx2 v[4:5], v[4:5], off
	v_add_co_u32_e32 v0, vcc, s16, v0
	v_addc_co_u32_e32 v1, vcc, v6, v1, vcc
	global_load_dwordx2 v[6:7], v[0:1], off
	v_mad_u64_u32 v[8:9], s[16:17], s10, v10, 0
	v_mov_b32_e32 v16, v9
	s_lshl_b64 s[16:17], s[8:9], 4
	s_lshl_b64 s[8:9], s[10:11], 10
	v_mad_u64_u32 v[14:15], s[18:19], s2, v10, 0
	v_mad_u64_u32 v[16:17], s[10:11], s11, v10, v[16:17]
	v_mov_b32_e32 v18, v15
	v_mov_b32_e32 v9, v16
	s_lshl_b64 s[18:19], s[0:1], 4
	s_lshl_b64 s[0:1], s[2:3], 10
	v_mad_u64_u32 v[18:19], s[2:3], s3, v10, v[18:19]
	v_lshlrev_b64 v[8:9], 4, v[8:9]
	v_mov_b32_e32 v20, s17
	v_mov_b32_e32 v15, v18
	v_add_co_u32_e32 v8, vcc, s16, v8
	v_lshlrev_b64 v[14:15], 4, v[14:15]
	v_addc_co_u32_e32 v9, vcc, v9, v20, vcc
	v_mov_b32_e32 v21, s19
	v_add_co_u32_e32 v14, vcc, s18, v14
	v_addc_co_u32_e32 v15, vcc, v15, v21, vcc
	v_pk_mov_b32 v[0:1], 0, 0
	v_mov_b32_e32 v11, v10
	v_mov_b32_e32 v12, s9
	;; [unrolled: 1-line block ×3, first 2 shown]
	s_waitcnt vmcnt(1)
	v_add_co_u32_e32 v4, vcc, v8, v4
	v_addc_co_u32_e32 v5, vcc, v9, v5, vcc
	s_waitcnt vmcnt(0)
	v_add_co_u32_e32 v8, vcc, v14, v6
	v_addc_co_u32_e32 v9, vcc, v15, v7, vcc
	v_add_co_u32_e32 v6, vcc, 8, v4
	v_addc_co_u32_e32 v7, vcc, 0, v5, vcc
	;; [unrolled: 2-line block ×3, first 2 shown]
	v_pk_mov_b32 v[4:5], v[0:1], v[0:1] op_sel:[0,1]
.LBB264_3:                              ; =>This Inner Loop Header: Depth=1
	global_load_dwordx4 v[14:17], v[8:9], off offset:-8
	global_load_dwordx4 v[18:21], v[6:7], off offset:-8
	v_add_co_u32_e32 v6, vcc, s8, v6
	v_addc_co_u32_e32 v7, vcc, v7, v12, vcc
	v_add_co_u32_e32 v8, vcc, s0, v8
	v_add_u32_e32 v11, 64, v11
	v_addc_co_u32_e32 v9, vcc, v9, v13, vcc
	v_cmp_le_i32_e32 vcc, s14, v11
	s_or_b64 s[4:5], vcc, s[4:5]
	s_waitcnt vmcnt(0)
	v_mul_f64 v[22:23], v[16:17], v[20:21]
	v_mul_f64 v[16:17], v[16:17], v[18:19]
	v_fmac_f64_e32 v[22:23], v[14:15], v[18:19]
	v_fma_f64 v[14:15], v[14:15], v[20:21], -v[16:17]
	v_add_f64 v[0:1], v[0:1], v[22:23]
	v_add_f64 v[4:5], v[4:5], v[14:15]
	s_andn2_b64 exec, exec, s[4:5]
	s_cbranch_execnz .LBB264_3
; %bb.4:
	s_or_b64 exec, exec, s[4:5]
.LBB264_5:
	s_or_b64 exec, exec, s[12:13]
	v_mbcnt_lo_u32_b32 v6, -1, 0
	v_mbcnt_hi_u32_b32 v11, -1, v6
	v_and_b32_e32 v12, 63, v11
	v_cmp_gt_u32_e32 vcc, 32, v12
	v_cndmask_b32_e64 v6, 0, 1, vcc
	v_lshlrev_b32_e32 v6, 5, v6
	v_add_lshl_u32 v9, v6, v11, 2
	ds_bpermute_b32 v6, v9, v0
	ds_bpermute_b32 v7, v9, v1
	;; [unrolled: 1-line block ×4, first 2 shown]
	v_cmp_gt_u32_e32 vcc, 48, v12
	s_waitcnt lgkmcnt(0)
	v_add_f64 v[0:1], v[0:1], v[6:7]
	v_cndmask_b32_e64 v6, 0, 1, vcc
	v_lshlrev_b32_e32 v6, 4, v6
	v_add_f64 v[4:5], v[4:5], v[8:9]
	v_add_lshl_u32 v9, v6, v11, 2
	ds_bpermute_b32 v6, v9, v0
	ds_bpermute_b32 v7, v9, v1
	;; [unrolled: 1-line block ×4, first 2 shown]
	v_cmp_gt_u32_e32 vcc, 56, v12
	s_barrier
	s_waitcnt lgkmcnt(2)
	v_add_f64 v[0:1], v[0:1], v[6:7]
	v_cndmask_b32_e64 v6, 0, 1, vcc
	v_lshlrev_b32_e32 v6, 3, v6
	s_waitcnt lgkmcnt(0)
	v_add_f64 v[4:5], v[4:5], v[8:9]
	v_add_lshl_u32 v9, v6, v11, 2
	ds_bpermute_b32 v6, v9, v0
	ds_bpermute_b32 v7, v9, v1
	;; [unrolled: 1-line block ×4, first 2 shown]
	v_cmp_gt_u32_e32 vcc, 60, v12
	s_waitcnt lgkmcnt(0)
	v_add_f64 v[0:1], v[0:1], v[6:7]
	v_cndmask_b32_e64 v6, 0, 1, vcc
	v_lshlrev_b32_e32 v6, 2, v6
	v_add_f64 v[4:5], v[4:5], v[8:9]
	v_add_lshl_u32 v9, v6, v11, 2
	ds_bpermute_b32 v6, v9, v0
	ds_bpermute_b32 v7, v9, v1
	;; [unrolled: 1-line block ×4, first 2 shown]
	v_cmp_gt_u32_e32 vcc, 62, v12
	s_waitcnt lgkmcnt(2)
	v_add_f64 v[0:1], v[0:1], v[6:7]
	v_cndmask_b32_e64 v6, 0, 1, vcc
	v_lshlrev_b32_e32 v6, 1, v6
	s_waitcnt lgkmcnt(0)
	v_add_f64 v[4:5], v[4:5], v[8:9]
	v_add_lshl_u32 v9, v6, v11, 2
	ds_bpermute_b32 v6, v9, v0
	ds_bpermute_b32 v7, v9, v1
	;; [unrolled: 1-line block ×4, first 2 shown]
	v_cmp_ne_u32_e32 vcc, 63, v12
	s_waitcnt lgkmcnt(2)
	v_add_f64 v[0:1], v[0:1], v[6:7]
	s_waitcnt lgkmcnt(0)
	v_add_f64 v[6:7], v[4:5], v[8:9]
	v_addc_co_u32_e32 v4, vcc, 0, v11, vcc
	v_lshlrev_b32_e32 v9, 2, v4
	ds_bpermute_b32 v4, v9, v0
	ds_bpermute_b32 v5, v9, v1
	;; [unrolled: 1-line block ×4, first 2 shown]
	v_cmp_eq_u32_e32 vcc, 0, v10
	s_and_b64 exec, exec, vcc
	s_cbranch_execz .LBB264_7
; %bb.6:
	v_lshlrev_b64 v[2:3], 4, v[2:3]
	v_mov_b32_e32 v11, s7
	v_add_co_u32_e32 v10, vcc, s6, v2
	v_addc_co_u32_e32 v11, vcc, v11, v3, vcc
	s_waitcnt lgkmcnt(0)
	v_add_f64 v[2:3], v[6:7], v[8:9]
	v_add_f64 v[0:1], v[0:1], v[4:5]
	global_store_dwordx4 v[10:11], v[0:3], off
.LBB264_7:
	s_endpgm
	.section	.rodata,"a",@progbits
	.p2align	6, 0x0
	.amdhsa_kernel _ZL28rocblas_dot_batched_4_kernelIlLi64ELi4ELb1E19rocblas_complex_numIdES1_PKPKS1_EviT5_lT_lS6_lS7_liPT4_
		.amdhsa_group_segment_fixed_size 0
		.amdhsa_private_segment_fixed_size 0
		.amdhsa_kernarg_size 88
		.amdhsa_user_sgpr_count 6
		.amdhsa_user_sgpr_private_segment_buffer 1
		.amdhsa_user_sgpr_dispatch_ptr 0
		.amdhsa_user_sgpr_queue_ptr 0
		.amdhsa_user_sgpr_kernarg_segment_ptr 1
		.amdhsa_user_sgpr_dispatch_id 0
		.amdhsa_user_sgpr_flat_scratch_init 0
		.amdhsa_user_sgpr_kernarg_preload_length 0
		.amdhsa_user_sgpr_kernarg_preload_offset 0
		.amdhsa_user_sgpr_private_segment_size 0
		.amdhsa_uses_dynamic_stack 0
		.amdhsa_system_sgpr_private_segment_wavefront_offset 0
		.amdhsa_system_sgpr_workgroup_id_x 1
		.amdhsa_system_sgpr_workgroup_id_y 0
		.amdhsa_system_sgpr_workgroup_id_z 0
		.amdhsa_system_sgpr_workgroup_info 0
		.amdhsa_system_vgpr_workitem_id 1
		.amdhsa_next_free_vgpr 24
		.amdhsa_next_free_sgpr 20
		.amdhsa_accum_offset 24
		.amdhsa_reserve_vcc 1
		.amdhsa_reserve_flat_scratch 0
		.amdhsa_float_round_mode_32 0
		.amdhsa_float_round_mode_16_64 0
		.amdhsa_float_denorm_mode_32 3
		.amdhsa_float_denorm_mode_16_64 3
		.amdhsa_dx10_clamp 1
		.amdhsa_ieee_mode 1
		.amdhsa_fp16_overflow 0
		.amdhsa_tg_split 0
		.amdhsa_exception_fp_ieee_invalid_op 0
		.amdhsa_exception_fp_denorm_src 0
		.amdhsa_exception_fp_ieee_div_zero 0
		.amdhsa_exception_fp_ieee_overflow 0
		.amdhsa_exception_fp_ieee_underflow 0
		.amdhsa_exception_fp_ieee_inexact 0
		.amdhsa_exception_int_div_zero 0
	.end_amdhsa_kernel
	.section	.text._ZL28rocblas_dot_batched_4_kernelIlLi64ELi4ELb1E19rocblas_complex_numIdES1_PKPKS1_EviT5_lT_lS6_lS7_liPT4_,"axG",@progbits,_ZL28rocblas_dot_batched_4_kernelIlLi64ELi4ELb1E19rocblas_complex_numIdES1_PKPKS1_EviT5_lT_lS6_lS7_liPT4_,comdat
.Lfunc_end264:
	.size	_ZL28rocblas_dot_batched_4_kernelIlLi64ELi4ELb1E19rocblas_complex_numIdES1_PKPKS1_EviT5_lT_lS6_lS7_liPT4_, .Lfunc_end264-_ZL28rocblas_dot_batched_4_kernelIlLi64ELi4ELb1E19rocblas_complex_numIdES1_PKPKS1_EviT5_lT_lS6_lS7_liPT4_
                                        ; -- End function
	.section	.AMDGPU.csdata,"",@progbits
; Kernel info:
; codeLenInByte = 992
; NumSgprs: 24
; NumVgprs: 24
; NumAgprs: 0
; TotalNumVgprs: 24
; ScratchSize: 0
; MemoryBound: 0
; FloatMode: 240
; IeeeMode: 1
; LDSByteSize: 0 bytes/workgroup (compile time only)
; SGPRBlocks: 2
; VGPRBlocks: 2
; NumSGPRsForWavesPerEU: 24
; NumVGPRsForWavesPerEU: 24
; AccumOffset: 24
; Occupancy: 8
; WaveLimiterHint : 0
; COMPUTE_PGM_RSRC2:SCRATCH_EN: 0
; COMPUTE_PGM_RSRC2:USER_SGPR: 6
; COMPUTE_PGM_RSRC2:TRAP_HANDLER: 0
; COMPUTE_PGM_RSRC2:TGID_X_EN: 1
; COMPUTE_PGM_RSRC2:TGID_Y_EN: 0
; COMPUTE_PGM_RSRC2:TGID_Z_EN: 0
; COMPUTE_PGM_RSRC2:TIDIG_COMP_CNT: 1
; COMPUTE_PGM_RSRC3_GFX90A:ACCUM_OFFSET: 5
; COMPUTE_PGM_RSRC3_GFX90A:TG_SPLIT: 0
	.section	.text._ZL18rocblas_dot_kernelIlLb1ELi1024ELi32ELb1E19rocblas_complex_numIdEPKPKS1_S1_EviT5_lT_lS6_lS7_liPT6_PT4_,"axG",@progbits,_ZL18rocblas_dot_kernelIlLb1ELi1024ELi32ELb1E19rocblas_complex_numIdEPKPKS1_S1_EviT5_lT_lS6_lS7_liPT6_PT4_,comdat
	.globl	_ZL18rocblas_dot_kernelIlLb1ELi1024ELi32ELb1E19rocblas_complex_numIdEPKPKS1_S1_EviT5_lT_lS6_lS7_liPT6_PT4_ ; -- Begin function _ZL18rocblas_dot_kernelIlLb1ELi1024ELi32ELb1E19rocblas_complex_numIdEPKPKS1_S1_EviT5_lT_lS6_lS7_liPT6_PT4_
	.p2align	8
	.type	_ZL18rocblas_dot_kernelIlLb1ELi1024ELi32ELb1E19rocblas_complex_numIdEPKPKS1_S1_EviT5_lT_lS6_lS7_liPT6_PT4_,@function
_ZL18rocblas_dot_kernelIlLb1ELi1024ELi32ELb1E19rocblas_complex_numIdEPKPKS1_S1_EviT5_lT_lS6_lS7_liPT6_PT4_: ; @_ZL18rocblas_dot_kernelIlLb1ELi1024ELi32ELb1E19rocblas_complex_numIdEPKPKS1_S1_EviT5_lT_lS6_lS7_liPT6_PT4_
; %bb.0:
	s_load_dword s16, s[4:5], 0x0
	s_load_dwordx2 s[12:13], s[4:5], 0x58
	v_pk_mov_b32 v[2:3], 0, 0
	s_mov_b32 s6, s7
	s_mov_b32 s7, 0
	s_waitcnt lgkmcnt(0)
	v_cmp_gt_i32_e32 vcc, s16, v0
	v_pk_mov_b32 v[4:5], v[2:3], v[2:3] op_sel:[0,1]
	s_and_saveexec_b64 s[14:15], vcc
	s_cbranch_execz .LBB265_4
; %bb.1:
	s_load_dwordx2 s[18:19], s[4:5], 0x8
	s_load_dwordx4 s[8:11], s[4:5], 0x10
	s_load_dwordx2 s[20:21], s[4:5], 0x28
	s_load_dwordx4 s[0:3], s[4:5], 0x30
	s_lshl_b64 s[22:23], s[6:7], 3
	s_waitcnt lgkmcnt(0)
	s_add_u32 s18, s18, s22
	s_addc_u32 s19, s19, s23
	s_load_dword s17, s[4:5], 0x60
	s_load_dwordx2 s[24:25], s[18:19], 0x0
	s_add_u32 s4, s20, s22
	s_addc_u32 s5, s21, s23
	s_load_dwordx2 s[18:19], s[4:5], 0x0
	v_mad_u64_u32 v[2:3], s[4:5], s10, v0, 0
	v_mov_b32_e32 v4, v3
	v_mad_u64_u32 v[4:5], s[4:5], s11, v0, v[4:5]
	s_waitcnt lgkmcnt(0)
	s_lshl_b32 s17, s17, 10
	s_lshl_b64 s[4:5], s[8:9], 4
	v_mov_b32_e32 v3, v4
	s_add_u32 s4, s24, s4
	v_lshlrev_b64 v[2:3], 4, v[2:3]
	s_addc_u32 s5, s25, s5
	v_mov_b32_e32 v4, s5
	v_add_co_u32_e32 v2, vcc, s4, v2
	v_addc_co_u32_e32 v3, vcc, v4, v3, vcc
	s_ashr_i32 s20, s17, 31
	v_add_co_u32_e32 v6, vcc, 8, v2
	s_mul_i32 s4, s10, s20
	s_mul_hi_u32 s5, s10, s17
	v_addc_co_u32_e32 v7, vcc, 0, v3, vcc
	s_add_i32 s4, s5, s4
	s_mul_i32 s5, s11, s17
	v_mad_u64_u32 v[2:3], s[8:9], s2, v0, 0
	s_add_i32 s5, s4, s5
	s_mul_i32 s4, s10, s17
	v_mov_b32_e32 v4, v3
	s_lshl_b64 s[4:5], s[4:5], 4
	v_mad_u64_u32 v[4:5], s[8:9], s3, v0, v[4:5]
	s_lshl_b64 s[0:1], s[0:1], 4
	v_mov_b32_e32 v3, v4
	s_add_u32 s0, s18, s0
	v_lshlrev_b64 v[2:3], 4, v[2:3]
	s_addc_u32 s1, s19, s1
	v_mov_b32_e32 v4, s1
	v_add_co_u32_e32 v2, vcc, s0, v2
	s_mul_i32 s0, s2, s20
	s_mul_hi_u32 s1, s2, s17
	v_addc_co_u32_e32 v3, vcc, v4, v3, vcc
	s_add_i32 s0, s1, s0
	s_mul_i32 s1, s3, s17
	v_add_co_u32_e32 v8, vcc, 8, v2
	s_add_i32 s1, s0, s1
	s_mul_i32 s0, s2, s17
	v_addc_co_u32_e32 v9, vcc, 0, v3, vcc
	s_lshl_b64 s[8:9], s[0:1], 4
	v_pk_mov_b32 v[2:3], 0, 0
	v_or_b32_e32 v1, s17, v0
	s_mov_b64 s[2:3], 0
	v_mov_b32_e32 v10, s5
	v_mov_b32_e32 v11, s9
	s_mov_b32 s5, s7
	v_pk_mov_b32 v[4:5], v[2:3], v[2:3] op_sel:[0,1]
.LBB265_2:                              ; =>This Inner Loop Header: Depth=1
	global_load_dwordx4 v[12:15], v[8:9], off offset:-8
	global_load_dwordx4 v[16:19], v[6:7], off offset:-8
	v_add_co_u32_e64 v6, s[0:1], s4, v6
	v_addc_co_u32_e64 v7, s[0:1], v7, v10, s[0:1]
	s_add_i32 s9, s5, 1
	v_add_co_u32_e64 v8, s[0:1], s8, v8
	v_addc_co_u32_e64 v9, s[0:1], v9, v11, s[0:1]
	s_cmp_gt_u32 s5, 30
	v_cmp_le_i32_e32 vcc, s16, v1
	s_cselect_b64 s[0:1], -1, 0
	s_or_b64 s[0:1], s[0:1], vcc
	s_and_b64 s[0:1], exec, s[0:1]
	v_add_u32_e32 v1, s17, v1
	s_mov_b32 s5, s9
	s_or_b64 s[2:3], s[0:1], s[2:3]
	s_waitcnt vmcnt(0)
	v_mul_f64 v[20:21], v[14:15], v[18:19]
	v_mul_f64 v[18:19], v[12:13], v[18:19]
	v_fmac_f64_e32 v[20:21], v[12:13], v[16:17]
	v_fma_f64 v[12:13], v[14:15], v[16:17], -v[18:19]
	v_add_f64 v[4:5], v[4:5], v[20:21]
	v_add_f64 v[2:3], v[2:3], v[12:13]
	s_andn2_b64 exec, exec, s[2:3]
	s_cbranch_execnz .LBB265_2
; %bb.3:
	s_or_b64 exec, exec, s[2:3]
.LBB265_4:
	s_or_b64 exec, exec, s[14:15]
	v_and_b32_e32 v13, 63, v0
	v_cmp_gt_u32_e32 vcc, 64, v0
	v_lshlrev_b32_e32 v1, 4, v13
	s_and_saveexec_b64 s[0:1], vcc
	s_cbranch_execz .LBB265_6
; %bb.5:
	v_mov_b32_e32 v6, 0
	v_mov_b32_e32 v7, v6
	;; [unrolled: 1-line block ×4, first 2 shown]
	ds_write_b128 v1, v[6:9]
.LBB265_6:
	s_or_b64 exec, exec, s[0:1]
	v_mbcnt_lo_u32_b32 v6, -1, 0
	v_mbcnt_hi_u32_b32 v14, -1, v6
	v_and_b32_e32 v15, 63, v14
	v_cmp_gt_u32_e64 s[0:1], 32, v15
	v_cndmask_b32_e64 v6, 0, 1, s[0:1]
	v_lshlrev_b32_e32 v6, 5, v6
	v_add_lshl_u32 v9, v6, v14, 2
	ds_bpermute_b32 v6, v9, v4
	ds_bpermute_b32 v7, v9, v5
	;; [unrolled: 1-line block ×4, first 2 shown]
	v_cmp_gt_u32_e64 s[0:1], 48, v15
	s_waitcnt lgkmcnt(0)
	v_add_f64 v[4:5], v[4:5], v[6:7]
	v_cndmask_b32_e64 v6, 0, 1, s[0:1]
	v_lshlrev_b32_e32 v6, 4, v6
	v_add_f64 v[2:3], v[2:3], v[8:9]
	v_add_lshl_u32 v9, v6, v14, 2
	ds_bpermute_b32 v6, v9, v4
	ds_bpermute_b32 v7, v9, v5
	;; [unrolled: 1-line block ×4, first 2 shown]
	v_cmp_gt_u32_e64 s[0:1], 56, v15
	s_barrier
	s_waitcnt lgkmcnt(2)
	v_add_f64 v[4:5], v[4:5], v[6:7]
	v_cndmask_b32_e64 v6, 0, 1, s[0:1]
	v_lshlrev_b32_e32 v6, 3, v6
	v_add_lshl_u32 v10, v6, v14, 2
	ds_bpermute_b32 v6, v10, v4
	ds_bpermute_b32 v7, v10, v5
	s_waitcnt lgkmcnt(2)
	v_add_f64 v[2:3], v[2:3], v[8:9]
	ds_bpermute_b32 v8, v10, v2
	ds_bpermute_b32 v9, v10, v3
	v_cmp_gt_u32_e64 s[0:1], 60, v15
	s_waitcnt lgkmcnt(2)
	v_add_f64 v[4:5], v[4:5], v[6:7]
	v_cndmask_b32_e64 v6, 0, 1, s[0:1]
	v_lshlrev_b32_e32 v6, 2, v6
	s_waitcnt lgkmcnt(0)
	v_add_f64 v[2:3], v[2:3], v[8:9]
	v_add_lshl_u32 v11, v6, v14, 2
	ds_bpermute_b32 v6, v11, v4
	ds_bpermute_b32 v7, v11, v5
	;; [unrolled: 1-line block ×4, first 2 shown]
	v_cmp_gt_u32_e64 s[0:1], 62, v15
	s_waitcnt lgkmcnt(0)
	v_add_f64 v[4:5], v[4:5], v[6:7]
	v_add_f64 v[6:7], v[2:3], v[8:9]
	v_cndmask_b32_e64 v2, 0, 1, s[0:1]
	v_lshlrev_b32_e32 v2, 1, v2
	v_add_lshl_u32 v12, v2, v14, 2
	ds_bpermute_b32 v2, v12, v4
	ds_bpermute_b32 v3, v12, v5
	;; [unrolled: 1-line block ×4, first 2 shown]
	v_cmp_ne_u32_e64 s[0:1], 63, v15
	s_waitcnt lgkmcnt(2)
	v_add_f64 v[2:3], v[4:5], v[2:3]
	v_addc_co_u32_e64 v4, s[0:1], 0, v14, s[0:1]
	s_waitcnt lgkmcnt(0)
	v_add_f64 v[6:7], v[6:7], v[8:9]
	v_lshlrev_b32_e32 v14, 2, v4
	ds_bpermute_b32 v4, v14, v2
	ds_bpermute_b32 v5, v14, v3
	;; [unrolled: 1-line block ×4, first 2 shown]
	v_cmp_eq_u32_e64 s[0:1], 0, v13
	s_and_saveexec_b64 s[2:3], s[0:1]
	s_cbranch_execz .LBB265_8
; %bb.7:
	v_lshrrev_b32_e32 v13, 2, v0
	v_and_b32_e32 v13, 0xf0, v13
	s_waitcnt lgkmcnt(0)
	v_add_f64 v[6:7], v[6:7], v[8:9]
	v_add_f64 v[4:5], v[2:3], v[4:5]
	ds_write_b128 v13, v[4:7]
.LBB265_8:
	s_or_b64 exec, exec, s[2:3]
	s_waitcnt lgkmcnt(2)
	v_pk_mov_b32 v[4:5], 0, 0
	v_cmp_gt_u32_e64 s[0:1], 16, v0
	v_pk_mov_b32 v[2:3], v[4:5], v[4:5] op_sel:[0,1]
	s_waitcnt lgkmcnt(0)
	s_barrier
	s_and_saveexec_b64 s[2:3], s[0:1]
	s_cbranch_execnz .LBB265_12
; %bb.9:
	s_or_b64 exec, exec, s[2:3]
	s_and_saveexec_b64 s[0:1], vcc
	s_cbranch_execnz .LBB265_13
.LBB265_10:
	s_or_b64 exec, exec, s[0:1]
	v_cmp_eq_u32_e32 vcc, 0, v0
	s_and_saveexec_b64 s[0:1], vcc
	s_cbranch_execnz .LBB265_14
.LBB265_11:
	s_endpgm
.LBB265_12:
	ds_read_b128 v[2:5], v1
	s_or_b64 exec, exec, s[2:3]
	s_and_saveexec_b64 s[0:1], vcc
	s_cbranch_execz .LBB265_10
.LBB265_13:
	s_waitcnt lgkmcnt(0)
	ds_bpermute_b32 v6, v10, v2
	ds_bpermute_b32 v7, v10, v3
	ds_bpermute_b32 v8, v10, v4
	ds_bpermute_b32 v9, v10, v5
	s_waitcnt lgkmcnt(2)
	v_add_f64 v[2:3], v[2:3], v[6:7]
	ds_bpermute_b32 v6, v11, v2
	s_waitcnt lgkmcnt(1)
	v_add_f64 v[4:5], v[4:5], v[8:9]
	ds_bpermute_b32 v7, v11, v3
	ds_bpermute_b32 v8, v11, v4
	ds_bpermute_b32 v9, v11, v5
	s_waitcnt lgkmcnt(2)
	v_add_f64 v[2:3], v[2:3], v[6:7]
	ds_bpermute_b32 v6, v12, v2
	s_waitcnt lgkmcnt(1)
	v_add_f64 v[4:5], v[4:5], v[8:9]
	ds_bpermute_b32 v7, v12, v3
	ds_bpermute_b32 v8, v12, v4
	ds_bpermute_b32 v9, v12, v5
	;; [unrolled: 8-line block ×3, first 2 shown]
	s_waitcnt lgkmcnt(2)
	v_add_f64 v[2:3], v[2:3], v[6:7]
	s_waitcnt lgkmcnt(0)
	v_add_f64 v[4:5], v[4:5], v[8:9]
	s_or_b64 exec, exec, s[0:1]
	v_cmp_eq_u32_e32 vcc, 0, v0
	s_and_saveexec_b64 s[0:1], vcc
	s_cbranch_execz .LBB265_11
.LBB265_14:
	s_lshl_b64 s[0:1], s[6:7], 4
	s_add_u32 s0, s12, s0
	s_addc_u32 s1, s13, s1
	v_mov_b32_e32 v0, 0
	s_waitcnt lgkmcnt(0)
	global_store_dwordx4 v0, v[2:5], s[0:1]
	s_endpgm
	.section	.rodata,"a",@progbits
	.p2align	6, 0x0
	.amdhsa_kernel _ZL18rocblas_dot_kernelIlLb1ELi1024ELi32ELb1E19rocblas_complex_numIdEPKPKS1_S1_EviT5_lT_lS6_lS7_liPT6_PT4_
		.amdhsa_group_segment_fixed_size 1024
		.amdhsa_private_segment_fixed_size 0
		.amdhsa_kernarg_size 352
		.amdhsa_user_sgpr_count 6
		.amdhsa_user_sgpr_private_segment_buffer 1
		.amdhsa_user_sgpr_dispatch_ptr 0
		.amdhsa_user_sgpr_queue_ptr 0
		.amdhsa_user_sgpr_kernarg_segment_ptr 1
		.amdhsa_user_sgpr_dispatch_id 0
		.amdhsa_user_sgpr_flat_scratch_init 0
		.amdhsa_user_sgpr_kernarg_preload_length 0
		.amdhsa_user_sgpr_kernarg_preload_offset 0
		.amdhsa_user_sgpr_private_segment_size 0
		.amdhsa_uses_dynamic_stack 0
		.amdhsa_system_sgpr_private_segment_wavefront_offset 0
		.amdhsa_system_sgpr_workgroup_id_x 1
		.amdhsa_system_sgpr_workgroup_id_y 0
		.amdhsa_system_sgpr_workgroup_id_z 1
		.amdhsa_system_sgpr_workgroup_info 0
		.amdhsa_system_vgpr_workitem_id 0
		.amdhsa_next_free_vgpr 22
		.amdhsa_next_free_sgpr 26
		.amdhsa_accum_offset 24
		.amdhsa_reserve_vcc 1
		.amdhsa_reserve_flat_scratch 0
		.amdhsa_float_round_mode_32 0
		.amdhsa_float_round_mode_16_64 0
		.amdhsa_float_denorm_mode_32 3
		.amdhsa_float_denorm_mode_16_64 3
		.amdhsa_dx10_clamp 1
		.amdhsa_ieee_mode 1
		.amdhsa_fp16_overflow 0
		.amdhsa_tg_split 0
		.amdhsa_exception_fp_ieee_invalid_op 0
		.amdhsa_exception_fp_denorm_src 0
		.amdhsa_exception_fp_ieee_div_zero 0
		.amdhsa_exception_fp_ieee_overflow 0
		.amdhsa_exception_fp_ieee_underflow 0
		.amdhsa_exception_fp_ieee_inexact 0
		.amdhsa_exception_int_div_zero 0
	.end_amdhsa_kernel
	.section	.text._ZL18rocblas_dot_kernelIlLb1ELi1024ELi32ELb1E19rocblas_complex_numIdEPKPKS1_S1_EviT5_lT_lS6_lS7_liPT6_PT4_,"axG",@progbits,_ZL18rocblas_dot_kernelIlLb1ELi1024ELi32ELb1E19rocblas_complex_numIdEPKPKS1_S1_EviT5_lT_lS6_lS7_liPT6_PT4_,comdat
.Lfunc_end265:
	.size	_ZL18rocblas_dot_kernelIlLb1ELi1024ELi32ELb1E19rocblas_complex_numIdEPKPKS1_S1_EviT5_lT_lS6_lS7_liPT6_PT4_, .Lfunc_end265-_ZL18rocblas_dot_kernelIlLb1ELi1024ELi32ELb1E19rocblas_complex_numIdEPKPKS1_S1_EviT5_lT_lS6_lS7_liPT6_PT4_
                                        ; -- End function
	.section	.AMDGPU.csdata,"",@progbits
; Kernel info:
; codeLenInByte = 1484
; NumSgprs: 30
; NumVgprs: 22
; NumAgprs: 0
; TotalNumVgprs: 22
; ScratchSize: 0
; MemoryBound: 0
; FloatMode: 240
; IeeeMode: 1
; LDSByteSize: 1024 bytes/workgroup (compile time only)
; SGPRBlocks: 3
; VGPRBlocks: 2
; NumSGPRsForWavesPerEU: 30
; NumVGPRsForWavesPerEU: 22
; AccumOffset: 24
; Occupancy: 8
; WaveLimiterHint : 0
; COMPUTE_PGM_RSRC2:SCRATCH_EN: 0
; COMPUTE_PGM_RSRC2:USER_SGPR: 6
; COMPUTE_PGM_RSRC2:TRAP_HANDLER: 0
; COMPUTE_PGM_RSRC2:TGID_X_EN: 1
; COMPUTE_PGM_RSRC2:TGID_Y_EN: 0
; COMPUTE_PGM_RSRC2:TGID_Z_EN: 1
; COMPUTE_PGM_RSRC2:TIDIG_COMP_CNT: 0
; COMPUTE_PGM_RSRC3_GFX90A:ACCUM_OFFSET: 5
; COMPUTE_PGM_RSRC3_GFX90A:TG_SPLIT: 0
	.section	.text._ZL24rocblas_dot_kernel_magsqIlLb1ELi1024ELi32ELb1E19rocblas_complex_numIdEPKPKS1_S1_EviT5_lT_liPT6_PT4_,"axG",@progbits,_ZL24rocblas_dot_kernel_magsqIlLb1ELi1024ELi32ELb1E19rocblas_complex_numIdEPKPKS1_S1_EviT5_lT_liPT6_PT4_,comdat
	.globl	_ZL24rocblas_dot_kernel_magsqIlLb1ELi1024ELi32ELb1E19rocblas_complex_numIdEPKPKS1_S1_EviT5_lT_liPT6_PT4_ ; -- Begin function _ZL24rocblas_dot_kernel_magsqIlLb1ELi1024ELi32ELb1E19rocblas_complex_numIdEPKPKS1_S1_EviT5_lT_liPT6_PT4_
	.p2align	8
	.type	_ZL24rocblas_dot_kernel_magsqIlLb1ELi1024ELi32ELb1E19rocblas_complex_numIdEPKPKS1_S1_EviT5_lT_liPT6_PT4_,@function
_ZL24rocblas_dot_kernel_magsqIlLb1ELi1024ELi32ELb1E19rocblas_complex_numIdEPKPKS1_S1_EviT5_lT_liPT6_PT4_: ; @_ZL24rocblas_dot_kernel_magsqIlLb1ELi1024ELi32ELb1E19rocblas_complex_numIdEPKPKS1_S1_EviT5_lT_liPT6_PT4_
; %bb.0:
	s_mov_b32 s2, s7
	s_load_dword s12, s[4:5], 0x0
	s_load_dwordx2 s[6:7], s[4:5], 0x38
	v_pk_mov_b32 v[2:3], 0, 0
	s_mov_b32 s3, 0
	v_pk_mov_b32 v[4:5], v[2:3], v[2:3] op_sel:[0,1]
	s_waitcnt lgkmcnt(0)
	v_cmp_gt_i32_e32 vcc, s12, v0
	s_and_saveexec_b64 s[8:9], vcc
	s_cbranch_execz .LBB266_4
; %bb.1:
	s_load_dwordx2 s[0:1], s[4:5], 0x8
	s_load_dword s10, s[4:5], 0x40
	s_load_dwordx4 s[16:19], s[4:5], 0x10
	s_lshl_b64 s[4:5], s[2:3], 3
	s_waitcnt lgkmcnt(0)
	s_add_u32 s0, s0, s4
	s_addc_u32 s1, s1, s5
	s_load_dwordx2 s[0:1], s[0:1], 0x0
	v_mad_u64_u32 v[2:3], s[4:5], s18, v0, 0
	v_mov_b32_e32 v4, v3
	v_mad_u64_u32 v[4:5], s[4:5], s19, v0, v[4:5]
	s_lshl_b32 s13, s10, 10
	v_mov_b32_e32 v3, v4
	s_lshl_b64 s[4:5], s[16:17], 4
	v_lshlrev_b64 v[2:3], 4, v[2:3]
	s_waitcnt lgkmcnt(0)
	s_add_u32 s0, s0, s4
	s_addc_u32 s1, s1, s5
	v_add_co_u32_e32 v6, vcc, s0, v2
	s_ashr_i32 s0, s13, 31
	v_mov_b32_e32 v4, s1
	s_mul_i32 s0, s18, s0
	s_mul_hi_u32 s1, s18, s13
	s_add_i32 s0, s1, s0
	s_mul_i32 s1, s19, s13
	s_add_i32 s1, s0, s1
	s_mul_i32 s0, s18, s13
	v_addc_co_u32_e32 v7, vcc, v4, v3, vcc
	s_lshl_b64 s[10:11], s[0:1], 4
	v_pk_mov_b32 v[2:3], 0, 0
	v_or_b32_e32 v1, s13, v0
	s_mov_b64 s[4:5], 0
	v_mov_b32_e32 v8, s11
	s_mov_b32 s11, s3
	v_pk_mov_b32 v[4:5], v[2:3], v[2:3] op_sel:[0,1]
.LBB266_2:                              ; =>This Inner Loop Header: Depth=1
	global_load_dwordx4 v[10:13], v[6:7], off
	s_add_i32 s14, s11, 1
	v_add_co_u32_e64 v6, s[0:1], s10, v6
	v_addc_co_u32_e64 v7, s[0:1], v7, v8, s[0:1]
	s_cmp_gt_u32 s11, 30
	v_cmp_le_i32_e32 vcc, s12, v1
	s_cselect_b64 s[0:1], -1, 0
	s_or_b64 s[0:1], s[0:1], vcc
	s_and_b64 s[0:1], exec, s[0:1]
	v_add_u32_e32 v1, s13, v1
	s_mov_b32 s11, s14
	s_or_b64 s[4:5], s[0:1], s[4:5]
	s_waitcnt vmcnt(0)
	v_mul_f64 v[14:15], v[12:13], v[12:13]
	v_mul_f64 v[16:17], v[10:11], v[12:13]
	v_fmac_f64_e32 v[14:15], v[10:11], v[10:11]
	v_fma_f64 v[10:11], v[10:11], v[12:13], -v[16:17]
	v_add_f64 v[4:5], v[4:5], v[14:15]
	v_add_f64 v[2:3], v[2:3], v[10:11]
	s_andn2_b64 exec, exec, s[4:5]
	s_cbranch_execnz .LBB266_2
; %bb.3:
	s_or_b64 exec, exec, s[4:5]
.LBB266_4:
	s_or_b64 exec, exec, s[8:9]
	v_and_b32_e32 v13, 63, v0
	v_cmp_gt_u32_e32 vcc, 64, v0
	v_lshlrev_b32_e32 v1, 4, v13
	s_and_saveexec_b64 s[0:1], vcc
	s_cbranch_execz .LBB266_6
; %bb.5:
	v_mov_b32_e32 v6, 0
	v_mov_b32_e32 v7, v6
	;; [unrolled: 1-line block ×4, first 2 shown]
	ds_write_b128 v1, v[6:9]
.LBB266_6:
	s_or_b64 exec, exec, s[0:1]
	v_mbcnt_lo_u32_b32 v6, -1, 0
	v_mbcnt_hi_u32_b32 v14, -1, v6
	v_and_b32_e32 v15, 63, v14
	v_cmp_gt_u32_e64 s[0:1], 32, v15
	v_cndmask_b32_e64 v6, 0, 1, s[0:1]
	v_lshlrev_b32_e32 v6, 5, v6
	v_add_lshl_u32 v9, v6, v14, 2
	ds_bpermute_b32 v6, v9, v4
	ds_bpermute_b32 v7, v9, v5
	;; [unrolled: 1-line block ×4, first 2 shown]
	v_cmp_gt_u32_e64 s[0:1], 48, v15
	s_waitcnt lgkmcnt(0)
	v_add_f64 v[4:5], v[4:5], v[6:7]
	v_cndmask_b32_e64 v6, 0, 1, s[0:1]
	v_lshlrev_b32_e32 v6, 4, v6
	v_add_f64 v[2:3], v[2:3], v[8:9]
	v_add_lshl_u32 v9, v6, v14, 2
	ds_bpermute_b32 v6, v9, v4
	ds_bpermute_b32 v7, v9, v5
	;; [unrolled: 1-line block ×4, first 2 shown]
	v_cmp_gt_u32_e64 s[0:1], 56, v15
	s_barrier
	s_waitcnt lgkmcnt(2)
	v_add_f64 v[4:5], v[4:5], v[6:7]
	v_cndmask_b32_e64 v6, 0, 1, s[0:1]
	v_lshlrev_b32_e32 v6, 3, v6
	v_add_lshl_u32 v10, v6, v14, 2
	ds_bpermute_b32 v6, v10, v4
	ds_bpermute_b32 v7, v10, v5
	s_waitcnt lgkmcnt(2)
	v_add_f64 v[2:3], v[2:3], v[8:9]
	ds_bpermute_b32 v8, v10, v2
	ds_bpermute_b32 v9, v10, v3
	v_cmp_gt_u32_e64 s[0:1], 60, v15
	s_waitcnt lgkmcnt(2)
	v_add_f64 v[4:5], v[4:5], v[6:7]
	v_cndmask_b32_e64 v6, 0, 1, s[0:1]
	v_lshlrev_b32_e32 v6, 2, v6
	s_waitcnt lgkmcnt(0)
	v_add_f64 v[2:3], v[2:3], v[8:9]
	v_add_lshl_u32 v11, v6, v14, 2
	ds_bpermute_b32 v6, v11, v4
	ds_bpermute_b32 v7, v11, v5
	;; [unrolled: 1-line block ×4, first 2 shown]
	v_cmp_gt_u32_e64 s[0:1], 62, v15
	s_waitcnt lgkmcnt(0)
	v_add_f64 v[4:5], v[4:5], v[6:7]
	v_add_f64 v[6:7], v[2:3], v[8:9]
	v_cndmask_b32_e64 v2, 0, 1, s[0:1]
	v_lshlrev_b32_e32 v2, 1, v2
	v_add_lshl_u32 v12, v2, v14, 2
	ds_bpermute_b32 v2, v12, v4
	ds_bpermute_b32 v3, v12, v5
	;; [unrolled: 1-line block ×4, first 2 shown]
	v_cmp_ne_u32_e64 s[0:1], 63, v15
	s_waitcnt lgkmcnt(2)
	v_add_f64 v[2:3], v[4:5], v[2:3]
	v_addc_co_u32_e64 v4, s[0:1], 0, v14, s[0:1]
	s_waitcnt lgkmcnt(0)
	v_add_f64 v[6:7], v[6:7], v[8:9]
	v_lshlrev_b32_e32 v14, 2, v4
	ds_bpermute_b32 v4, v14, v2
	ds_bpermute_b32 v5, v14, v3
	;; [unrolled: 1-line block ×4, first 2 shown]
	v_cmp_eq_u32_e64 s[0:1], 0, v13
	s_and_saveexec_b64 s[4:5], s[0:1]
	s_cbranch_execz .LBB266_8
; %bb.7:
	v_lshrrev_b32_e32 v13, 2, v0
	v_and_b32_e32 v13, 0xf0, v13
	s_waitcnt lgkmcnt(0)
	v_add_f64 v[6:7], v[6:7], v[8:9]
	v_add_f64 v[4:5], v[2:3], v[4:5]
	ds_write_b128 v13, v[4:7]
.LBB266_8:
	s_or_b64 exec, exec, s[4:5]
	s_waitcnt lgkmcnt(2)
	v_pk_mov_b32 v[4:5], 0, 0
	v_cmp_gt_u32_e64 s[0:1], 16, v0
	v_pk_mov_b32 v[2:3], v[4:5], v[4:5] op_sel:[0,1]
	s_waitcnt lgkmcnt(0)
	s_barrier
	s_and_saveexec_b64 s[4:5], s[0:1]
	s_cbranch_execnz .LBB266_12
; %bb.9:
	s_or_b64 exec, exec, s[4:5]
	s_and_saveexec_b64 s[0:1], vcc
	s_cbranch_execnz .LBB266_13
.LBB266_10:
	s_or_b64 exec, exec, s[0:1]
	v_cmp_eq_u32_e32 vcc, 0, v0
	s_and_saveexec_b64 s[0:1], vcc
	s_cbranch_execnz .LBB266_14
.LBB266_11:
	s_endpgm
.LBB266_12:
	ds_read_b128 v[2:5], v1
	s_or_b64 exec, exec, s[4:5]
	s_and_saveexec_b64 s[0:1], vcc
	s_cbranch_execz .LBB266_10
.LBB266_13:
	s_waitcnt lgkmcnt(0)
	ds_bpermute_b32 v6, v10, v2
	ds_bpermute_b32 v7, v10, v3
	;; [unrolled: 1-line block ×4, first 2 shown]
	s_waitcnt lgkmcnt(2)
	v_add_f64 v[2:3], v[2:3], v[6:7]
	ds_bpermute_b32 v6, v11, v2
	s_waitcnt lgkmcnt(1)
	v_add_f64 v[4:5], v[4:5], v[8:9]
	ds_bpermute_b32 v7, v11, v3
	ds_bpermute_b32 v8, v11, v4
	ds_bpermute_b32 v9, v11, v5
	s_waitcnt lgkmcnt(2)
	v_add_f64 v[2:3], v[2:3], v[6:7]
	ds_bpermute_b32 v6, v12, v2
	s_waitcnt lgkmcnt(1)
	v_add_f64 v[4:5], v[4:5], v[8:9]
	ds_bpermute_b32 v7, v12, v3
	ds_bpermute_b32 v8, v12, v4
	ds_bpermute_b32 v9, v12, v5
	;; [unrolled: 8-line block ×3, first 2 shown]
	s_waitcnt lgkmcnt(2)
	v_add_f64 v[2:3], v[2:3], v[6:7]
	s_waitcnt lgkmcnt(0)
	v_add_f64 v[4:5], v[4:5], v[8:9]
	s_or_b64 exec, exec, s[0:1]
	v_cmp_eq_u32_e32 vcc, 0, v0
	s_and_saveexec_b64 s[0:1], vcc
	s_cbranch_execz .LBB266_11
.LBB266_14:
	s_lshl_b64 s[0:1], s[2:3], 4
	s_add_u32 s0, s6, s0
	s_addc_u32 s1, s7, s1
	v_mov_b32_e32 v0, 0
	s_waitcnt lgkmcnt(0)
	global_store_dwordx4 v0, v[2:5], s[0:1]
	s_endpgm
	.section	.rodata,"a",@progbits
	.p2align	6, 0x0
	.amdhsa_kernel _ZL24rocblas_dot_kernel_magsqIlLb1ELi1024ELi32ELb1E19rocblas_complex_numIdEPKPKS1_S1_EviT5_lT_liPT6_PT4_
		.amdhsa_group_segment_fixed_size 1024
		.amdhsa_private_segment_fixed_size 0
		.amdhsa_kernarg_size 320
		.amdhsa_user_sgpr_count 6
		.amdhsa_user_sgpr_private_segment_buffer 1
		.amdhsa_user_sgpr_dispatch_ptr 0
		.amdhsa_user_sgpr_queue_ptr 0
		.amdhsa_user_sgpr_kernarg_segment_ptr 1
		.amdhsa_user_sgpr_dispatch_id 0
		.amdhsa_user_sgpr_flat_scratch_init 0
		.amdhsa_user_sgpr_kernarg_preload_length 0
		.amdhsa_user_sgpr_kernarg_preload_offset 0
		.amdhsa_user_sgpr_private_segment_size 0
		.amdhsa_uses_dynamic_stack 0
		.amdhsa_system_sgpr_private_segment_wavefront_offset 0
		.amdhsa_system_sgpr_workgroup_id_x 1
		.amdhsa_system_sgpr_workgroup_id_y 0
		.amdhsa_system_sgpr_workgroup_id_z 1
		.amdhsa_system_sgpr_workgroup_info 0
		.amdhsa_system_vgpr_workitem_id 0
		.amdhsa_next_free_vgpr 18
		.amdhsa_next_free_sgpr 20
		.amdhsa_accum_offset 20
		.amdhsa_reserve_vcc 1
		.amdhsa_reserve_flat_scratch 0
		.amdhsa_float_round_mode_32 0
		.amdhsa_float_round_mode_16_64 0
		.amdhsa_float_denorm_mode_32 3
		.amdhsa_float_denorm_mode_16_64 3
		.amdhsa_dx10_clamp 1
		.amdhsa_ieee_mode 1
		.amdhsa_fp16_overflow 0
		.amdhsa_tg_split 0
		.amdhsa_exception_fp_ieee_invalid_op 0
		.amdhsa_exception_fp_denorm_src 0
		.amdhsa_exception_fp_ieee_div_zero 0
		.amdhsa_exception_fp_ieee_overflow 0
		.amdhsa_exception_fp_ieee_underflow 0
		.amdhsa_exception_fp_ieee_inexact 0
		.amdhsa_exception_int_div_zero 0
	.end_amdhsa_kernel
	.section	.text._ZL24rocblas_dot_kernel_magsqIlLb1ELi1024ELi32ELb1E19rocblas_complex_numIdEPKPKS1_S1_EviT5_lT_liPT6_PT4_,"axG",@progbits,_ZL24rocblas_dot_kernel_magsqIlLb1ELi1024ELi32ELb1E19rocblas_complex_numIdEPKPKS1_S1_EviT5_lT_liPT6_PT4_,comdat
.Lfunc_end266:
	.size	_ZL24rocblas_dot_kernel_magsqIlLb1ELi1024ELi32ELb1E19rocblas_complex_numIdEPKPKS1_S1_EviT5_lT_liPT6_PT4_, .Lfunc_end266-_ZL24rocblas_dot_kernel_magsqIlLb1ELi1024ELi32ELb1E19rocblas_complex_numIdEPKPKS1_S1_EviT5_lT_liPT6_PT4_
                                        ; -- End function
	.section	.AMDGPU.csdata,"",@progbits
; Kernel info:
; codeLenInByte = 1324
; NumSgprs: 24
; NumVgprs: 18
; NumAgprs: 0
; TotalNumVgprs: 18
; ScratchSize: 0
; MemoryBound: 0
; FloatMode: 240
; IeeeMode: 1
; LDSByteSize: 1024 bytes/workgroup (compile time only)
; SGPRBlocks: 2
; VGPRBlocks: 2
; NumSGPRsForWavesPerEU: 24
; NumVGPRsForWavesPerEU: 18
; AccumOffset: 20
; Occupancy: 8
; WaveLimiterHint : 0
; COMPUTE_PGM_RSRC2:SCRATCH_EN: 0
; COMPUTE_PGM_RSRC2:USER_SGPR: 6
; COMPUTE_PGM_RSRC2:TRAP_HANDLER: 0
; COMPUTE_PGM_RSRC2:TGID_X_EN: 1
; COMPUTE_PGM_RSRC2:TGID_Y_EN: 0
; COMPUTE_PGM_RSRC2:TGID_Z_EN: 1
; COMPUTE_PGM_RSRC2:TIDIG_COMP_CNT: 0
; COMPUTE_PGM_RSRC3_GFX90A:ACCUM_OFFSET: 4
; COMPUTE_PGM_RSRC3_GFX90A:TG_SPLIT: 0
	.section	.text._ZL18rocblas_dot_kernelIlLb0ELi512ELi2ELb1E19rocblas_complex_numIdEPKPKS1_S1_EviT5_lT_lS6_lS7_liPT6_PT4_,"axG",@progbits,_ZL18rocblas_dot_kernelIlLb0ELi512ELi2ELb1E19rocblas_complex_numIdEPKPKS1_S1_EviT5_lT_lS6_lS7_liPT6_PT4_,comdat
	.globl	_ZL18rocblas_dot_kernelIlLb0ELi512ELi2ELb1E19rocblas_complex_numIdEPKPKS1_S1_EviT5_lT_lS6_lS7_liPT6_PT4_ ; -- Begin function _ZL18rocblas_dot_kernelIlLb0ELi512ELi2ELb1E19rocblas_complex_numIdEPKPKS1_S1_EviT5_lT_lS6_lS7_liPT6_PT4_
	.p2align	8
	.type	_ZL18rocblas_dot_kernelIlLb0ELi512ELi2ELb1E19rocblas_complex_numIdEPKPKS1_S1_EviT5_lT_lS6_lS7_liPT6_PT4_,@function
_ZL18rocblas_dot_kernelIlLb0ELi512ELi2ELb1E19rocblas_complex_numIdEPKPKS1_S1_EviT5_lT_lS6_lS7_liPT6_PT4_: ; @_ZL18rocblas_dot_kernelIlLb0ELi512ELi2ELb1E19rocblas_complex_numIdEPKPKS1_S1_EviT5_lT_lS6_lS7_liPT6_PT4_
; %bb.0:
	s_mov_b32 s12, s7
	s_load_dword s7, s[4:5], 0x0
	s_load_dword s16, s[4:5], 0x60
	v_lshl_or_b32 v1, s6, 9, v0
	v_pk_mov_b32 v[4:5], 0, 0
	s_mov_b32 s13, 0
	s_waitcnt lgkmcnt(0)
	v_cmp_gt_i32_e32 vcc, s7, v1
	v_pk_mov_b32 v[2:3], v[4:5], v[4:5] op_sel:[0,1]
	s_and_saveexec_b64 s[14:15], vcc
	s_cbranch_execz .LBB267_4
; %bb.1:
	s_load_dwordx2 s[18:19], s[4:5], 0x8
	s_load_dwordx4 s[0:3], s[4:5], 0x10
	s_load_dwordx2 s[20:21], s[4:5], 0x28
	s_load_dwordx4 s[8:11], s[4:5], 0x30
	s_lshl_b64 s[22:23], s[12:13], 3
	s_waitcnt lgkmcnt(0)
	s_add_u32 s18, s18, s22
	s_addc_u32 s19, s19, s23
	s_load_dwordx2 s[18:19], s[18:19], 0x0
	s_lshl_b64 s[0:1], s[0:1], 4
	v_ashrrev_i32_e32 v4, 31, v1
	v_mul_lo_u32 v5, v1, s11
	v_mul_lo_u32 v6, v4, s10
	s_waitcnt lgkmcnt(0)
	s_add_u32 s17, s18, s0
	s_addc_u32 s18, s19, s1
	s_add_u32 s0, s20, s22
	s_addc_u32 s1, s21, s23
	s_load_dwordx2 s[0:1], s[0:1], 0x0
	v_mad_u64_u32 v[2:3], s[20:21], v1, s10, 0
	s_lshl_b64 s[8:9], s[8:9], 4
	v_add3_u32 v3, v3, v5, v6
	s_waitcnt lgkmcnt(0)
	s_add_u32 s8, s0, s8
	s_addc_u32 s9, s1, s9
	v_lshlrev_b64 v[2:3], 4, v[2:3]
	v_mov_b32_e32 v5, s9
	v_add_co_u32_e32 v10, vcc, s8, v2
	v_addc_co_u32_e32 v11, vcc, v5, v3, vcc
	v_mul_lo_u32 v5, v1, s3
	v_mul_lo_u32 v4, v4, s2
	v_mad_u64_u32 v[2:3], s[0:1], v1, s2, 0
	v_add3_u32 v3, v3, v5, v4
	v_lshlrev_b64 v[2:3], 4, v[2:3]
	v_mov_b32_e32 v1, s18
	v_add_co_u32_e32 v12, vcc, s17, v2
	v_addc_co_u32_e32 v13, vcc, v1, v3, vcc
	global_load_dwordx4 v[2:5], v[12:13], off
	global_load_dwordx4 v[6:9], v[10:11], off
	s_add_i32 s0, s6, s16
	v_lshl_or_b32 v1, s0, 9, v0
	v_cmp_gt_i32_e32 vcc, s7, v1
	s_waitcnt vmcnt(0)
	v_mul_f64 v[10:11], v[8:9], v[4:5]
	v_mul_f64 v[4:5], v[6:7], v[4:5]
	v_fmac_f64_e32 v[10:11], v[6:7], v[2:3]
	v_fma_f64 v[2:3], v[8:9], v[2:3], -v[4:5]
	v_add_f64 v[4:5], v[10:11], 0
	v_add_f64 v[2:3], v[2:3], 0
	s_and_saveexec_b64 s[0:1], vcc
	s_cbranch_execz .LBB267_3
; %bb.2:
	v_ashrrev_i32_e32 v10, 31, v1
	v_mul_lo_u32 v8, v1, s11
	v_mul_lo_u32 v9, v10, s10
	v_mad_u64_u32 v[6:7], s[10:11], v1, s10, 0
	v_add3_u32 v7, v7, v8, v9
	v_lshlrev_b64 v[6:7], 4, v[6:7]
	v_mul_lo_u32 v12, v1, s3
	v_mul_lo_u32 v13, v10, s2
	v_mad_u64_u32 v[10:11], s[2:3], v1, s2, 0
	v_mov_b32_e32 v8, s9
	v_add_co_u32_e32 v6, vcc, s8, v6
	v_add3_u32 v11, v11, v12, v13
	v_addc_co_u32_e32 v7, vcc, v8, v7, vcc
	v_lshlrev_b64 v[10:11], 4, v[10:11]
	v_mov_b32_e32 v1, s18
	v_add_co_u32_e32 v10, vcc, s17, v10
	v_addc_co_u32_e32 v11, vcc, v1, v11, vcc
	global_load_dwordx4 v[6:9], v[6:7], off
	s_nop 0
	global_load_dwordx4 v[10:13], v[10:11], off
	s_waitcnt vmcnt(0)
	v_mul_f64 v[14:15], v[6:7], v[12:13]
	v_mul_f64 v[12:13], v[8:9], v[12:13]
	v_fma_f64 v[8:9], v[8:9], v[10:11], -v[14:15]
	v_fmac_f64_e32 v[12:13], v[6:7], v[10:11]
	v_add_f64 v[2:3], v[2:3], v[8:9]
	v_add_f64 v[4:5], v[4:5], v[12:13]
.LBB267_3:
	s_or_b64 exec, exec, s[0:1]
.LBB267_4:
	s_or_b64 exec, exec, s[14:15]
	v_and_b32_e32 v10, 63, v0
	v_cmp_gt_u32_e32 vcc, 64, v0
	v_lshlrev_b32_e32 v1, 4, v10
	s_and_saveexec_b64 s[0:1], vcc
	s_cbranch_execz .LBB267_6
; %bb.5:
	v_mov_b32_e32 v6, 0
	v_mov_b32_e32 v7, v6
	;; [unrolled: 1-line block ×4, first 2 shown]
	ds_write_b128 v1, v[6:9]
.LBB267_6:
	s_or_b64 exec, exec, s[0:1]
	v_mbcnt_lo_u32_b32 v6, -1, 0
	v_mbcnt_hi_u32_b32 v13, -1, v6
	v_and_b32_e32 v14, 63, v13
	v_cmp_gt_u32_e64 s[0:1], 32, v14
	v_cndmask_b32_e64 v6, 0, 1, s[0:1]
	v_lshlrev_b32_e32 v6, 5, v6
	v_add_lshl_u32 v9, v6, v13, 2
	ds_bpermute_b32 v6, v9, v4
	ds_bpermute_b32 v7, v9, v5
	;; [unrolled: 1-line block ×4, first 2 shown]
	v_cmp_gt_u32_e64 s[0:1], 48, v14
	s_waitcnt lgkmcnt(0)
	v_add_f64 v[4:5], v[4:5], v[6:7]
	v_cndmask_b32_e64 v6, 0, 1, s[0:1]
	v_lshlrev_b32_e32 v6, 4, v6
	v_add_f64 v[2:3], v[2:3], v[8:9]
	v_add_lshl_u32 v9, v6, v13, 2
	ds_bpermute_b32 v6, v9, v4
	ds_bpermute_b32 v7, v9, v5
	;; [unrolled: 1-line block ×4, first 2 shown]
	v_cmp_gt_u32_e64 s[0:1], 56, v14
	s_barrier
	s_waitcnt lgkmcnt(2)
	v_add_f64 v[4:5], v[4:5], v[6:7]
	v_cndmask_b32_e64 v6, 0, 1, s[0:1]
	v_lshlrev_b32_e32 v6, 3, v6
	s_waitcnt lgkmcnt(0)
	v_add_f64 v[2:3], v[2:3], v[8:9]
	v_add_lshl_u32 v9, v6, v13, 2
	ds_bpermute_b32 v6, v9, v4
	ds_bpermute_b32 v7, v9, v5
	;; [unrolled: 1-line block ×4, first 2 shown]
	v_cmp_gt_u32_e64 s[0:1], 60, v14
	s_waitcnt lgkmcnt(0)
	v_add_f64 v[4:5], v[4:5], v[6:7]
	v_cndmask_b32_e64 v6, 0, 1, s[0:1]
	v_lshlrev_b32_e32 v6, 2, v6
	v_add_f64 v[2:3], v[2:3], v[8:9]
	v_add_lshl_u32 v11, v6, v13, 2
	ds_bpermute_b32 v6, v11, v4
	ds_bpermute_b32 v7, v11, v5
	ds_bpermute_b32 v8, v11, v2
	ds_bpermute_b32 v9, v11, v3
	v_cmp_gt_u32_e64 s[0:1], 62, v14
	s_waitcnt lgkmcnt(2)
	v_add_f64 v[4:5], v[4:5], v[6:7]
	s_waitcnt lgkmcnt(0)
	v_add_f64 v[6:7], v[2:3], v[8:9]
	v_cndmask_b32_e64 v2, 0, 1, s[0:1]
	v_lshlrev_b32_e32 v2, 1, v2
	v_add_lshl_u32 v12, v2, v13, 2
	ds_bpermute_b32 v2, v12, v4
	ds_bpermute_b32 v3, v12, v5
	;; [unrolled: 1-line block ×4, first 2 shown]
	v_cmp_ne_u32_e64 s[0:1], 63, v14
	s_waitcnt lgkmcnt(2)
	v_add_f64 v[2:3], v[4:5], v[2:3]
	v_addc_co_u32_e64 v4, s[0:1], 0, v13, s[0:1]
	s_waitcnt lgkmcnt(0)
	v_add_f64 v[6:7], v[6:7], v[8:9]
	v_lshlrev_b32_e32 v13, 2, v4
	ds_bpermute_b32 v4, v13, v2
	ds_bpermute_b32 v5, v13, v3
	;; [unrolled: 1-line block ×4, first 2 shown]
	v_cmp_eq_u32_e64 s[0:1], 0, v10
	s_and_saveexec_b64 s[2:3], s[0:1]
	s_cbranch_execz .LBB267_8
; %bb.7:
	v_lshrrev_b32_e32 v10, 2, v0
	v_and_b32_e32 v10, 0x70, v10
	s_waitcnt lgkmcnt(0)
	v_add_f64 v[6:7], v[6:7], v[8:9]
	v_add_f64 v[4:5], v[2:3], v[4:5]
	ds_write_b128 v10, v[4:7]
.LBB267_8:
	s_or_b64 exec, exec, s[2:3]
	s_waitcnt lgkmcnt(2)
	v_pk_mov_b32 v[4:5], 0, 0
	v_cmp_gt_u32_e64 s[0:1], 8, v0
	v_pk_mov_b32 v[2:3], v[4:5], v[4:5] op_sel:[0,1]
	s_waitcnt lgkmcnt(0)
	s_barrier
	s_and_saveexec_b64 s[2:3], s[0:1]
	s_cbranch_execnz .LBB267_12
; %bb.9:
	s_or_b64 exec, exec, s[2:3]
	s_and_saveexec_b64 s[0:1], vcc
	s_cbranch_execnz .LBB267_13
.LBB267_10:
	s_or_b64 exec, exec, s[0:1]
	v_cmp_eq_u32_e32 vcc, 0, v0
	s_and_saveexec_b64 s[0:1], vcc
	s_cbranch_execnz .LBB267_14
.LBB267_11:
	s_endpgm
.LBB267_12:
	ds_read_b128 v[2:5], v1
	s_or_b64 exec, exec, s[2:3]
	s_and_saveexec_b64 s[0:1], vcc
	s_cbranch_execz .LBB267_10
.LBB267_13:
	s_waitcnt lgkmcnt(0)
	ds_bpermute_b32 v6, v11, v2
	ds_bpermute_b32 v7, v11, v3
	;; [unrolled: 1-line block ×4, first 2 shown]
	s_waitcnt lgkmcnt(2)
	v_add_f64 v[2:3], v[2:3], v[6:7]
	ds_bpermute_b32 v6, v12, v2
	s_waitcnt lgkmcnt(1)
	v_add_f64 v[4:5], v[4:5], v[8:9]
	ds_bpermute_b32 v7, v12, v3
	ds_bpermute_b32 v8, v12, v4
	;; [unrolled: 1-line block ×3, first 2 shown]
	s_waitcnt lgkmcnt(2)
	v_add_f64 v[2:3], v[2:3], v[6:7]
	ds_bpermute_b32 v6, v13, v2
	s_waitcnt lgkmcnt(1)
	v_add_f64 v[4:5], v[4:5], v[8:9]
	ds_bpermute_b32 v7, v13, v3
	ds_bpermute_b32 v8, v13, v4
	;; [unrolled: 1-line block ×3, first 2 shown]
	s_waitcnt lgkmcnt(2)
	v_add_f64 v[2:3], v[2:3], v[6:7]
	s_waitcnt lgkmcnt(0)
	v_add_f64 v[4:5], v[4:5], v[8:9]
	s_or_b64 exec, exec, s[0:1]
	v_cmp_eq_u32_e32 vcc, 0, v0
	s_and_saveexec_b64 s[0:1], vcc
	s_cbranch_execz .LBB267_11
.LBB267_14:
	s_cmp_lg_u32 s16, 1
	s_cbranch_scc0 .LBB267_16
; %bb.15:
	s_load_dwordx2 s[0:1], s[4:5], 0x50
	s_mul_hi_u32 s3, s16, s12
	s_mul_i32 s2, s16, s12
	s_lshl_b64 s[2:3], s[2:3], 4
	s_mov_b32 s7, 0
	s_waitcnt lgkmcnt(0)
	s_add_u32 s2, s0, s2
	s_addc_u32 s3, s1, s3
	s_lshl_b64 s[0:1], s[6:7], 4
	s_add_u32 s0, s2, s0
	s_addc_u32 s1, s3, s1
	s_cbranch_execz .LBB267_17
	s_branch .LBB267_18
.LBB267_16:
                                        ; implicit-def: $sgpr0_sgpr1
.LBB267_17:
	s_load_dwordx2 s[0:1], s[4:5], 0x58
	s_lshl_b64 s[2:3], s[12:13], 4
	s_waitcnt lgkmcnt(0)
	s_add_u32 s0, s0, s2
	s_addc_u32 s1, s1, s3
.LBB267_18:
	v_mov_b32_e32 v0, 0
	s_waitcnt lgkmcnt(0)
	global_store_dwordx4 v0, v[2:5], s[0:1]
	s_endpgm
	.section	.rodata,"a",@progbits
	.p2align	6, 0x0
	.amdhsa_kernel _ZL18rocblas_dot_kernelIlLb0ELi512ELi2ELb1E19rocblas_complex_numIdEPKPKS1_S1_EviT5_lT_lS6_lS7_liPT6_PT4_
		.amdhsa_group_segment_fixed_size 1024
		.amdhsa_private_segment_fixed_size 0
		.amdhsa_kernarg_size 352
		.amdhsa_user_sgpr_count 6
		.amdhsa_user_sgpr_private_segment_buffer 1
		.amdhsa_user_sgpr_dispatch_ptr 0
		.amdhsa_user_sgpr_queue_ptr 0
		.amdhsa_user_sgpr_kernarg_segment_ptr 1
		.amdhsa_user_sgpr_dispatch_id 0
		.amdhsa_user_sgpr_flat_scratch_init 0
		.amdhsa_user_sgpr_kernarg_preload_length 0
		.amdhsa_user_sgpr_kernarg_preload_offset 0
		.amdhsa_user_sgpr_private_segment_size 0
		.amdhsa_uses_dynamic_stack 0
		.amdhsa_system_sgpr_private_segment_wavefront_offset 0
		.amdhsa_system_sgpr_workgroup_id_x 1
		.amdhsa_system_sgpr_workgroup_id_y 0
		.amdhsa_system_sgpr_workgroup_id_z 1
		.amdhsa_system_sgpr_workgroup_info 0
		.amdhsa_system_vgpr_workitem_id 0
		.amdhsa_next_free_vgpr 16
		.amdhsa_next_free_sgpr 24
		.amdhsa_accum_offset 16
		.amdhsa_reserve_vcc 1
		.amdhsa_reserve_flat_scratch 0
		.amdhsa_float_round_mode_32 0
		.amdhsa_float_round_mode_16_64 0
		.amdhsa_float_denorm_mode_32 3
		.amdhsa_float_denorm_mode_16_64 3
		.amdhsa_dx10_clamp 1
		.amdhsa_ieee_mode 1
		.amdhsa_fp16_overflow 0
		.amdhsa_tg_split 0
		.amdhsa_exception_fp_ieee_invalid_op 0
		.amdhsa_exception_fp_denorm_src 0
		.amdhsa_exception_fp_ieee_div_zero 0
		.amdhsa_exception_fp_ieee_overflow 0
		.amdhsa_exception_fp_ieee_underflow 0
		.amdhsa_exception_fp_ieee_inexact 0
		.amdhsa_exception_int_div_zero 0
	.end_amdhsa_kernel
	.section	.text._ZL18rocblas_dot_kernelIlLb0ELi512ELi2ELb1E19rocblas_complex_numIdEPKPKS1_S1_EviT5_lT_lS6_lS7_liPT6_PT4_,"axG",@progbits,_ZL18rocblas_dot_kernelIlLb0ELi512ELi2ELb1E19rocblas_complex_numIdEPKPKS1_S1_EviT5_lT_lS6_lS7_liPT6_PT4_,comdat
.Lfunc_end267:
	.size	_ZL18rocblas_dot_kernelIlLb0ELi512ELi2ELb1E19rocblas_complex_numIdEPKPKS1_S1_EviT5_lT_lS6_lS7_liPT6_PT4_, .Lfunc_end267-_ZL18rocblas_dot_kernelIlLb0ELi512ELi2ELb1E19rocblas_complex_numIdEPKPKS1_S1_EviT5_lT_lS6_lS7_liPT6_PT4_
                                        ; -- End function
	.section	.AMDGPU.csdata,"",@progbits
; Kernel info:
; codeLenInByte = 1536
; NumSgprs: 28
; NumVgprs: 16
; NumAgprs: 0
; TotalNumVgprs: 16
; ScratchSize: 0
; MemoryBound: 0
; FloatMode: 240
; IeeeMode: 1
; LDSByteSize: 1024 bytes/workgroup (compile time only)
; SGPRBlocks: 3
; VGPRBlocks: 1
; NumSGPRsForWavesPerEU: 28
; NumVGPRsForWavesPerEU: 16
; AccumOffset: 16
; Occupancy: 8
; WaveLimiterHint : 1
; COMPUTE_PGM_RSRC2:SCRATCH_EN: 0
; COMPUTE_PGM_RSRC2:USER_SGPR: 6
; COMPUTE_PGM_RSRC2:TRAP_HANDLER: 0
; COMPUTE_PGM_RSRC2:TGID_X_EN: 1
; COMPUTE_PGM_RSRC2:TGID_Y_EN: 0
; COMPUTE_PGM_RSRC2:TGID_Z_EN: 1
; COMPUTE_PGM_RSRC2:TIDIG_COMP_CNT: 0
; COMPUTE_PGM_RSRC3_GFX90A:ACCUM_OFFSET: 3
; COMPUTE_PGM_RSRC3_GFX90A:TG_SPLIT: 0
	.section	.text._ZL24rocblas_dot_kernel_magsqIlLb0ELi512ELi2ELb1E19rocblas_complex_numIdEPKPKS1_S1_EviT5_lT_liPT6_PT4_,"axG",@progbits,_ZL24rocblas_dot_kernel_magsqIlLb0ELi512ELi2ELb1E19rocblas_complex_numIdEPKPKS1_S1_EviT5_lT_liPT6_PT4_,comdat
	.globl	_ZL24rocblas_dot_kernel_magsqIlLb0ELi512ELi2ELb1E19rocblas_complex_numIdEPKPKS1_S1_EviT5_lT_liPT6_PT4_ ; -- Begin function _ZL24rocblas_dot_kernel_magsqIlLb0ELi512ELi2ELb1E19rocblas_complex_numIdEPKPKS1_S1_EviT5_lT_liPT6_PT4_
	.p2align	8
	.type	_ZL24rocblas_dot_kernel_magsqIlLb0ELi512ELi2ELb1E19rocblas_complex_numIdEPKPKS1_S1_EviT5_lT_liPT6_PT4_,@function
_ZL24rocblas_dot_kernel_magsqIlLb0ELi512ELi2ELb1E19rocblas_complex_numIdEPKPKS1_S1_EviT5_lT_liPT6_PT4_: ; @_ZL24rocblas_dot_kernel_magsqIlLb0ELi512ELi2ELb1E19rocblas_complex_numIdEPKPKS1_S1_EviT5_lT_liPT6_PT4_
; %bb.0:
	s_mov_b32 s8, s7
	s_load_dword s7, s[4:5], 0x0
	s_load_dword s12, s[4:5], 0x40
	v_lshl_or_b32 v1, s6, 9, v0
	v_pk_mov_b32 v[2:3], 0, 0
	s_mov_b32 s9, 0
	s_waitcnt lgkmcnt(0)
	v_cmp_gt_i32_e32 vcc, s7, v1
	v_pk_mov_b32 v[4:5], v[2:3], v[2:3] op_sel:[0,1]
	s_and_saveexec_b64 s[10:11], vcc
	s_cbranch_execz .LBB268_4
; %bb.1:
	s_load_dwordx2 s[14:15], s[4:5], 0x8
	s_load_dwordx4 s[0:3], s[4:5], 0x10
	s_lshl_b64 s[16:17], s[8:9], 3
	v_ashrrev_i32_e32 v2, 31, v1
	s_waitcnt lgkmcnt(0)
	s_add_u32 s14, s14, s16
	s_addc_u32 s15, s15, s17
	s_load_dwordx2 s[14:15], s[14:15], 0x0
	v_mul_lo_u32 v4, v1, s3
	v_mul_lo_u32 v5, v2, s2
	v_mad_u64_u32 v[2:3], s[16:17], v1, s2, 0
	s_lshl_b64 s[0:1], s[0:1], 4
	s_waitcnt lgkmcnt(0)
	s_add_u32 s13, s14, s0
	v_add3_u32 v3, v3, v4, v5
	s_addc_u32 s14, s15, s1
	v_lshlrev_b64 v[2:3], 4, v[2:3]
	v_mov_b32_e32 v1, s14
	v_add_co_u32_e32 v2, vcc, s13, v2
	v_addc_co_u32_e32 v3, vcc, v1, v3, vcc
	global_load_dwordx4 v[4:7], v[2:3], off
	s_add_i32 s0, s6, s12
	v_lshl_or_b32 v1, s0, 9, v0
	v_cmp_gt_i32_e32 vcc, s7, v1
	s_waitcnt vmcnt(0)
	v_mul_f64 v[2:3], v[6:7], v[6:7]
	v_mul_f64 v[8:9], v[4:5], v[6:7]
	v_fmac_f64_e32 v[2:3], v[4:5], v[4:5]
	v_fma_f64 v[4:5], v[4:5], v[6:7], -v[8:9]
	v_add_f64 v[4:5], v[4:5], 0
	s_and_saveexec_b64 s[0:1], vcc
	s_cbranch_execz .LBB268_3
; %bb.2:
	v_ashrrev_i32_e32 v6, 31, v1
	v_mul_lo_u32 v8, v1, s3
	v_mul_lo_u32 v9, v6, s2
	v_mad_u64_u32 v[6:7], s[2:3], v1, s2, 0
	v_add3_u32 v7, v7, v8, v9
	v_lshlrev_b64 v[6:7], 4, v[6:7]
	v_mov_b32_e32 v1, s14
	v_add_co_u32_e32 v6, vcc, s13, v6
	v_addc_co_u32_e32 v7, vcc, v1, v7, vcc
	global_load_dwordx4 v[6:9], v[6:7], off
	s_waitcnt vmcnt(0)
	v_mul_f64 v[10:11], v[6:7], v[8:9]
	v_mul_f64 v[12:13], v[8:9], v[8:9]
	v_fma_f64 v[8:9], v[6:7], v[8:9], -v[10:11]
	v_fmac_f64_e32 v[12:13], v[6:7], v[6:7]
	v_add_f64 v[4:5], v[4:5], v[8:9]
	v_add_f64 v[2:3], v[2:3], v[12:13]
.LBB268_3:
	s_or_b64 exec, exec, s[0:1]
.LBB268_4:
	s_or_b64 exec, exec, s[10:11]
	v_and_b32_e32 v10, 63, v0
	v_cmp_gt_u32_e32 vcc, 64, v0
	v_lshlrev_b32_e32 v1, 4, v10
	s_and_saveexec_b64 s[0:1], vcc
	s_cbranch_execz .LBB268_6
; %bb.5:
	v_mov_b32_e32 v6, 0
	v_mov_b32_e32 v7, v6
	;; [unrolled: 1-line block ×4, first 2 shown]
	ds_write_b128 v1, v[6:9]
.LBB268_6:
	s_or_b64 exec, exec, s[0:1]
	v_mbcnt_lo_u32_b32 v6, -1, 0
	v_mbcnt_hi_u32_b32 v13, -1, v6
	v_and_b32_e32 v14, 63, v13
	v_cmp_gt_u32_e64 s[0:1], 32, v14
	v_cndmask_b32_e64 v6, 0, 1, s[0:1]
	v_lshlrev_b32_e32 v6, 5, v6
	v_add_lshl_u32 v9, v6, v13, 2
	ds_bpermute_b32 v6, v9, v2
	ds_bpermute_b32 v7, v9, v3
	;; [unrolled: 1-line block ×4, first 2 shown]
	v_cmp_gt_u32_e64 s[0:1], 48, v14
	s_waitcnt lgkmcnt(0)
	v_add_f64 v[2:3], v[2:3], v[6:7]
	v_cndmask_b32_e64 v6, 0, 1, s[0:1]
	v_lshlrev_b32_e32 v6, 4, v6
	v_add_f64 v[4:5], v[4:5], v[8:9]
	v_add_lshl_u32 v9, v6, v13, 2
	ds_bpermute_b32 v6, v9, v2
	ds_bpermute_b32 v7, v9, v3
	;; [unrolled: 1-line block ×4, first 2 shown]
	v_cmp_gt_u32_e64 s[0:1], 56, v14
	s_barrier
	s_waitcnt lgkmcnt(2)
	v_add_f64 v[2:3], v[2:3], v[6:7]
	v_cndmask_b32_e64 v6, 0, 1, s[0:1]
	v_lshlrev_b32_e32 v6, 3, v6
	s_waitcnt lgkmcnt(0)
	v_add_f64 v[4:5], v[4:5], v[8:9]
	v_add_lshl_u32 v9, v6, v13, 2
	ds_bpermute_b32 v6, v9, v2
	ds_bpermute_b32 v7, v9, v3
	;; [unrolled: 1-line block ×4, first 2 shown]
	v_cmp_gt_u32_e64 s[0:1], 60, v14
	s_waitcnt lgkmcnt(0)
	v_add_f64 v[2:3], v[2:3], v[6:7]
	v_cndmask_b32_e64 v6, 0, 1, s[0:1]
	v_lshlrev_b32_e32 v6, 2, v6
	v_add_lshl_u32 v11, v6, v13, 2
	ds_bpermute_b32 v6, v11, v2
	ds_bpermute_b32 v7, v11, v3
	v_add_f64 v[4:5], v[4:5], v[8:9]
	ds_bpermute_b32 v8, v11, v4
	ds_bpermute_b32 v9, v11, v5
	v_cmp_gt_u32_e64 s[0:1], 62, v14
	s_waitcnt lgkmcnt(2)
	v_add_f64 v[2:3], v[2:3], v[6:7]
	v_cndmask_b32_e64 v6, 0, 1, s[0:1]
	v_lshlrev_b32_e32 v6, 1, v6
	s_waitcnt lgkmcnt(0)
	v_add_f64 v[4:5], v[4:5], v[8:9]
	v_add_lshl_u32 v12, v6, v13, 2
	ds_bpermute_b32 v6, v12, v2
	ds_bpermute_b32 v7, v12, v3
	;; [unrolled: 1-line block ×4, first 2 shown]
	v_cmp_ne_u32_e64 s[0:1], 63, v14
	s_waitcnt lgkmcnt(2)
	v_add_f64 v[2:3], v[2:3], v[6:7]
	s_waitcnt lgkmcnt(0)
	v_add_f64 v[6:7], v[4:5], v[8:9]
	v_addc_co_u32_e64 v4, s[0:1], 0, v13, s[0:1]
	v_lshlrev_b32_e32 v13, 2, v4
	ds_bpermute_b32 v4, v13, v2
	ds_bpermute_b32 v5, v13, v3
	;; [unrolled: 1-line block ×4, first 2 shown]
	v_cmp_eq_u32_e64 s[0:1], 0, v10
	s_and_saveexec_b64 s[2:3], s[0:1]
	s_cbranch_execz .LBB268_8
; %bb.7:
	v_lshrrev_b32_e32 v10, 2, v0
	v_and_b32_e32 v10, 0x70, v10
	s_waitcnt lgkmcnt(0)
	v_add_f64 v[6:7], v[6:7], v[8:9]
	v_add_f64 v[4:5], v[2:3], v[4:5]
	ds_write_b128 v10, v[4:7]
.LBB268_8:
	s_or_b64 exec, exec, s[2:3]
	s_waitcnt lgkmcnt(2)
	v_pk_mov_b32 v[4:5], 0, 0
	v_cmp_gt_u32_e64 s[0:1], 8, v0
	v_pk_mov_b32 v[2:3], v[4:5], v[4:5] op_sel:[0,1]
	s_waitcnt lgkmcnt(0)
	s_barrier
	s_and_saveexec_b64 s[2:3], s[0:1]
	s_cbranch_execnz .LBB268_12
; %bb.9:
	s_or_b64 exec, exec, s[2:3]
	s_and_saveexec_b64 s[0:1], vcc
	s_cbranch_execnz .LBB268_13
.LBB268_10:
	s_or_b64 exec, exec, s[0:1]
	v_cmp_eq_u32_e32 vcc, 0, v0
	s_and_saveexec_b64 s[0:1], vcc
	s_cbranch_execnz .LBB268_14
.LBB268_11:
	s_endpgm
.LBB268_12:
	ds_read_b128 v[2:5], v1
	s_or_b64 exec, exec, s[2:3]
	s_and_saveexec_b64 s[0:1], vcc
	s_cbranch_execz .LBB268_10
.LBB268_13:
	s_waitcnt lgkmcnt(0)
	ds_bpermute_b32 v6, v11, v2
	ds_bpermute_b32 v7, v11, v3
	;; [unrolled: 1-line block ×4, first 2 shown]
	s_waitcnt lgkmcnt(2)
	v_add_f64 v[2:3], v[2:3], v[6:7]
	ds_bpermute_b32 v6, v12, v2
	s_waitcnt lgkmcnt(1)
	v_add_f64 v[4:5], v[4:5], v[8:9]
	ds_bpermute_b32 v7, v12, v3
	ds_bpermute_b32 v8, v12, v4
	;; [unrolled: 1-line block ×3, first 2 shown]
	s_waitcnt lgkmcnt(2)
	v_add_f64 v[2:3], v[2:3], v[6:7]
	ds_bpermute_b32 v6, v13, v2
	s_waitcnt lgkmcnt(1)
	v_add_f64 v[4:5], v[4:5], v[8:9]
	ds_bpermute_b32 v7, v13, v3
	ds_bpermute_b32 v8, v13, v4
	;; [unrolled: 1-line block ×3, first 2 shown]
	s_waitcnt lgkmcnt(2)
	v_add_f64 v[2:3], v[2:3], v[6:7]
	s_waitcnt lgkmcnt(0)
	v_add_f64 v[4:5], v[4:5], v[8:9]
	s_or_b64 exec, exec, s[0:1]
	v_cmp_eq_u32_e32 vcc, 0, v0
	s_and_saveexec_b64 s[0:1], vcc
	s_cbranch_execz .LBB268_11
.LBB268_14:
	s_cmp_lg_u32 s12, 1
	s_cbranch_scc0 .LBB268_16
; %bb.15:
	s_load_dwordx2 s[0:1], s[4:5], 0x30
	s_mul_hi_u32 s3, s12, s8
	s_mul_i32 s2, s12, s8
	s_lshl_b64 s[2:3], s[2:3], 4
	s_mov_b32 s7, 0
	s_waitcnt lgkmcnt(0)
	s_add_u32 s2, s0, s2
	s_addc_u32 s3, s1, s3
	s_lshl_b64 s[0:1], s[6:7], 4
	s_add_u32 s0, s2, s0
	s_addc_u32 s1, s3, s1
	s_cbranch_execz .LBB268_17
	s_branch .LBB268_18
.LBB268_16:
                                        ; implicit-def: $sgpr0_sgpr1
.LBB268_17:
	s_load_dwordx2 s[0:1], s[4:5], 0x38
	s_lshl_b64 s[2:3], s[8:9], 4
	s_waitcnt lgkmcnt(0)
	s_add_u32 s0, s0, s2
	s_addc_u32 s1, s1, s3
.LBB268_18:
	v_mov_b32_e32 v0, 0
	s_waitcnt lgkmcnt(0)
	global_store_dwordx4 v0, v[2:5], s[0:1]
	s_endpgm
	.section	.rodata,"a",@progbits
	.p2align	6, 0x0
	.amdhsa_kernel _ZL24rocblas_dot_kernel_magsqIlLb0ELi512ELi2ELb1E19rocblas_complex_numIdEPKPKS1_S1_EviT5_lT_liPT6_PT4_
		.amdhsa_group_segment_fixed_size 1024
		.amdhsa_private_segment_fixed_size 0
		.amdhsa_kernarg_size 320
		.amdhsa_user_sgpr_count 6
		.amdhsa_user_sgpr_private_segment_buffer 1
		.amdhsa_user_sgpr_dispatch_ptr 0
		.amdhsa_user_sgpr_queue_ptr 0
		.amdhsa_user_sgpr_kernarg_segment_ptr 1
		.amdhsa_user_sgpr_dispatch_id 0
		.amdhsa_user_sgpr_flat_scratch_init 0
		.amdhsa_user_sgpr_kernarg_preload_length 0
		.amdhsa_user_sgpr_kernarg_preload_offset 0
		.amdhsa_user_sgpr_private_segment_size 0
		.amdhsa_uses_dynamic_stack 0
		.amdhsa_system_sgpr_private_segment_wavefront_offset 0
		.amdhsa_system_sgpr_workgroup_id_x 1
		.amdhsa_system_sgpr_workgroup_id_y 0
		.amdhsa_system_sgpr_workgroup_id_z 1
		.amdhsa_system_sgpr_workgroup_info 0
		.amdhsa_system_vgpr_workitem_id 0
		.amdhsa_next_free_vgpr 15
		.amdhsa_next_free_sgpr 18
		.amdhsa_accum_offset 16
		.amdhsa_reserve_vcc 1
		.amdhsa_reserve_flat_scratch 0
		.amdhsa_float_round_mode_32 0
		.amdhsa_float_round_mode_16_64 0
		.amdhsa_float_denorm_mode_32 3
		.amdhsa_float_denorm_mode_16_64 3
		.amdhsa_dx10_clamp 1
		.amdhsa_ieee_mode 1
		.amdhsa_fp16_overflow 0
		.amdhsa_tg_split 0
		.amdhsa_exception_fp_ieee_invalid_op 0
		.amdhsa_exception_fp_denorm_src 0
		.amdhsa_exception_fp_ieee_div_zero 0
		.amdhsa_exception_fp_ieee_overflow 0
		.amdhsa_exception_fp_ieee_underflow 0
		.amdhsa_exception_fp_ieee_inexact 0
		.amdhsa_exception_int_div_zero 0
	.end_amdhsa_kernel
	.section	.text._ZL24rocblas_dot_kernel_magsqIlLb0ELi512ELi2ELb1E19rocblas_complex_numIdEPKPKS1_S1_EviT5_lT_liPT6_PT4_,"axG",@progbits,_ZL24rocblas_dot_kernel_magsqIlLb0ELi512ELi2ELb1E19rocblas_complex_numIdEPKPKS1_S1_EviT5_lT_liPT6_PT4_,comdat
.Lfunc_end268:
	.size	_ZL24rocblas_dot_kernel_magsqIlLb0ELi512ELi2ELb1E19rocblas_complex_numIdEPKPKS1_S1_EviT5_lT_liPT6_PT4_, .Lfunc_end268-_ZL24rocblas_dot_kernel_magsqIlLb0ELi512ELi2ELb1E19rocblas_complex_numIdEPKPKS1_S1_EviT5_lT_liPT6_PT4_
                                        ; -- End function
	.section	.AMDGPU.csdata,"",@progbits
; Kernel info:
; codeLenInByte = 1356
; NumSgprs: 22
; NumVgprs: 15
; NumAgprs: 0
; TotalNumVgprs: 15
; ScratchSize: 0
; MemoryBound: 0
; FloatMode: 240
; IeeeMode: 1
; LDSByteSize: 1024 bytes/workgroup (compile time only)
; SGPRBlocks: 2
; VGPRBlocks: 1
; NumSGPRsForWavesPerEU: 22
; NumVGPRsForWavesPerEU: 15
; AccumOffset: 16
; Occupancy: 8
; WaveLimiterHint : 1
; COMPUTE_PGM_RSRC2:SCRATCH_EN: 0
; COMPUTE_PGM_RSRC2:USER_SGPR: 6
; COMPUTE_PGM_RSRC2:TRAP_HANDLER: 0
; COMPUTE_PGM_RSRC2:TGID_X_EN: 1
; COMPUTE_PGM_RSRC2:TGID_Y_EN: 0
; COMPUTE_PGM_RSRC2:TGID_Z_EN: 1
; COMPUTE_PGM_RSRC2:TIDIG_COMP_CNT: 0
; COMPUTE_PGM_RSRC3_GFX90A:ACCUM_OFFSET: 3
; COMPUTE_PGM_RSRC3_GFX90A:TG_SPLIT: 0
	.section	.text._ZL28rocblas_dot_batched_4_kernelIlLi32ELi4ELb1EffPKDF16_EviT5_lT_lS2_lS3_liPT4_,"axG",@progbits,_ZL28rocblas_dot_batched_4_kernelIlLi32ELi4ELb1EffPKDF16_EviT5_lT_lS2_lS3_liPT4_,comdat
	.globl	_ZL28rocblas_dot_batched_4_kernelIlLi32ELi4ELb1EffPKDF16_EviT5_lT_lS2_lS3_liPT4_ ; -- Begin function _ZL28rocblas_dot_batched_4_kernelIlLi32ELi4ELb1EffPKDF16_EviT5_lT_lS2_lS3_liPT4_
	.p2align	8
	.type	_ZL28rocblas_dot_batched_4_kernelIlLi32ELi4ELb1EffPKDF16_EviT5_lT_lS2_lS3_liPT4_,@function
_ZL28rocblas_dot_batched_4_kernelIlLi32ELi4ELb1EffPKDF16_EviT5_lT_lS2_lS3_liPT4_: ; @_ZL28rocblas_dot_batched_4_kernelIlLi32ELi4ELb1EffPKDF16_EviT5_lT_lS2_lS3_liPT4_
; %bb.0:
	s_load_dword s0, s[4:5], 0x48
	v_bfe_u32 v1, v0, 10, 10
	v_lshl_add_u32 v2, s6, 2, v1
	s_waitcnt lgkmcnt(0)
	v_cmp_gt_u32_e32 vcc, s0, v2
	s_and_saveexec_b64 s[0:1], vcc
	s_cbranch_execz .LBB269_7
; %bb.1:
	s_load_dword s16, s[4:5], 0x0
	s_load_dwordx2 s[0:1], s[4:5], 0x50
	v_mov_b32_e32 v3, 0
	v_and_b32_e32 v6, 0x3ff, v0
	v_mov_b32_e32 v7, v3
	s_waitcnt lgkmcnt(0)
	v_cmp_gt_i32_e32 vcc, s16, v6
	s_and_saveexec_b64 s[2:3], vcc
	s_cbranch_execz .LBB269_5
; %bb.2:
	s_load_dwordx4 s[20:23], s[4:5], 0x10
	s_load_dwordx2 s[6:7], s[4:5], 0x8
	s_load_dwordx8 s[8:15], s[4:5], 0x20
	s_load_dwordx2 s[18:19], s[4:5], 0x40
	s_waitcnt lgkmcnt(0)
	v_mad_u64_u32 v[0:1], s[4:5], s22, v6, 0
	v_mov_b32_e32 v4, v1
	v_mad_u64_u32 v[4:5], s[4:5], s23, v6, v[4:5]
	v_mov_b32_e32 v1, v4
	;; [unrolled: 2-line block ×4, first 2 shown]
	v_lshlrev_b64 v[0:1], 1, v[0:1]
	v_lshlrev_b64 v[4:5], 1, v[4:5]
	s_lshl_b64 s[4:5], s[20:21], 1
	v_add_co_u32_e32 v0, vcc, v0, v4
	s_add_u32 s4, s6, s4
	v_addc_co_u32_e32 v1, vcc, v1, v5, vcc
	s_addc_u32 s5, s7, s5
	v_mov_b32_e32 v4, s5
	v_add_co_u32_e32 v0, vcc, s4, v0
	v_addc_co_u32_e32 v1, vcc, v4, v1, vcc
	v_mad_u64_u32 v[4:5], s[6:7], s14, v6, 0
	v_mov_b32_e32 v8, v5
	v_mad_u64_u32 v[8:9], s[6:7], s15, v6, v[8:9]
	v_mov_b32_e32 v5, v8
	;; [unrolled: 2-line block ×4, first 2 shown]
	s_lshl_b64 s[4:5], s[22:23], 6
	v_lshlrev_b64 v[4:5], 1, v[4:5]
	v_lshlrev_b64 v[8:9], 1, v[8:9]
	s_lshl_b64 s[6:7], s[12:13], 1
	v_add_co_u32_e32 v4, vcc, v4, v8
	s_add_u32 s6, s10, s6
	v_addc_co_u32_e32 v5, vcc, v5, v9, vcc
	s_addc_u32 s7, s11, s7
	v_mov_b32_e32 v7, s7
	v_add_co_u32_e32 v4, vcc, s6, v4
	s_lshl_b64 s[8:9], s[14:15], 6
	v_addc_co_u32_e32 v5, vcc, v7, v5, vcc
	s_mov_b64 s[6:7], 0
	v_mov_b32_e32 v7, 0
	v_mov_b32_e32 v8, s5
	;; [unrolled: 1-line block ×4, first 2 shown]
.LBB269_3:                              ; =>This Inner Loop Header: Depth=1
	global_load_ushort v11, v[0:1], off
	global_load_ushort v12, v[4:5], off
	v_add_co_u32_e32 v0, vcc, s4, v0
	v_addc_co_u32_e32 v1, vcc, v1, v8, vcc
	v_add_co_u32_e32 v4, vcc, s8, v4
	v_add_u32_e32 v10, 32, v10
	v_addc_co_u32_e32 v5, vcc, v5, v9, vcc
	v_cmp_le_i32_e32 vcc, s16, v10
	s_or_b64 s[6:7], vcc, s[6:7]
	s_waitcnt vmcnt(0)
	v_fma_mix_f32 v7, v11, v12, v7 op_sel_hi:[1,1,0]
	s_andn2_b64 exec, exec, s[6:7]
	s_cbranch_execnz .LBB269_3
; %bb.4:
	s_or_b64 exec, exec, s[6:7]
.LBB269_5:
	s_or_b64 exec, exec, s[2:3]
	v_mbcnt_lo_u32_b32 v0, -1, 0
	v_mbcnt_hi_u32_b32 v0, -1, v0
	v_and_b32_e32 v1, 63, v0
	v_cmp_gt_u32_e32 vcc, 48, v1
	v_cndmask_b32_e64 v4, 0, 1, vcc
	v_lshlrev_b32_e32 v4, 4, v4
	v_add_lshl_u32 v4, v4, v0, 2
	ds_bpermute_b32 v4, v4, v7
	v_cmp_gt_u32_e32 vcc, 56, v1
	v_cndmask_b32_e64 v5, 0, 1, vcc
	v_lshlrev_b32_e32 v5, 3, v5
	v_add_lshl_u32 v5, v5, v0, 2
	s_waitcnt lgkmcnt(0)
	v_add_f32_e32 v4, v7, v4
	ds_bpermute_b32 v5, v5, v4
	v_cmp_gt_u32_e32 vcc, 60, v1
	v_cndmask_b32_e64 v7, 0, 1, vcc
	v_lshlrev_b32_e32 v7, 2, v7
	v_cmp_gt_u32_e32 vcc, 62, v1
	s_waitcnt lgkmcnt(0)
	v_add_f32_e32 v4, v4, v5
	v_add_lshl_u32 v5, v7, v0, 2
	ds_bpermute_b32 v5, v5, v4
	v_cndmask_b32_e64 v7, 0, 1, vcc
	v_lshlrev_b32_e32 v7, 1, v7
	v_cmp_ne_u32_e32 vcc, 63, v1
	v_addc_co_u32_e32 v1, vcc, 0, v0, vcc
	s_waitcnt lgkmcnt(0)
	v_add_f32_e32 v4, v4, v5
	v_add_lshl_u32 v5, v7, v0, 2
	ds_bpermute_b32 v5, v5, v4
	v_lshlrev_b32_e32 v1, 2, v1
	v_cmp_eq_u32_e32 vcc, 0, v6
	s_waitcnt lgkmcnt(0)
	s_barrier
	v_add_f32_e32 v0, v4, v5
	ds_bpermute_b32 v1, v1, v0
	s_waitcnt lgkmcnt(0)
	s_and_b64 exec, exec, vcc
	s_cbranch_execz .LBB269_7
; %bb.6:
	v_lshlrev_b64 v[2:3], 2, v[2:3]
	v_mov_b32_e32 v4, s1
	v_add_co_u32_e32 v2, vcc, s0, v2
	v_addc_co_u32_e32 v3, vcc, v4, v3, vcc
	v_add_f32_e32 v0, v0, v1
	global_store_dword v[2:3], v0, off
.LBB269_7:
	s_endpgm
	.section	.rodata,"a",@progbits
	.p2align	6, 0x0
	.amdhsa_kernel _ZL28rocblas_dot_batched_4_kernelIlLi32ELi4ELb1EffPKDF16_EviT5_lT_lS2_lS3_liPT4_
		.amdhsa_group_segment_fixed_size 0
		.amdhsa_private_segment_fixed_size 0
		.amdhsa_kernarg_size 88
		.amdhsa_user_sgpr_count 6
		.amdhsa_user_sgpr_private_segment_buffer 1
		.amdhsa_user_sgpr_dispatch_ptr 0
		.amdhsa_user_sgpr_queue_ptr 0
		.amdhsa_user_sgpr_kernarg_segment_ptr 1
		.amdhsa_user_sgpr_dispatch_id 0
		.amdhsa_user_sgpr_flat_scratch_init 0
		.amdhsa_user_sgpr_kernarg_preload_length 0
		.amdhsa_user_sgpr_kernarg_preload_offset 0
		.amdhsa_user_sgpr_private_segment_size 0
		.amdhsa_uses_dynamic_stack 0
		.amdhsa_system_sgpr_private_segment_wavefront_offset 0
		.amdhsa_system_sgpr_workgroup_id_x 1
		.amdhsa_system_sgpr_workgroup_id_y 0
		.amdhsa_system_sgpr_workgroup_id_z 0
		.amdhsa_system_sgpr_workgroup_info 0
		.amdhsa_system_vgpr_workitem_id 1
		.amdhsa_next_free_vgpr 13
		.amdhsa_next_free_sgpr 24
		.amdhsa_accum_offset 16
		.amdhsa_reserve_vcc 1
		.amdhsa_reserve_flat_scratch 0
		.amdhsa_float_round_mode_32 0
		.amdhsa_float_round_mode_16_64 0
		.amdhsa_float_denorm_mode_32 3
		.amdhsa_float_denorm_mode_16_64 3
		.amdhsa_dx10_clamp 1
		.amdhsa_ieee_mode 1
		.amdhsa_fp16_overflow 0
		.amdhsa_tg_split 0
		.amdhsa_exception_fp_ieee_invalid_op 0
		.amdhsa_exception_fp_denorm_src 0
		.amdhsa_exception_fp_ieee_div_zero 0
		.amdhsa_exception_fp_ieee_overflow 0
		.amdhsa_exception_fp_ieee_underflow 0
		.amdhsa_exception_fp_ieee_inexact 0
		.amdhsa_exception_int_div_zero 0
	.end_amdhsa_kernel
	.section	.text._ZL28rocblas_dot_batched_4_kernelIlLi32ELi4ELb1EffPKDF16_EviT5_lT_lS2_lS3_liPT4_,"axG",@progbits,_ZL28rocblas_dot_batched_4_kernelIlLi32ELi4ELb1EffPKDF16_EviT5_lT_lS2_lS3_liPT4_,comdat
.Lfunc_end269:
	.size	_ZL28rocblas_dot_batched_4_kernelIlLi32ELi4ELb1EffPKDF16_EviT5_lT_lS2_lS3_liPT4_, .Lfunc_end269-_ZL28rocblas_dot_batched_4_kernelIlLi32ELi4ELb1EffPKDF16_EviT5_lT_lS2_lS3_liPT4_
                                        ; -- End function
	.section	.AMDGPU.csdata,"",@progbits
; Kernel info:
; codeLenInByte = 672
; NumSgprs: 28
; NumVgprs: 13
; NumAgprs: 0
; TotalNumVgprs: 13
; ScratchSize: 0
; MemoryBound: 0
; FloatMode: 240
; IeeeMode: 1
; LDSByteSize: 0 bytes/workgroup (compile time only)
; SGPRBlocks: 3
; VGPRBlocks: 1
; NumSGPRsForWavesPerEU: 28
; NumVGPRsForWavesPerEU: 13
; AccumOffset: 16
; Occupancy: 8
; WaveLimiterHint : 0
; COMPUTE_PGM_RSRC2:SCRATCH_EN: 0
; COMPUTE_PGM_RSRC2:USER_SGPR: 6
; COMPUTE_PGM_RSRC2:TRAP_HANDLER: 0
; COMPUTE_PGM_RSRC2:TGID_X_EN: 1
; COMPUTE_PGM_RSRC2:TGID_Y_EN: 0
; COMPUTE_PGM_RSRC2:TGID_Z_EN: 0
; COMPUTE_PGM_RSRC2:TIDIG_COMP_CNT: 1
; COMPUTE_PGM_RSRC3_GFX90A:ACCUM_OFFSET: 3
; COMPUTE_PGM_RSRC3_GFX90A:TG_SPLIT: 0
	.section	.text._ZL28rocblas_dot_batched_4_kernelIlLi64ELi4ELb1EffPKDF16_EviT5_lT_lS2_lS3_liPT4_,"axG",@progbits,_ZL28rocblas_dot_batched_4_kernelIlLi64ELi4ELb1EffPKDF16_EviT5_lT_lS2_lS3_liPT4_,comdat
	.globl	_ZL28rocblas_dot_batched_4_kernelIlLi64ELi4ELb1EffPKDF16_EviT5_lT_lS2_lS3_liPT4_ ; -- Begin function _ZL28rocblas_dot_batched_4_kernelIlLi64ELi4ELb1EffPKDF16_EviT5_lT_lS2_lS3_liPT4_
	.p2align	8
	.type	_ZL28rocblas_dot_batched_4_kernelIlLi64ELi4ELb1EffPKDF16_EviT5_lT_lS2_lS3_liPT4_,@function
_ZL28rocblas_dot_batched_4_kernelIlLi64ELi4ELb1EffPKDF16_EviT5_lT_lS2_lS3_liPT4_: ; @_ZL28rocblas_dot_batched_4_kernelIlLi64ELi4ELb1EffPKDF16_EviT5_lT_lS2_lS3_liPT4_
; %bb.0:
	s_load_dword s0, s[4:5], 0x48
	v_bfe_u32 v1, v0, 10, 10
	v_lshl_add_u32 v2, s6, 2, v1
	s_waitcnt lgkmcnt(0)
	v_cmp_gt_u32_e32 vcc, s0, v2
	s_and_saveexec_b64 s[0:1], vcc
	s_cbranch_execz .LBB270_7
; %bb.1:
	s_load_dword s16, s[4:5], 0x0
	s_load_dwordx2 s[0:1], s[4:5], 0x50
	v_mov_b32_e32 v3, 0
	v_and_b32_e32 v6, 0x3ff, v0
	v_mov_b32_e32 v7, v3
	s_waitcnt lgkmcnt(0)
	v_cmp_gt_i32_e32 vcc, s16, v6
	s_and_saveexec_b64 s[2:3], vcc
	s_cbranch_execz .LBB270_5
; %bb.2:
	s_load_dwordx4 s[20:23], s[4:5], 0x10
	s_load_dwordx2 s[6:7], s[4:5], 0x8
	s_load_dwordx8 s[8:15], s[4:5], 0x20
	s_load_dwordx2 s[18:19], s[4:5], 0x40
	s_waitcnt lgkmcnt(0)
	v_mad_u64_u32 v[0:1], s[4:5], s22, v6, 0
	v_mov_b32_e32 v4, v1
	v_mad_u64_u32 v[4:5], s[4:5], s23, v6, v[4:5]
	v_mov_b32_e32 v1, v4
	;; [unrolled: 2-line block ×4, first 2 shown]
	v_lshlrev_b64 v[0:1], 1, v[0:1]
	v_lshlrev_b64 v[4:5], 1, v[4:5]
	s_lshl_b64 s[4:5], s[20:21], 1
	v_add_co_u32_e32 v0, vcc, v0, v4
	s_add_u32 s4, s6, s4
	v_addc_co_u32_e32 v1, vcc, v1, v5, vcc
	s_addc_u32 s5, s7, s5
	v_mov_b32_e32 v4, s5
	v_add_co_u32_e32 v0, vcc, s4, v0
	v_addc_co_u32_e32 v1, vcc, v4, v1, vcc
	v_mad_u64_u32 v[4:5], s[6:7], s14, v6, 0
	v_mov_b32_e32 v8, v5
	v_mad_u64_u32 v[8:9], s[6:7], s15, v6, v[8:9]
	v_mov_b32_e32 v5, v8
	;; [unrolled: 2-line block ×4, first 2 shown]
	s_lshl_b64 s[4:5], s[22:23], 7
	v_lshlrev_b64 v[4:5], 1, v[4:5]
	v_lshlrev_b64 v[8:9], 1, v[8:9]
	s_lshl_b64 s[6:7], s[12:13], 1
	v_add_co_u32_e32 v4, vcc, v4, v8
	s_add_u32 s6, s10, s6
	v_addc_co_u32_e32 v5, vcc, v5, v9, vcc
	s_addc_u32 s7, s11, s7
	v_mov_b32_e32 v7, s7
	v_add_co_u32_e32 v4, vcc, s6, v4
	s_lshl_b64 s[8:9], s[14:15], 7
	v_addc_co_u32_e32 v5, vcc, v7, v5, vcc
	s_mov_b64 s[6:7], 0
	v_mov_b32_e32 v7, 0
	v_mov_b32_e32 v8, s5
	;; [unrolled: 1-line block ×4, first 2 shown]
.LBB270_3:                              ; =>This Inner Loop Header: Depth=1
	global_load_ushort v11, v[0:1], off
	global_load_ushort v12, v[4:5], off
	v_add_co_u32_e32 v0, vcc, s4, v0
	v_addc_co_u32_e32 v1, vcc, v1, v8, vcc
	v_add_co_u32_e32 v4, vcc, s8, v4
	v_add_u32_e32 v10, 64, v10
	v_addc_co_u32_e32 v5, vcc, v5, v9, vcc
	v_cmp_le_i32_e32 vcc, s16, v10
	s_or_b64 s[6:7], vcc, s[6:7]
	s_waitcnt vmcnt(0)
	v_fma_mix_f32 v7, v11, v12, v7 op_sel_hi:[1,1,0]
	s_andn2_b64 exec, exec, s[6:7]
	s_cbranch_execnz .LBB270_3
; %bb.4:
	s_or_b64 exec, exec, s[6:7]
.LBB270_5:
	s_or_b64 exec, exec, s[2:3]
	v_mbcnt_lo_u32_b32 v0, -1, 0
	v_mbcnt_hi_u32_b32 v0, -1, v0
	v_and_b32_e32 v1, 63, v0
	v_cmp_gt_u32_e32 vcc, 32, v1
	v_cndmask_b32_e64 v4, 0, 1, vcc
	v_lshlrev_b32_e32 v4, 5, v4
	v_add_lshl_u32 v4, v4, v0, 2
	ds_bpermute_b32 v4, v4, v7
	v_cmp_gt_u32_e32 vcc, 48, v1
	v_cndmask_b32_e64 v5, 0, 1, vcc
	v_lshlrev_b32_e32 v5, 4, v5
	v_add_lshl_u32 v5, v5, v0, 2
	s_waitcnt lgkmcnt(0)
	v_add_f32_e32 v4, v7, v4
	ds_bpermute_b32 v5, v5, v4
	v_cmp_gt_u32_e32 vcc, 56, v1
	v_cndmask_b32_e64 v7, 0, 1, vcc
	v_lshlrev_b32_e32 v7, 3, v7
	v_cmp_gt_u32_e32 vcc, 60, v1
	s_waitcnt lgkmcnt(0)
	v_add_f32_e32 v4, v4, v5
	v_add_lshl_u32 v5, v7, v0, 2
	ds_bpermute_b32 v5, v5, v4
	v_cndmask_b32_e64 v7, 0, 1, vcc
	v_lshlrev_b32_e32 v7, 2, v7
	v_cmp_gt_u32_e32 vcc, 62, v1
	s_waitcnt lgkmcnt(0)
	v_add_f32_e32 v4, v4, v5
	v_add_lshl_u32 v5, v7, v0, 2
	ds_bpermute_b32 v5, v5, v4
	v_cndmask_b32_e64 v7, 0, 1, vcc
	v_lshlrev_b32_e32 v7, 1, v7
	v_cmp_ne_u32_e32 vcc, 63, v1
	v_addc_co_u32_e32 v1, vcc, 0, v0, vcc
	s_waitcnt lgkmcnt(0)
	v_add_f32_e32 v4, v4, v5
	v_add_lshl_u32 v5, v7, v0, 2
	ds_bpermute_b32 v5, v5, v4
	v_lshlrev_b32_e32 v1, 2, v1
	v_cmp_eq_u32_e32 vcc, 0, v6
	s_barrier
	s_waitcnt lgkmcnt(0)
	v_add_f32_e32 v0, v4, v5
	ds_bpermute_b32 v1, v1, v0
	s_and_b64 exec, exec, vcc
	s_cbranch_execz .LBB270_7
; %bb.6:
	v_lshlrev_b64 v[2:3], 2, v[2:3]
	v_mov_b32_e32 v4, s1
	v_add_co_u32_e32 v2, vcc, s0, v2
	v_addc_co_u32_e32 v3, vcc, v4, v3, vcc
	s_waitcnt lgkmcnt(0)
	v_add_f32_e32 v0, v0, v1
	global_store_dword v[2:3], v0, off
.LBB270_7:
	s_endpgm
	.section	.rodata,"a",@progbits
	.p2align	6, 0x0
	.amdhsa_kernel _ZL28rocblas_dot_batched_4_kernelIlLi64ELi4ELb1EffPKDF16_EviT5_lT_lS2_lS3_liPT4_
		.amdhsa_group_segment_fixed_size 0
		.amdhsa_private_segment_fixed_size 0
		.amdhsa_kernarg_size 88
		.amdhsa_user_sgpr_count 6
		.amdhsa_user_sgpr_private_segment_buffer 1
		.amdhsa_user_sgpr_dispatch_ptr 0
		.amdhsa_user_sgpr_queue_ptr 0
		.amdhsa_user_sgpr_kernarg_segment_ptr 1
		.amdhsa_user_sgpr_dispatch_id 0
		.amdhsa_user_sgpr_flat_scratch_init 0
		.amdhsa_user_sgpr_kernarg_preload_length 0
		.amdhsa_user_sgpr_kernarg_preload_offset 0
		.amdhsa_user_sgpr_private_segment_size 0
		.amdhsa_uses_dynamic_stack 0
		.amdhsa_system_sgpr_private_segment_wavefront_offset 0
		.amdhsa_system_sgpr_workgroup_id_x 1
		.amdhsa_system_sgpr_workgroup_id_y 0
		.amdhsa_system_sgpr_workgroup_id_z 0
		.amdhsa_system_sgpr_workgroup_info 0
		.amdhsa_system_vgpr_workitem_id 1
		.amdhsa_next_free_vgpr 13
		.amdhsa_next_free_sgpr 24
		.amdhsa_accum_offset 16
		.amdhsa_reserve_vcc 1
		.amdhsa_reserve_flat_scratch 0
		.amdhsa_float_round_mode_32 0
		.amdhsa_float_round_mode_16_64 0
		.amdhsa_float_denorm_mode_32 3
		.amdhsa_float_denorm_mode_16_64 3
		.amdhsa_dx10_clamp 1
		.amdhsa_ieee_mode 1
		.amdhsa_fp16_overflow 0
		.amdhsa_tg_split 0
		.amdhsa_exception_fp_ieee_invalid_op 0
		.amdhsa_exception_fp_denorm_src 0
		.amdhsa_exception_fp_ieee_div_zero 0
		.amdhsa_exception_fp_ieee_overflow 0
		.amdhsa_exception_fp_ieee_underflow 0
		.amdhsa_exception_fp_ieee_inexact 0
		.amdhsa_exception_int_div_zero 0
	.end_amdhsa_kernel
	.section	.text._ZL28rocblas_dot_batched_4_kernelIlLi64ELi4ELb1EffPKDF16_EviT5_lT_lS2_lS3_liPT4_,"axG",@progbits,_ZL28rocblas_dot_batched_4_kernelIlLi64ELi4ELb1EffPKDF16_EviT5_lT_lS2_lS3_liPT4_,comdat
.Lfunc_end270:
	.size	_ZL28rocblas_dot_batched_4_kernelIlLi64ELi4ELb1EffPKDF16_EviT5_lT_lS2_lS3_liPT4_, .Lfunc_end270-_ZL28rocblas_dot_batched_4_kernelIlLi64ELi4ELb1EffPKDF16_EviT5_lT_lS2_lS3_liPT4_
                                        ; -- End function
	.section	.AMDGPU.csdata,"",@progbits
; Kernel info:
; codeLenInByte = 712
; NumSgprs: 28
; NumVgprs: 13
; NumAgprs: 0
; TotalNumVgprs: 13
; ScratchSize: 0
; MemoryBound: 0
; FloatMode: 240
; IeeeMode: 1
; LDSByteSize: 0 bytes/workgroup (compile time only)
; SGPRBlocks: 3
; VGPRBlocks: 1
; NumSGPRsForWavesPerEU: 28
; NumVGPRsForWavesPerEU: 13
; AccumOffset: 16
; Occupancy: 8
; WaveLimiterHint : 0
; COMPUTE_PGM_RSRC2:SCRATCH_EN: 0
; COMPUTE_PGM_RSRC2:USER_SGPR: 6
; COMPUTE_PGM_RSRC2:TRAP_HANDLER: 0
; COMPUTE_PGM_RSRC2:TGID_X_EN: 1
; COMPUTE_PGM_RSRC2:TGID_Y_EN: 0
; COMPUTE_PGM_RSRC2:TGID_Z_EN: 0
; COMPUTE_PGM_RSRC2:TIDIG_COMP_CNT: 1
; COMPUTE_PGM_RSRC3_GFX90A:ACCUM_OFFSET: 3
; COMPUTE_PGM_RSRC3_GFX90A:TG_SPLIT: 0
	.section	.text._ZL26rocblas_dot_kernel_inc1by2ILb1ELi1024ELi32ELb1EfPKDF16_fEviT4_llS2_lliPT5_PT3_,"axG",@progbits,_ZL26rocblas_dot_kernel_inc1by2ILb1ELi1024ELi32ELb1EfPKDF16_fEviT4_llS2_lliPT5_PT3_,comdat
	.globl	_ZL26rocblas_dot_kernel_inc1by2ILb1ELi1024ELi32ELb1EfPKDF16_fEviT4_llS2_lliPT5_PT3_ ; -- Begin function _ZL26rocblas_dot_kernel_inc1by2ILb1ELi1024ELi32ELb1EfPKDF16_fEviT4_llS2_lliPT5_PT3_
	.p2align	8
	.type	_ZL26rocblas_dot_kernel_inc1by2ILb1ELi1024ELi32ELb1EfPKDF16_fEviT4_llS2_lliPT5_PT3_,@function
_ZL26rocblas_dot_kernel_inc1by2ILb1ELi1024ELi32ELb1EfPKDF16_fEviT4_llS2_lliPT5_PT3_: ; @_ZL26rocblas_dot_kernel_inc1by2ILb1ELi1024ELi32ELb1EfPKDF16_fEviT4_llS2_lliPT5_PT3_
; %bb.0:
	s_mov_b32 s2, s7
	s_load_dword s24, s[4:5], 0x0
	s_load_dwordx2 s[18:19], s[4:5], 0x8
	s_load_dwordx4 s[12:15], s[4:5], 0x10
	s_load_dwordx2 s[16:17], s[4:5], 0x20
	s_load_dwordx2 s[6:7], s[4:5], 0x48
	s_load_dwordx4 s[8:11], s[4:5], 0x28
	v_lshlrev_b32_e32 v6, 1, v0
	s_waitcnt lgkmcnt(0)
	s_mul_i32 s0, s2, s15
	s_mul_hi_u32 s1, s2, s14
	s_add_i32 s15, s1, s0
	s_mul_i32 s0, s2, s11
	s_mul_hi_u32 s1, s2, s10
	s_add_i32 s4, s24, -1
	s_mov_b32 s3, 0
	s_mul_i32 s14, s2, s14
	s_add_i32 s11, s1, s0
	s_mul_i32 s10, s2, s10
	v_cmp_gt_i32_e32 vcc, s4, v6
	v_mov_b32_e32 v1, 0
	s_and_saveexec_b64 s[20:21], vcc
	s_cbranch_execz .LBB271_4
; %bb.1:
	s_lshl_b64 s[0:1], s[10:11], 1
	s_lshl_b64 s[22:23], s[8:9], 1
	s_add_u32 s5, s16, s22
	s_addc_u32 s22, s17, s23
	s_add_u32 s0, s5, s0
	v_lshlrev_b32_e32 v4, 2, v0
	s_addc_u32 s1, s22, s1
	v_mov_b32_e32 v3, s1
	v_add_co_u32_e32 v2, vcc, s0, v4
	s_lshl_b64 s[0:1], s[14:15], 1
	s_lshl_b64 s[22:23], s[12:13], 1
	s_add_u32 s5, s18, s22
	s_addc_u32 s22, s19, s23
	s_add_u32 s0, s5, s0
	v_addc_co_u32_e32 v3, vcc, 0, v3, vcc
	s_addc_u32 s1, s22, s1
	v_mov_b32_e32 v5, s1
	v_add_co_u32_e32 v4, vcc, s0, v4
	v_mov_b32_e32 v1, 0
	v_addc_co_u32_e32 v5, vcc, 0, v5, vcc
	s_mov_b64 s[22:23], 0
	s_mov_b32 s5, s3
.LBB271_2:                              ; =>This Inner Loop Header: Depth=1
	global_load_dword v7, v[2:3], off
	global_load_dword v10, v[4:5], off
	s_add_i32 s25, s5, 1
	v_add_u32_e32 v6, 0x800, v6
	s_cmp_gt_u32 s5, 30
	v_add_co_u32_e32 v2, vcc, 0x1000, v2
	v_cmp_le_i32_e64 s[0:1], s4, v6
	s_cselect_b64 s[26:27], -1, 0
	v_addc_co_u32_e32 v3, vcc, 0, v3, vcc
	s_or_b64 s[0:1], s[26:27], s[0:1]
	v_add_co_u32_e32 v4, vcc, 0x1000, v4
	s_and_b64 s[0:1], exec, s[0:1]
	s_mov_b32 s5, s25
	v_addc_co_u32_e32 v5, vcc, 0, v5, vcc
	s_or_b64 s[22:23], s[0:1], s[22:23]
	s_waitcnt vmcnt(1)
	v_cvt_f32_f16_sdwa v9, v7 dst_sel:DWORD dst_unused:UNUSED_PAD src0_sel:WORD_1
	v_cvt_f32_f16_e32 v8, v7
	s_waitcnt vmcnt(0)
	v_cvt_f32_f16_sdwa v11, v10 dst_sel:DWORD dst_unused:UNUSED_PAD src0_sel:WORD_1
	v_cvt_f32_f16_e32 v10, v10
	v_pk_mul_f32 v[8:9], v[8:9], v[10:11]
	v_add_f32_e32 v1, v1, v8
	v_add_f32_e32 v1, v1, v9
	s_andn2_b64 exec, exec, s[22:23]
	s_cbranch_execnz .LBB271_2
; %bb.3:
	s_or_b64 exec, exec, s[22:23]
.LBB271_4:
	s_or_b64 exec, exec, s[20:21]
	s_bitcmp1_b32 s24, 0
	s_cselect_b64 s[0:1], -1, 0
	v_cmp_eq_u32_e32 vcc, s4, v6
	s_and_b64 s[20:21], s[0:1], vcc
	s_and_saveexec_b64 s[0:1], s[20:21]
	s_cbranch_execz .LBB271_6
; %bb.5:
	s_lshl_b64 s[14:15], s[14:15], 1
	s_add_u32 s5, s18, s14
	s_addc_u32 s14, s19, s15
	s_lshl_b64 s[12:13], s[12:13], 1
	s_add_u32 s12, s5, s12
	s_addc_u32 s13, s14, s13
	;; [unrolled: 3-line block ×3, first 2 shown]
	s_lshl_b64 s[8:9], s[8:9], 1
	s_add_u32 s8, s5, s8
	s_mov_b32 s5, 0
	s_addc_u32 s9, s10, s9
	s_lshl_b64 s[4:5], s[4:5], 1
	s_add_u32 s8, s8, s4
	s_addc_u32 s9, s9, s5
	v_mov_b32_e32 v2, 0
	s_add_u32 s4, s12, s4
	s_addc_u32 s5, s13, s5
	global_load_ushort v3, v2, s[8:9]
	global_load_ushort v4, v2, s[4:5]
	s_waitcnt vmcnt(0)
	v_fma_mix_f32 v1, v3, v4, v1 op_sel_hi:[1,1,0]
.LBB271_6:
	s_or_b64 exec, exec, s[0:1]
	v_and_b32_e32 v3, 63, v0
	v_cmp_gt_u32_e32 vcc, 64, v0
	v_lshlrev_b32_e32 v2, 2, v3
	s_and_saveexec_b64 s[0:1], vcc
	s_cbranch_execz .LBB271_8
; %bb.7:
	v_mov_b32_e32 v4, 0
	ds_write_b32 v2, v4
.LBB271_8:
	s_or_b64 exec, exec, s[0:1]
	v_mbcnt_lo_u32_b32 v4, -1, 0
	v_mbcnt_hi_u32_b32 v6, -1, v4
	v_and_b32_e32 v7, 63, v6
	v_cmp_gt_u32_e64 s[0:1], 32, v7
	v_cndmask_b32_e64 v4, 0, 1, s[0:1]
	v_lshlrev_b32_e32 v4, 5, v4
	v_add_lshl_u32 v4, v4, v6, 2
	ds_bpermute_b32 v4, v4, v1
	v_cmp_gt_u32_e64 s[0:1], 48, v7
	v_cndmask_b32_e64 v5, 0, 1, s[0:1]
	v_lshlrev_b32_e32 v5, 4, v5
	v_cmp_gt_u32_e64 s[0:1], 56, v7
	s_waitcnt lgkmcnt(0)
	v_add_f32_e32 v1, v1, v4
	v_add_lshl_u32 v4, v5, v6, 2
	ds_bpermute_b32 v4, v4, v1
	v_cndmask_b32_e64 v5, 0, 1, s[0:1]
	v_lshlrev_b32_e32 v5, 3, v5
	v_cmp_gt_u32_e64 s[0:1], 60, v7
	v_cndmask_b32_e64 v8, 0, 1, s[0:1]
	s_waitcnt lgkmcnt(0)
	v_add_f32_e32 v4, v1, v4
	v_add_lshl_u32 v1, v5, v6, 2
	ds_bpermute_b32 v5, v1, v4
	v_lshlrev_b32_e32 v8, 2, v8
	v_cmp_gt_u32_e64 s[0:1], 62, v7
	v_cndmask_b32_e64 v9, 0, 1, s[0:1]
	v_lshlrev_b32_e32 v9, 1, v9
	s_waitcnt lgkmcnt(0)
	v_add_f32_e32 v5, v4, v5
	v_add_lshl_u32 v4, v8, v6, 2
	ds_bpermute_b32 v8, v4, v5
	v_cmp_ne_u32_e64 s[0:1], 63, v7
	s_waitcnt lgkmcnt(0)
	s_barrier
	v_add_f32_e32 v8, v5, v8
	v_add_lshl_u32 v5, v9, v6, 2
	ds_bpermute_b32 v9, v5, v8
	v_addc_co_u32_e64 v6, s[0:1], 0, v6, s[0:1]
	v_lshlrev_b32_e32 v6, 2, v6
	v_cmp_eq_u32_e64 s[0:1], 0, v3
	s_waitcnt lgkmcnt(0)
	v_add_f32_e32 v7, v8, v9
	ds_bpermute_b32 v8, v6, v7
	s_and_saveexec_b64 s[4:5], s[0:1]
	s_cbranch_execz .LBB271_10
; %bb.9:
	s_waitcnt lgkmcnt(0)
	v_add_f32_e32 v3, v7, v8
	v_lshrrev_b32_e32 v7, 4, v0
	v_and_b32_e32 v7, 60, v7
	ds_write_b32 v7, v3
.LBB271_10:
	s_or_b64 exec, exec, s[4:5]
	v_cmp_gt_u32_e64 s[0:1], 16, v0
	v_mov_b32_e32 v3, 0
	s_waitcnt lgkmcnt(0)
	s_barrier
	s_and_saveexec_b64 s[4:5], s[0:1]
	s_cbranch_execnz .LBB271_14
; %bb.11:
	s_or_b64 exec, exec, s[4:5]
	s_and_saveexec_b64 s[0:1], vcc
	s_cbranch_execnz .LBB271_15
.LBB271_12:
	s_or_b64 exec, exec, s[0:1]
	v_cmp_eq_u32_e32 vcc, 0, v0
	s_and_saveexec_b64 s[0:1], vcc
	s_cbranch_execnz .LBB271_16
.LBB271_13:
	s_endpgm
.LBB271_14:
	ds_read_b32 v3, v2
	s_or_b64 exec, exec, s[4:5]
	s_and_saveexec_b64 s[0:1], vcc
	s_cbranch_execz .LBB271_12
.LBB271_15:
	s_waitcnt lgkmcnt(0)
	ds_bpermute_b32 v1, v1, v3
	s_waitcnt lgkmcnt(0)
	v_add_f32_e32 v1, v3, v1
	ds_bpermute_b32 v2, v4, v1
	s_waitcnt lgkmcnt(0)
	v_add_f32_e32 v1, v1, v2
	;; [unrolled: 3-line block ×4, first 2 shown]
	s_or_b64 exec, exec, s[0:1]
	v_cmp_eq_u32_e32 vcc, 0, v0
	s_and_saveexec_b64 s[0:1], vcc
	s_cbranch_execz .LBB271_13
.LBB271_16:
	s_lshl_b64 s[0:1], s[2:3], 2
	s_add_u32 s0, s6, s0
	s_addc_u32 s1, s7, s1
	v_mov_b32_e32 v0, 0
	s_waitcnt lgkmcnt(0)
	global_store_dword v0, v3, s[0:1]
	s_endpgm
	.section	.rodata,"a",@progbits
	.p2align	6, 0x0
	.amdhsa_kernel _ZL26rocblas_dot_kernel_inc1by2ILb1ELi1024ELi32ELb1EfPKDF16_fEviT4_llS2_lliPT5_PT3_
		.amdhsa_group_segment_fixed_size 256
		.amdhsa_private_segment_fixed_size 0
		.amdhsa_kernarg_size 80
		.amdhsa_user_sgpr_count 6
		.amdhsa_user_sgpr_private_segment_buffer 1
		.amdhsa_user_sgpr_dispatch_ptr 0
		.amdhsa_user_sgpr_queue_ptr 0
		.amdhsa_user_sgpr_kernarg_segment_ptr 1
		.amdhsa_user_sgpr_dispatch_id 0
		.amdhsa_user_sgpr_flat_scratch_init 0
		.amdhsa_user_sgpr_kernarg_preload_length 0
		.amdhsa_user_sgpr_kernarg_preload_offset 0
		.amdhsa_user_sgpr_private_segment_size 0
		.amdhsa_uses_dynamic_stack 0
		.amdhsa_system_sgpr_private_segment_wavefront_offset 0
		.amdhsa_system_sgpr_workgroup_id_x 1
		.amdhsa_system_sgpr_workgroup_id_y 0
		.amdhsa_system_sgpr_workgroup_id_z 1
		.amdhsa_system_sgpr_workgroup_info 0
		.amdhsa_system_vgpr_workitem_id 0
		.amdhsa_next_free_vgpr 12
		.amdhsa_next_free_sgpr 28
		.amdhsa_accum_offset 12
		.amdhsa_reserve_vcc 1
		.amdhsa_reserve_flat_scratch 0
		.amdhsa_float_round_mode_32 0
		.amdhsa_float_round_mode_16_64 0
		.amdhsa_float_denorm_mode_32 3
		.amdhsa_float_denorm_mode_16_64 3
		.amdhsa_dx10_clamp 1
		.amdhsa_ieee_mode 1
		.amdhsa_fp16_overflow 0
		.amdhsa_tg_split 0
		.amdhsa_exception_fp_ieee_invalid_op 0
		.amdhsa_exception_fp_denorm_src 0
		.amdhsa_exception_fp_ieee_div_zero 0
		.amdhsa_exception_fp_ieee_overflow 0
		.amdhsa_exception_fp_ieee_underflow 0
		.amdhsa_exception_fp_ieee_inexact 0
		.amdhsa_exception_int_div_zero 0
	.end_amdhsa_kernel
	.section	.text._ZL26rocblas_dot_kernel_inc1by2ILb1ELi1024ELi32ELb1EfPKDF16_fEviT4_llS2_lliPT5_PT3_,"axG",@progbits,_ZL26rocblas_dot_kernel_inc1by2ILb1ELi1024ELi32ELb1EfPKDF16_fEviT4_llS2_lliPT5_PT3_,comdat
.Lfunc_end271:
	.size	_ZL26rocblas_dot_kernel_inc1by2ILb1ELi1024ELi32ELb1EfPKDF16_fEviT4_llS2_lliPT5_PT3_, .Lfunc_end271-_ZL26rocblas_dot_kernel_inc1by2ILb1ELi1024ELi32ELb1EfPKDF16_fEviT4_llS2_lliPT5_PT3_
                                        ; -- End function
	.section	.AMDGPU.csdata,"",@progbits
; Kernel info:
; codeLenInByte = 1032
; NumSgprs: 32
; NumVgprs: 12
; NumAgprs: 0
; TotalNumVgprs: 12
; ScratchSize: 0
; MemoryBound: 0
; FloatMode: 240
; IeeeMode: 1
; LDSByteSize: 256 bytes/workgroup (compile time only)
; SGPRBlocks: 3
; VGPRBlocks: 1
; NumSGPRsForWavesPerEU: 32
; NumVGPRsForWavesPerEU: 12
; AccumOffset: 12
; Occupancy: 8
; WaveLimiterHint : 0
; COMPUTE_PGM_RSRC2:SCRATCH_EN: 0
; COMPUTE_PGM_RSRC2:USER_SGPR: 6
; COMPUTE_PGM_RSRC2:TRAP_HANDLER: 0
; COMPUTE_PGM_RSRC2:TGID_X_EN: 1
; COMPUTE_PGM_RSRC2:TGID_Y_EN: 0
; COMPUTE_PGM_RSRC2:TGID_Z_EN: 1
; COMPUTE_PGM_RSRC2:TIDIG_COMP_CNT: 0
; COMPUTE_PGM_RSRC3_GFX90A:ACCUM_OFFSET: 2
; COMPUTE_PGM_RSRC3_GFX90A:TG_SPLIT: 0
	.section	.text._ZL18rocblas_dot_kernelIlLb1ELi1024ELi32ELb1EfPKDF16_fEviT5_lT_lS2_lS3_liPT6_PT4_,"axG",@progbits,_ZL18rocblas_dot_kernelIlLb1ELi1024ELi32ELb1EfPKDF16_fEviT5_lT_lS2_lS3_liPT6_PT4_,comdat
	.globl	_ZL18rocblas_dot_kernelIlLb1ELi1024ELi32ELb1EfPKDF16_fEviT5_lT_lS2_lS3_liPT6_PT4_ ; -- Begin function _ZL18rocblas_dot_kernelIlLb1ELi1024ELi32ELb1EfPKDF16_fEviT5_lT_lS2_lS3_liPT6_PT4_
	.p2align	8
	.type	_ZL18rocblas_dot_kernelIlLb1ELi1024ELi32ELb1EfPKDF16_fEviT5_lT_lS2_lS3_liPT6_PT4_,@function
_ZL18rocblas_dot_kernelIlLb1ELi1024ELi32ELb1EfPKDF16_fEviT5_lT_lS2_lS3_liPT6_PT4_: ; @_ZL18rocblas_dot_kernelIlLb1ELi1024ELi32ELb1EfPKDF16_fEviT5_lT_lS2_lS3_liPT6_PT4_
; %bb.0:
	s_mov_b32 s2, s7
	s_load_dword s18, s[4:5], 0x0
	s_load_dwordx2 s[6:7], s[4:5], 0x58
	s_mov_b32 s3, 0
	v_mov_b32_e32 v6, 0
	s_waitcnt lgkmcnt(0)
	v_cmp_gt_i32_e32 vcc, s18, v0
	s_and_saveexec_b64 s[16:17], vcc
	s_cbranch_execz .LBB272_4
; %bb.1:
	s_load_dword s19, s[4:5], 0x60
	s_load_dwordx2 s[0:1], s[4:5], 0x40
	s_load_dwordx8 s[8:15], s[4:5], 0x20
	s_load_dwordx2 s[24:25], s[4:5], 0x8
	s_load_dwordx4 s[20:23], s[4:5], 0x10
	s_waitcnt lgkmcnt(0)
	s_lshl_b32 s19, s19, 10
	s_mul_i32 s1, s1, s2
	s_mul_i32 s4, s9, s2
	s_mul_hi_u32 s5, s8, s2
	s_add_i32 s5, s5, s4
	s_mul_i32 s4, s8, s2
	v_mad_u64_u32 v[2:3], s[8:9], s22, v0, 0
	v_mov_b32_e32 v4, v3
	v_mad_u64_u32 v[4:5], s[8:9], s23, v0, v[4:5]
	s_lshl_b64 s[4:5], s[4:5], 1
	s_lshl_b64 s[8:9], s[20:21], 1
	s_add_u32 s8, s24, s8
	s_addc_u32 s9, s25, s9
	v_mov_b32_e32 v3, v4
	s_add_u32 s4, s8, s4
	v_lshlrev_b64 v[2:3], 1, v[2:3]
	s_addc_u32 s5, s9, s5
	v_mov_b32_e32 v4, s5
	v_add_co_u32_e32 v2, vcc, s4, v2
	s_ashr_i32 s20, s19, 31
	s_mul_hi_u32 s8, s0, s2
	v_addc_co_u32_e32 v3, vcc, v4, v3, vcc
	s_mul_i32 s4, s22, s20
	s_mul_hi_u32 s5, s22, s19
	s_add_i32 s1, s8, s1
	v_mad_u64_u32 v[4:5], s[8:9], s14, v0, 0
	s_add_i32 s4, s5, s4
	s_mul_i32 s5, s23, s19
	v_mov_b32_e32 v6, v5
	s_add_i32 s5, s4, s5
	s_mul_i32 s4, s22, s19
	s_mul_i32 s0, s0, s2
	v_mad_u64_u32 v[6:7], s[8:9], s15, v0, v[6:7]
	s_lshl_b64 s[4:5], s[4:5], 1
	s_lshl_b64 s[0:1], s[0:1], 1
	;; [unrolled: 1-line block ×3, first 2 shown]
	s_add_u32 s8, s10, s8
	s_addc_u32 s9, s11, s9
	v_mov_b32_e32 v5, v6
	s_add_u32 s0, s8, s0
	v_lshlrev_b64 v[4:5], 1, v[4:5]
	s_addc_u32 s1, s9, s1
	v_mov_b32_e32 v6, s1
	v_add_co_u32_e32 v4, vcc, s0, v4
	s_mul_i32 s0, s14, s20
	s_mul_hi_u32 s1, s14, s19
	s_add_i32 s0, s1, s0
	s_mul_i32 s1, s15, s19
	s_add_i32 s1, s0, s1
	s_mul_i32 s0, s14, s19
	s_lshl_b64 s[10:11], s[0:1], 1
	v_or_b32_e32 v1, s19, v0
	v_addc_co_u32_e32 v5, vcc, v6, v5, vcc
	s_mov_b64 s[8:9], 0
	v_mov_b32_e32 v6, 0
	v_mov_b32_e32 v7, s5
	;; [unrolled: 1-line block ×3, first 2 shown]
	s_mov_b32 s5, s3
.LBB272_2:                              ; =>This Inner Loop Header: Depth=1
	global_load_ushort v9, v[4:5], off
	global_load_ushort v10, v[2:3], off
	v_add_co_u32_e64 v2, s[0:1], s4, v2
	v_addc_co_u32_e64 v3, s[0:1], v3, v7, s[0:1]
	s_add_i32 s11, s5, 1
	v_add_co_u32_e64 v4, s[0:1], s10, v4
	v_addc_co_u32_e64 v5, s[0:1], v5, v8, s[0:1]
	s_cmp_gt_u32 s5, 30
	v_cmp_le_i32_e32 vcc, s18, v1
	s_cselect_b64 s[0:1], -1, 0
	s_or_b64 s[0:1], s[0:1], vcc
	s_and_b64 s[0:1], exec, s[0:1]
	v_add_u32_e32 v1, s19, v1
	s_mov_b32 s5, s11
	s_or_b64 s[8:9], s[0:1], s[8:9]
	s_waitcnt vmcnt(0)
	v_fma_mix_f32 v6, v9, v10, v6 op_sel_hi:[1,1,0]
	s_andn2_b64 exec, exec, s[8:9]
	s_cbranch_execnz .LBB272_2
; %bb.3:
	s_or_b64 exec, exec, s[8:9]
.LBB272_4:
	s_or_b64 exec, exec, s[16:17]
	v_and_b32_e32 v2, 63, v0
	v_cmp_gt_u32_e32 vcc, 64, v0
	v_lshlrev_b32_e32 v1, 2, v2
	s_and_saveexec_b64 s[0:1], vcc
	s_cbranch_execz .LBB272_6
; %bb.5:
	v_mov_b32_e32 v3, 0
	ds_write_b32 v1, v3
.LBB272_6:
	s_or_b64 exec, exec, s[0:1]
	v_mbcnt_lo_u32_b32 v3, -1, 0
	v_mbcnt_hi_u32_b32 v7, -1, v3
	v_and_b32_e32 v8, 63, v7
	v_cmp_gt_u32_e64 s[0:1], 32, v8
	v_cndmask_b32_e64 v3, 0, 1, s[0:1]
	v_lshlrev_b32_e32 v3, 5, v3
	v_add_lshl_u32 v3, v3, v7, 2
	ds_bpermute_b32 v3, v3, v6
	v_cmp_gt_u32_e64 s[0:1], 48, v8
	v_cndmask_b32_e64 v4, 0, 1, s[0:1]
	v_lshlrev_b32_e32 v4, 4, v4
	v_add_lshl_u32 v4, v4, v7, 2
	s_waitcnt lgkmcnt(0)
	v_add_f32_e32 v3, v6, v3
	ds_bpermute_b32 v4, v4, v3
	v_cmp_gt_u32_e64 s[0:1], 56, v8
	v_cndmask_b32_e64 v5, 0, 1, s[0:1]
	v_lshlrev_b32_e32 v5, 3, v5
	v_cmp_gt_u32_e64 s[0:1], 60, v8
	s_waitcnt lgkmcnt(0)
	v_add_f32_e32 v4, v3, v4
	v_add_lshl_u32 v3, v5, v7, 2
	ds_bpermute_b32 v5, v3, v4
	v_cndmask_b32_e64 v6, 0, 1, s[0:1]
	v_lshlrev_b32_e32 v6, 2, v6
	v_cmp_gt_u32_e64 s[0:1], 62, v8
	v_cndmask_b32_e64 v9, 0, 1, s[0:1]
	s_waitcnt lgkmcnt(0)
	v_add_f32_e32 v5, v4, v5
	v_add_lshl_u32 v4, v6, v7, 2
	ds_bpermute_b32 v6, v4, v5
	v_lshlrev_b32_e32 v9, 1, v9
	v_cmp_ne_u32_e64 s[0:1], 63, v8
	v_addc_co_u32_e64 v8, s[0:1], 0, v7, s[0:1]
	s_waitcnt lgkmcnt(0)
	v_add_f32_e32 v6, v5, v6
	v_add_lshl_u32 v5, v9, v7, 2
	ds_bpermute_b32 v9, v5, v6
	v_cmp_eq_u32_e64 s[0:1], 0, v2
	s_waitcnt lgkmcnt(0)
	s_barrier
	v_add_f32_e32 v7, v6, v9
	v_lshlrev_b32_e32 v6, 2, v8
	ds_bpermute_b32 v8, v6, v7
	s_and_saveexec_b64 s[4:5], s[0:1]
	s_cbranch_execz .LBB272_8
; %bb.7:
	s_waitcnt lgkmcnt(0)
	v_add_f32_e32 v2, v7, v8
	v_lshrrev_b32_e32 v7, 4, v0
	v_and_b32_e32 v7, 60, v7
	ds_write_b32 v7, v2
.LBB272_8:
	s_or_b64 exec, exec, s[4:5]
	v_cmp_gt_u32_e64 s[0:1], 16, v0
	v_mov_b32_e32 v2, 0
	s_waitcnt lgkmcnt(0)
	s_barrier
	s_and_saveexec_b64 s[4:5], s[0:1]
	s_cbranch_execnz .LBB272_12
; %bb.9:
	s_or_b64 exec, exec, s[4:5]
	s_and_saveexec_b64 s[0:1], vcc
	s_cbranch_execnz .LBB272_13
.LBB272_10:
	s_or_b64 exec, exec, s[0:1]
	v_cmp_eq_u32_e32 vcc, 0, v0
	s_and_saveexec_b64 s[0:1], vcc
	s_cbranch_execnz .LBB272_14
.LBB272_11:
	s_endpgm
.LBB272_12:
	ds_read_b32 v2, v1
	s_or_b64 exec, exec, s[4:5]
	s_and_saveexec_b64 s[0:1], vcc
	s_cbranch_execz .LBB272_10
.LBB272_13:
	s_waitcnt lgkmcnt(0)
	ds_bpermute_b32 v1, v3, v2
	s_waitcnt lgkmcnt(0)
	v_add_f32_e32 v1, v2, v1
	ds_bpermute_b32 v2, v4, v1
	s_waitcnt lgkmcnt(0)
	v_add_f32_e32 v1, v1, v2
	;; [unrolled: 3-line block ×4, first 2 shown]
	s_or_b64 exec, exec, s[0:1]
	v_cmp_eq_u32_e32 vcc, 0, v0
	s_and_saveexec_b64 s[0:1], vcc
	s_cbranch_execz .LBB272_11
.LBB272_14:
	s_lshl_b64 s[0:1], s[2:3], 2
	s_add_u32 s0, s6, s0
	s_addc_u32 s1, s7, s1
	v_mov_b32_e32 v0, 0
	s_waitcnt lgkmcnt(0)
	global_store_dword v0, v2, s[0:1]
	s_endpgm
	.section	.rodata,"a",@progbits
	.p2align	6, 0x0
	.amdhsa_kernel _ZL18rocblas_dot_kernelIlLb1ELi1024ELi32ELb1EfPKDF16_fEviT5_lT_lS2_lS3_liPT6_PT4_
		.amdhsa_group_segment_fixed_size 256
		.amdhsa_private_segment_fixed_size 0
		.amdhsa_kernarg_size 352
		.amdhsa_user_sgpr_count 6
		.amdhsa_user_sgpr_private_segment_buffer 1
		.amdhsa_user_sgpr_dispatch_ptr 0
		.amdhsa_user_sgpr_queue_ptr 0
		.amdhsa_user_sgpr_kernarg_segment_ptr 1
		.amdhsa_user_sgpr_dispatch_id 0
		.amdhsa_user_sgpr_flat_scratch_init 0
		.amdhsa_user_sgpr_kernarg_preload_length 0
		.amdhsa_user_sgpr_kernarg_preload_offset 0
		.amdhsa_user_sgpr_private_segment_size 0
		.amdhsa_uses_dynamic_stack 0
		.amdhsa_system_sgpr_private_segment_wavefront_offset 0
		.amdhsa_system_sgpr_workgroup_id_x 1
		.amdhsa_system_sgpr_workgroup_id_y 0
		.amdhsa_system_sgpr_workgroup_id_z 1
		.amdhsa_system_sgpr_workgroup_info 0
		.amdhsa_system_vgpr_workitem_id 0
		.amdhsa_next_free_vgpr 11
		.amdhsa_next_free_sgpr 26
		.amdhsa_accum_offset 12
		.amdhsa_reserve_vcc 1
		.amdhsa_reserve_flat_scratch 0
		.amdhsa_float_round_mode_32 0
		.amdhsa_float_round_mode_16_64 0
		.amdhsa_float_denorm_mode_32 3
		.amdhsa_float_denorm_mode_16_64 3
		.amdhsa_dx10_clamp 1
		.amdhsa_ieee_mode 1
		.amdhsa_fp16_overflow 0
		.amdhsa_tg_split 0
		.amdhsa_exception_fp_ieee_invalid_op 0
		.amdhsa_exception_fp_denorm_src 0
		.amdhsa_exception_fp_ieee_div_zero 0
		.amdhsa_exception_fp_ieee_overflow 0
		.amdhsa_exception_fp_ieee_underflow 0
		.amdhsa_exception_fp_ieee_inexact 0
		.amdhsa_exception_int_div_zero 0
	.end_amdhsa_kernel
	.section	.text._ZL18rocblas_dot_kernelIlLb1ELi1024ELi32ELb1EfPKDF16_fEviT5_lT_lS2_lS3_liPT6_PT4_,"axG",@progbits,_ZL18rocblas_dot_kernelIlLb1ELi1024ELi32ELb1EfPKDF16_fEviT5_lT_lS2_lS3_liPT6_PT4_,comdat
.Lfunc_end272:
	.size	_ZL18rocblas_dot_kernelIlLb1ELi1024ELi32ELb1EfPKDF16_fEviT5_lT_lS2_lS3_liPT6_PT4_, .Lfunc_end272-_ZL18rocblas_dot_kernelIlLb1ELi1024ELi32ELb1EfPKDF16_fEviT5_lT_lS2_lS3_liPT6_PT4_
                                        ; -- End function
	.section	.AMDGPU.csdata,"",@progbits
; Kernel info:
; codeLenInByte = 1004
; NumSgprs: 30
; NumVgprs: 11
; NumAgprs: 0
; TotalNumVgprs: 11
; ScratchSize: 0
; MemoryBound: 0
; FloatMode: 240
; IeeeMode: 1
; LDSByteSize: 256 bytes/workgroup (compile time only)
; SGPRBlocks: 3
; VGPRBlocks: 1
; NumSGPRsForWavesPerEU: 30
; NumVGPRsForWavesPerEU: 11
; AccumOffset: 12
; Occupancy: 8
; WaveLimiterHint : 0
; COMPUTE_PGM_RSRC2:SCRATCH_EN: 0
; COMPUTE_PGM_RSRC2:USER_SGPR: 6
; COMPUTE_PGM_RSRC2:TRAP_HANDLER: 0
; COMPUTE_PGM_RSRC2:TGID_X_EN: 1
; COMPUTE_PGM_RSRC2:TGID_Y_EN: 0
; COMPUTE_PGM_RSRC2:TGID_Z_EN: 1
; COMPUTE_PGM_RSRC2:TIDIG_COMP_CNT: 0
; COMPUTE_PGM_RSRC3_GFX90A:ACCUM_OFFSET: 2
; COMPUTE_PGM_RSRC3_GFX90A:TG_SPLIT: 0
	.section	.text._ZL24rocblas_dot_kernel_magsqIlLb1ELi1024ELi32ELb1EfPKDF16_fEviT5_lT_liPT6_PT4_,"axG",@progbits,_ZL24rocblas_dot_kernel_magsqIlLb1ELi1024ELi32ELb1EfPKDF16_fEviT5_lT_liPT6_PT4_,comdat
	.globl	_ZL24rocblas_dot_kernel_magsqIlLb1ELi1024ELi32ELb1EfPKDF16_fEviT5_lT_liPT6_PT4_ ; -- Begin function _ZL24rocblas_dot_kernel_magsqIlLb1ELi1024ELi32ELb1EfPKDF16_fEviT5_lT_liPT6_PT4_
	.p2align	8
	.type	_ZL24rocblas_dot_kernel_magsqIlLb1ELi1024ELi32ELb1EfPKDF16_fEviT5_lT_liPT6_PT4_,@function
_ZL24rocblas_dot_kernel_magsqIlLb1ELi1024ELi32ELb1EfPKDF16_fEviT5_lT_liPT6_PT4_: ; @_ZL24rocblas_dot_kernel_magsqIlLb1ELi1024ELi32ELb1EfPKDF16_fEviT5_lT_liPT6_PT4_
; %bb.0:
	s_mov_b32 s2, s7
	s_load_dword s12, s[4:5], 0x0
	s_load_dwordx2 s[6:7], s[4:5], 0x38
	s_mov_b32 s3, 0
	v_mov_b32_e32 v1, 0
	s_waitcnt lgkmcnt(0)
	v_cmp_gt_i32_e32 vcc, s12, v0
	s_and_saveexec_b64 s[8:9], vcc
	s_cbranch_execz .LBB273_4
; %bb.1:
	s_load_dword s13, s[4:5], 0x40
	s_load_dwordx2 s[0:1], s[4:5], 0x20
	s_load_dwordx2 s[10:11], s[4:5], 0x8
	s_load_dwordx4 s[16:19], s[4:5], 0x10
	s_waitcnt lgkmcnt(0)
	s_lshl_b32 s13, s13, 10
	s_mul_i32 s1, s1, s2
	s_mul_hi_u32 s4, s0, s2
	s_add_i32 s1, s4, s1
	v_mad_u64_u32 v[2:3], s[4:5], s18, v0, 0
	v_mov_b32_e32 v6, v3
	s_mul_i32 s0, s0, s2
	v_mad_u64_u32 v[6:7], s[4:5], s19, v0, v[6:7]
	s_lshl_b64 s[0:1], s[0:1], 1
	s_lshl_b64 s[4:5], s[16:17], 1
	s_add_u32 s4, s10, s4
	v_mov_b32_e32 v3, v6
	s_addc_u32 s5, s11, s5
	v_lshlrev_b64 v[2:3], 1, v[2:3]
	s_add_u32 s0, s4, s0
	s_addc_u32 s1, s5, s1
	v_add_co_u32_e32 v2, vcc, s0, v2
	s_ashr_i32 s0, s13, 31
	v_mov_b32_e32 v1, s1
	s_mul_i32 s0, s18, s0
	s_mul_hi_u32 s1, s18, s13
	s_add_i32 s0, s1, s0
	s_mul_i32 s1, s19, s13
	s_add_i32 s1, s0, s1
	s_mul_i32 s0, s18, s13
	s_lshl_b64 s[10:11], s[0:1], 1
	v_or_b32_e32 v4, s13, v0
	v_addc_co_u32_e32 v3, vcc, v1, v3, vcc
	s_mov_b64 s[4:5], 0
	v_mov_b32_e32 v1, 0
	v_mov_b32_e32 v5, s11
	s_mov_b32 s11, s3
.LBB273_2:                              ; =>This Inner Loop Header: Depth=1
	global_load_ushort v6, v[2:3], off
	s_add_i32 s14, s11, 1
	v_add_co_u32_e64 v2, s[0:1], s10, v2
	v_addc_co_u32_e64 v3, s[0:1], v3, v5, s[0:1]
	s_cmp_gt_u32 s11, 30
	v_cmp_le_i32_e32 vcc, s12, v4
	s_cselect_b64 s[0:1], -1, 0
	s_or_b64 s[0:1], s[0:1], vcc
	s_and_b64 s[0:1], exec, s[0:1]
	v_add_u32_e32 v4, s13, v4
	s_mov_b32 s11, s14
	s_or_b64 s[4:5], s[0:1], s[4:5]
	s_waitcnt vmcnt(0)
	v_fma_mix_f32 v1, v6, v6, v1 op_sel_hi:[1,1,0]
	s_andn2_b64 exec, exec, s[4:5]
	s_cbranch_execnz .LBB273_2
; %bb.3:
	s_or_b64 exec, exec, s[4:5]
.LBB273_4:
	s_or_b64 exec, exec, s[8:9]
	v_and_b32_e32 v3, 63, v0
	v_cmp_gt_u32_e32 vcc, 64, v0
	v_lshlrev_b32_e32 v2, 2, v3
	s_and_saveexec_b64 s[0:1], vcc
	s_cbranch_execz .LBB273_6
; %bb.5:
	v_mov_b32_e32 v4, 0
	ds_write_b32 v2, v4
.LBB273_6:
	s_or_b64 exec, exec, s[0:1]
	v_mbcnt_lo_u32_b32 v4, -1, 0
	v_mbcnt_hi_u32_b32 v6, -1, v4
	v_and_b32_e32 v7, 63, v6
	v_cmp_gt_u32_e64 s[0:1], 32, v7
	v_cndmask_b32_e64 v4, 0, 1, s[0:1]
	v_lshlrev_b32_e32 v4, 5, v4
	v_add_lshl_u32 v4, v4, v6, 2
	ds_bpermute_b32 v4, v4, v1
	v_cmp_gt_u32_e64 s[0:1], 48, v7
	v_cndmask_b32_e64 v5, 0, 1, s[0:1]
	v_lshlrev_b32_e32 v5, 4, v5
	v_cmp_gt_u32_e64 s[0:1], 56, v7
	s_waitcnt lgkmcnt(0)
	v_add_f32_e32 v1, v1, v4
	v_add_lshl_u32 v4, v5, v6, 2
	ds_bpermute_b32 v4, v4, v1
	v_cndmask_b32_e64 v5, 0, 1, s[0:1]
	v_lshlrev_b32_e32 v5, 3, v5
	v_cmp_gt_u32_e64 s[0:1], 60, v7
	v_cndmask_b32_e64 v8, 0, 1, s[0:1]
	s_waitcnt lgkmcnt(0)
	v_add_f32_e32 v4, v1, v4
	v_add_lshl_u32 v1, v5, v6, 2
	ds_bpermute_b32 v5, v1, v4
	v_lshlrev_b32_e32 v8, 2, v8
	v_cmp_gt_u32_e64 s[0:1], 62, v7
	v_cndmask_b32_e64 v9, 0, 1, s[0:1]
	v_lshlrev_b32_e32 v9, 1, v9
	s_waitcnt lgkmcnt(0)
	v_add_f32_e32 v5, v4, v5
	v_add_lshl_u32 v4, v8, v6, 2
	ds_bpermute_b32 v8, v4, v5
	v_cmp_ne_u32_e64 s[0:1], 63, v7
	s_waitcnt lgkmcnt(0)
	s_barrier
	v_add_f32_e32 v8, v5, v8
	v_add_lshl_u32 v5, v9, v6, 2
	ds_bpermute_b32 v9, v5, v8
	v_addc_co_u32_e64 v6, s[0:1], 0, v6, s[0:1]
	v_lshlrev_b32_e32 v6, 2, v6
	v_cmp_eq_u32_e64 s[0:1], 0, v3
	s_waitcnt lgkmcnt(0)
	v_add_f32_e32 v7, v8, v9
	ds_bpermute_b32 v8, v6, v7
	s_and_saveexec_b64 s[4:5], s[0:1]
	s_cbranch_execz .LBB273_8
; %bb.7:
	s_waitcnt lgkmcnt(0)
	v_add_f32_e32 v3, v7, v8
	v_lshrrev_b32_e32 v7, 4, v0
	v_and_b32_e32 v7, 60, v7
	ds_write_b32 v7, v3
.LBB273_8:
	s_or_b64 exec, exec, s[4:5]
	v_cmp_gt_u32_e64 s[0:1], 16, v0
	v_mov_b32_e32 v3, 0
	s_waitcnt lgkmcnt(0)
	s_barrier
	s_and_saveexec_b64 s[4:5], s[0:1]
	s_cbranch_execnz .LBB273_12
; %bb.9:
	s_or_b64 exec, exec, s[4:5]
	s_and_saveexec_b64 s[0:1], vcc
	s_cbranch_execnz .LBB273_13
.LBB273_10:
	s_or_b64 exec, exec, s[0:1]
	v_cmp_eq_u32_e32 vcc, 0, v0
	s_and_saveexec_b64 s[0:1], vcc
	s_cbranch_execnz .LBB273_14
.LBB273_11:
	s_endpgm
.LBB273_12:
	ds_read_b32 v3, v2
	s_or_b64 exec, exec, s[4:5]
	s_and_saveexec_b64 s[0:1], vcc
	s_cbranch_execz .LBB273_10
.LBB273_13:
	s_waitcnt lgkmcnt(0)
	ds_bpermute_b32 v1, v1, v3
	s_waitcnt lgkmcnt(0)
	v_add_f32_e32 v1, v3, v1
	ds_bpermute_b32 v2, v4, v1
	s_waitcnt lgkmcnt(0)
	v_add_f32_e32 v1, v1, v2
	;; [unrolled: 3-line block ×4, first 2 shown]
	s_or_b64 exec, exec, s[0:1]
	v_cmp_eq_u32_e32 vcc, 0, v0
	s_and_saveexec_b64 s[0:1], vcc
	s_cbranch_execz .LBB273_11
.LBB273_14:
	s_lshl_b64 s[0:1], s[2:3], 2
	s_add_u32 s0, s6, s0
	s_addc_u32 s1, s7, s1
	v_mov_b32_e32 v0, 0
	s_waitcnt lgkmcnt(0)
	global_store_dword v0, v3, s[0:1]
	s_endpgm
	.section	.rodata,"a",@progbits
	.p2align	6, 0x0
	.amdhsa_kernel _ZL24rocblas_dot_kernel_magsqIlLb1ELi1024ELi32ELb1EfPKDF16_fEviT5_lT_liPT6_PT4_
		.amdhsa_group_segment_fixed_size 256
		.amdhsa_private_segment_fixed_size 0
		.amdhsa_kernarg_size 320
		.amdhsa_user_sgpr_count 6
		.amdhsa_user_sgpr_private_segment_buffer 1
		.amdhsa_user_sgpr_dispatch_ptr 0
		.amdhsa_user_sgpr_queue_ptr 0
		.amdhsa_user_sgpr_kernarg_segment_ptr 1
		.amdhsa_user_sgpr_dispatch_id 0
		.amdhsa_user_sgpr_flat_scratch_init 0
		.amdhsa_user_sgpr_kernarg_preload_length 0
		.amdhsa_user_sgpr_kernarg_preload_offset 0
		.amdhsa_user_sgpr_private_segment_size 0
		.amdhsa_uses_dynamic_stack 0
		.amdhsa_system_sgpr_private_segment_wavefront_offset 0
		.amdhsa_system_sgpr_workgroup_id_x 1
		.amdhsa_system_sgpr_workgroup_id_y 0
		.amdhsa_system_sgpr_workgroup_id_z 1
		.amdhsa_system_sgpr_workgroup_info 0
		.amdhsa_system_vgpr_workitem_id 0
		.amdhsa_next_free_vgpr 10
		.amdhsa_next_free_sgpr 20
		.amdhsa_accum_offset 12
		.amdhsa_reserve_vcc 1
		.amdhsa_reserve_flat_scratch 0
		.amdhsa_float_round_mode_32 0
		.amdhsa_float_round_mode_16_64 0
		.amdhsa_float_denorm_mode_32 3
		.amdhsa_float_denorm_mode_16_64 3
		.amdhsa_dx10_clamp 1
		.amdhsa_ieee_mode 1
		.amdhsa_fp16_overflow 0
		.amdhsa_tg_split 0
		.amdhsa_exception_fp_ieee_invalid_op 0
		.amdhsa_exception_fp_denorm_src 0
		.amdhsa_exception_fp_ieee_div_zero 0
		.amdhsa_exception_fp_ieee_overflow 0
		.amdhsa_exception_fp_ieee_underflow 0
		.amdhsa_exception_fp_ieee_inexact 0
		.amdhsa_exception_int_div_zero 0
	.end_amdhsa_kernel
	.section	.text._ZL24rocblas_dot_kernel_magsqIlLb1ELi1024ELi32ELb1EfPKDF16_fEviT5_lT_liPT6_PT4_,"axG",@progbits,_ZL24rocblas_dot_kernel_magsqIlLb1ELi1024ELi32ELb1EfPKDF16_fEviT5_lT_liPT6_PT4_,comdat
.Lfunc_end273:
	.size	_ZL24rocblas_dot_kernel_magsqIlLb1ELi1024ELi32ELb1EfPKDF16_fEviT5_lT_liPT6_PT4_, .Lfunc_end273-_ZL24rocblas_dot_kernel_magsqIlLb1ELi1024ELi32ELb1EfPKDF16_fEviT5_lT_liPT6_PT4_
                                        ; -- End function
	.section	.AMDGPU.csdata,"",@progbits
; Kernel info:
; codeLenInByte = 856
; NumSgprs: 24
; NumVgprs: 10
; NumAgprs: 0
; TotalNumVgprs: 10
; ScratchSize: 0
; MemoryBound: 0
; FloatMode: 240
; IeeeMode: 1
; LDSByteSize: 256 bytes/workgroup (compile time only)
; SGPRBlocks: 2
; VGPRBlocks: 1
; NumSGPRsForWavesPerEU: 24
; NumVGPRsForWavesPerEU: 10
; AccumOffset: 12
; Occupancy: 8
; WaveLimiterHint : 0
; COMPUTE_PGM_RSRC2:SCRATCH_EN: 0
; COMPUTE_PGM_RSRC2:USER_SGPR: 6
; COMPUTE_PGM_RSRC2:TRAP_HANDLER: 0
; COMPUTE_PGM_RSRC2:TGID_X_EN: 1
; COMPUTE_PGM_RSRC2:TGID_Y_EN: 0
; COMPUTE_PGM_RSRC2:TGID_Z_EN: 1
; COMPUTE_PGM_RSRC2:TIDIG_COMP_CNT: 0
; COMPUTE_PGM_RSRC3_GFX90A:ACCUM_OFFSET: 2
; COMPUTE_PGM_RSRC3_GFX90A:TG_SPLIT: 0
	.section	.text._ZL38rocblas_dot_kernel_gfx942_float_doubleIlLi1024EfPKDF16_fEviT2_lT_lS2_lS3_lPT3_PT1_,"axG",@progbits,_ZL38rocblas_dot_kernel_gfx942_float_doubleIlLi1024EfPKDF16_fEviT2_lT_lS2_lS3_lPT3_PT1_,comdat
	.globl	_ZL38rocblas_dot_kernel_gfx942_float_doubleIlLi1024EfPKDF16_fEviT2_lT_lS2_lS3_lPT3_PT1_ ; -- Begin function _ZL38rocblas_dot_kernel_gfx942_float_doubleIlLi1024EfPKDF16_fEviT2_lT_lS2_lS3_lPT3_PT1_
	.p2align	8
	.type	_ZL38rocblas_dot_kernel_gfx942_float_doubleIlLi1024EfPKDF16_fEviT2_lT_lS2_lS3_lPT3_PT1_,@function
_ZL38rocblas_dot_kernel_gfx942_float_doubleIlLi1024EfPKDF16_fEviT2_lT_lS2_lS3_lPT3_PT1_: ; @_ZL38rocblas_dot_kernel_gfx942_float_doubleIlLi1024EfPKDF16_fEviT2_lT_lS2_lS3_lPT3_PT1_
; %bb.0:
	s_endpgm
	.section	.rodata,"a",@progbits
	.p2align	6, 0x0
	.amdhsa_kernel _ZL38rocblas_dot_kernel_gfx942_float_doubleIlLi1024EfPKDF16_fEviT2_lT_lS2_lS3_lPT3_PT1_
		.amdhsa_group_segment_fixed_size 0
		.amdhsa_private_segment_fixed_size 0
		.amdhsa_kernarg_size 88
		.amdhsa_user_sgpr_count 6
		.amdhsa_user_sgpr_private_segment_buffer 1
		.amdhsa_user_sgpr_dispatch_ptr 0
		.amdhsa_user_sgpr_queue_ptr 0
		.amdhsa_user_sgpr_kernarg_segment_ptr 1
		.amdhsa_user_sgpr_dispatch_id 0
		.amdhsa_user_sgpr_flat_scratch_init 0
		.amdhsa_user_sgpr_kernarg_preload_length 0
		.amdhsa_user_sgpr_kernarg_preload_offset 0
		.amdhsa_user_sgpr_private_segment_size 0
		.amdhsa_uses_dynamic_stack 0
		.amdhsa_system_sgpr_private_segment_wavefront_offset 0
		.amdhsa_system_sgpr_workgroup_id_x 1
		.amdhsa_system_sgpr_workgroup_id_y 0
		.amdhsa_system_sgpr_workgroup_id_z 0
		.amdhsa_system_sgpr_workgroup_info 0
		.amdhsa_system_vgpr_workitem_id 0
		.amdhsa_next_free_vgpr 1
		.amdhsa_next_free_sgpr 0
		.amdhsa_accum_offset 4
		.amdhsa_reserve_vcc 0
		.amdhsa_reserve_flat_scratch 0
		.amdhsa_float_round_mode_32 0
		.amdhsa_float_round_mode_16_64 0
		.amdhsa_float_denorm_mode_32 3
		.amdhsa_float_denorm_mode_16_64 3
		.amdhsa_dx10_clamp 1
		.amdhsa_ieee_mode 1
		.amdhsa_fp16_overflow 0
		.amdhsa_tg_split 0
		.amdhsa_exception_fp_ieee_invalid_op 0
		.amdhsa_exception_fp_denorm_src 0
		.amdhsa_exception_fp_ieee_div_zero 0
		.amdhsa_exception_fp_ieee_overflow 0
		.amdhsa_exception_fp_ieee_underflow 0
		.amdhsa_exception_fp_ieee_inexact 0
		.amdhsa_exception_int_div_zero 0
	.end_amdhsa_kernel
	.section	.text._ZL38rocblas_dot_kernel_gfx942_float_doubleIlLi1024EfPKDF16_fEviT2_lT_lS2_lS3_lPT3_PT1_,"axG",@progbits,_ZL38rocblas_dot_kernel_gfx942_float_doubleIlLi1024EfPKDF16_fEviT2_lT_lS2_lS3_lPT3_PT1_,comdat
.Lfunc_end274:
	.size	_ZL38rocblas_dot_kernel_gfx942_float_doubleIlLi1024EfPKDF16_fEviT2_lT_lS2_lS3_lPT3_PT1_, .Lfunc_end274-_ZL38rocblas_dot_kernel_gfx942_float_doubleIlLi1024EfPKDF16_fEviT2_lT_lS2_lS3_lPT3_PT1_
                                        ; -- End function
	.section	.AMDGPU.csdata,"",@progbits
; Kernel info:
; codeLenInByte = 4
; NumSgprs: 4
; NumVgprs: 0
; NumAgprs: 0
; TotalNumVgprs: 0
; ScratchSize: 0
; MemoryBound: 0
; FloatMode: 240
; IeeeMode: 1
; LDSByteSize: 0 bytes/workgroup (compile time only)
; SGPRBlocks: 0
; VGPRBlocks: 0
; NumSGPRsForWavesPerEU: 4
; NumVGPRsForWavesPerEU: 1
; AccumOffset: 4
; Occupancy: 8
; WaveLimiterHint : 0
; COMPUTE_PGM_RSRC2:SCRATCH_EN: 0
; COMPUTE_PGM_RSRC2:USER_SGPR: 6
; COMPUTE_PGM_RSRC2:TRAP_HANDLER: 0
; COMPUTE_PGM_RSRC2:TGID_X_EN: 1
; COMPUTE_PGM_RSRC2:TGID_Y_EN: 0
; COMPUTE_PGM_RSRC2:TGID_Z_EN: 0
; COMPUTE_PGM_RSRC2:TIDIG_COMP_CNT: 0
; COMPUTE_PGM_RSRC3_GFX90A:ACCUM_OFFSET: 0
; COMPUTE_PGM_RSRC3_GFX90A:TG_SPLIT: 0
	.section	.text._ZL30rocblas_reduction_kernel_part2ILi1024ELi4E25rocblas_finalize_identityffEviPT2_PT3_,"axG",@progbits,_ZL30rocblas_reduction_kernel_part2ILi1024ELi4E25rocblas_finalize_identityffEviPT2_PT3_,comdat
	.globl	_ZL30rocblas_reduction_kernel_part2ILi1024ELi4E25rocblas_finalize_identityffEviPT2_PT3_ ; -- Begin function _ZL30rocblas_reduction_kernel_part2ILi1024ELi4E25rocblas_finalize_identityffEviPT2_PT3_
	.p2align	8
	.type	_ZL30rocblas_reduction_kernel_part2ILi1024ELi4E25rocblas_finalize_identityffEviPT2_PT3_,@function
_ZL30rocblas_reduction_kernel_part2ILi1024ELi4E25rocblas_finalize_identityffEviPT2_PT3_: ; @_ZL30rocblas_reduction_kernel_part2ILi1024ELi4E25rocblas_finalize_identityffEviPT2_PT3_
; %bb.0:
	s_load_dword s12, s[4:5], 0x0
	s_load_dwordx4 s[0:3], s[4:5], 0x8
	v_lshlrev_b32_e32 v4, 2, v0
	s_mov_b32 s7, 0
	v_mov_b32_e32 v1, 0
	s_waitcnt lgkmcnt(0)
	s_ashr_i32 s8, s12, 31
	s_mul_i32 s5, s8, s6
	s_lshr_b32 s8, s8, 30
	s_add_i32 s8, s12, s8
	s_mul_hi_u32 s4, s12, s6
	s_and_b32 s13, s8, -4
	s_add_i32 s5, s4, s5
	s_mul_i32 s4, s12, s6
	v_cmp_gt_i32_e32 vcc, s13, v4
	s_and_saveexec_b64 s[8:9], vcc
	s_cbranch_execz .LBB275_4
; %bb.1:
	s_lshl_b64 s[10:11], s[4:5], 2
	s_add_u32 s10, s0, s10
	v_lshlrev_b32_e32 v2, 4, v0
	s_addc_u32 s11, s1, s11
	v_mov_b32_e32 v3, s11
	v_add_co_u32_e32 v2, vcc, s10, v2
	v_addc_co_u32_e32 v3, vcc, 0, v3, vcc
	v_add_co_u32_e32 v2, vcc, 8, v2
	v_mov_b32_e32 v1, 0
	v_addc_co_u32_e32 v3, vcc, 0, v3, vcc
	s_mov_b64 s[10:11], 0
.LBB275_2:                              ; =>This Inner Loop Header: Depth=1
	global_load_dwordx4 v[6:9], v[2:3], off offset:-8
	v_add_co_u32_e32 v2, vcc, 0x4000, v2
	v_add_u32_e32 v4, 0x1000, v4
	v_addc_co_u32_e32 v3, vcc, 0, v3, vcc
	v_cmp_le_i32_e32 vcc, s13, v4
	s_or_b64 s[10:11], vcc, s[10:11]
	s_waitcnt vmcnt(0)
	v_add_f32_e32 v1, v1, v6
	v_add_f32_e32 v1, v1, v7
	;; [unrolled: 1-line block ×4, first 2 shown]
	s_andn2_b64 exec, exec, s[10:11]
	s_cbranch_execnz .LBB275_2
; %bb.3:
	s_or_b64 exec, exec, s[10:11]
.LBB275_4:
	s_or_b64 exec, exec, s[8:9]
	s_sub_i32 s8, s12, s13
	v_cmp_gt_u32_e32 vcc, s8, v0
	s_and_saveexec_b64 s[8:9], vcc
	s_cbranch_execz .LBB275_6
; %bb.5:
	s_lshl_b64 s[4:5], s[4:5], 2
	s_add_u32 s0, s0, s4
	v_xad_u32 v2, v0, -1, s12
	v_mov_b32_e32 v3, 0
	s_addc_u32 s1, s1, s5
	v_lshlrev_b64 v[2:3], 2, v[2:3]
	v_mov_b32_e32 v4, s1
	v_add_co_u32_e32 v2, vcc, s0, v2
	v_addc_co_u32_e32 v3, vcc, v4, v3, vcc
	global_load_dword v2, v[2:3], off
	s_waitcnt vmcnt(0)
	v_add_f32_e32 v1, v1, v2
.LBB275_6:
	s_or_b64 exec, exec, s[8:9]
	v_and_b32_e32 v3, 63, v0
	v_cmp_gt_u32_e32 vcc, 64, v0
	v_lshlrev_b32_e32 v2, 2, v3
	s_and_saveexec_b64 s[0:1], vcc
	s_cbranch_execz .LBB275_8
; %bb.7:
	v_mov_b32_e32 v4, 0
	ds_write_b32 v2, v4
.LBB275_8:
	s_or_b64 exec, exec, s[0:1]
	v_mbcnt_lo_u32_b32 v4, -1, 0
	v_mbcnt_hi_u32_b32 v6, -1, v4
	v_and_b32_e32 v7, 63, v6
	v_cmp_gt_u32_e64 s[0:1], 32, v7
	v_cndmask_b32_e64 v4, 0, 1, s[0:1]
	v_lshlrev_b32_e32 v4, 5, v4
	v_add_lshl_u32 v4, v4, v6, 2
	ds_bpermute_b32 v4, v4, v1
	v_cmp_gt_u32_e64 s[0:1], 48, v7
	v_cndmask_b32_e64 v5, 0, 1, s[0:1]
	v_lshlrev_b32_e32 v5, 4, v5
	v_cmp_gt_u32_e64 s[0:1], 56, v7
	s_waitcnt lgkmcnt(0)
	v_add_f32_e32 v1, v1, v4
	v_add_lshl_u32 v4, v5, v6, 2
	ds_bpermute_b32 v4, v4, v1
	v_cndmask_b32_e64 v5, 0, 1, s[0:1]
	v_lshlrev_b32_e32 v5, 3, v5
	v_cmp_gt_u32_e64 s[0:1], 60, v7
	v_cndmask_b32_e64 v8, 0, 1, s[0:1]
	s_waitcnt lgkmcnt(0)
	v_add_f32_e32 v4, v1, v4
	v_add_lshl_u32 v1, v5, v6, 2
	ds_bpermute_b32 v5, v1, v4
	v_lshlrev_b32_e32 v8, 2, v8
	v_cmp_gt_u32_e64 s[0:1], 62, v7
	v_cndmask_b32_e64 v9, 0, 1, s[0:1]
	v_lshlrev_b32_e32 v9, 1, v9
	s_waitcnt lgkmcnt(0)
	v_add_f32_e32 v5, v4, v5
	v_add_lshl_u32 v4, v8, v6, 2
	ds_bpermute_b32 v8, v4, v5
	v_cmp_ne_u32_e64 s[0:1], 63, v7
	s_waitcnt lgkmcnt(0)
	s_barrier
	v_add_f32_e32 v8, v5, v8
	v_add_lshl_u32 v5, v9, v6, 2
	ds_bpermute_b32 v9, v5, v8
	v_addc_co_u32_e64 v6, s[0:1], 0, v6, s[0:1]
	v_lshlrev_b32_e32 v6, 2, v6
	v_cmp_eq_u32_e64 s[0:1], 0, v3
	s_waitcnt lgkmcnt(0)
	v_add_f32_e32 v7, v8, v9
	ds_bpermute_b32 v8, v6, v7
	s_and_saveexec_b64 s[4:5], s[0:1]
	s_cbranch_execz .LBB275_10
; %bb.9:
	s_waitcnt lgkmcnt(0)
	v_add_f32_e32 v3, v7, v8
	v_lshrrev_b32_e32 v7, 4, v0
	v_and_b32_e32 v7, 60, v7
	ds_write_b32 v7, v3
.LBB275_10:
	s_or_b64 exec, exec, s[4:5]
	v_cmp_gt_u32_e64 s[0:1], 16, v0
	v_mov_b32_e32 v3, 0
	s_waitcnt lgkmcnt(0)
	s_barrier
	s_and_saveexec_b64 s[4:5], s[0:1]
	s_cbranch_execnz .LBB275_14
; %bb.11:
	s_or_b64 exec, exec, s[4:5]
	s_and_saveexec_b64 s[0:1], vcc
	s_cbranch_execnz .LBB275_15
.LBB275_12:
	s_or_b64 exec, exec, s[0:1]
	v_cmp_eq_u32_e32 vcc, 0, v0
	s_and_saveexec_b64 s[0:1], vcc
	s_cbranch_execnz .LBB275_16
.LBB275_13:
	s_endpgm
.LBB275_14:
	ds_read_b32 v3, v2
	s_or_b64 exec, exec, s[4:5]
	s_and_saveexec_b64 s[0:1], vcc
	s_cbranch_execz .LBB275_12
.LBB275_15:
	s_waitcnt lgkmcnt(0)
	ds_bpermute_b32 v1, v1, v3
	s_waitcnt lgkmcnt(0)
	v_add_f32_e32 v1, v3, v1
	ds_bpermute_b32 v2, v4, v1
	s_waitcnt lgkmcnt(0)
	v_add_f32_e32 v1, v1, v2
	;; [unrolled: 3-line block ×4, first 2 shown]
	s_or_b64 exec, exec, s[0:1]
	v_cmp_eq_u32_e32 vcc, 0, v0
	s_and_saveexec_b64 s[0:1], vcc
	s_cbranch_execz .LBB275_13
.LBB275_16:
	s_lshl_b64 s[0:1], s[6:7], 2
	s_add_u32 s0, s2, s0
	s_addc_u32 s1, s3, s1
	v_mov_b32_e32 v0, 0
	s_waitcnt lgkmcnt(0)
	global_store_dword v0, v3, s[0:1]
	s_endpgm
	.section	.rodata,"a",@progbits
	.p2align	6, 0x0
	.amdhsa_kernel _ZL30rocblas_reduction_kernel_part2ILi1024ELi4E25rocblas_finalize_identityffEviPT2_PT3_
		.amdhsa_group_segment_fixed_size 256
		.amdhsa_private_segment_fixed_size 0
		.amdhsa_kernarg_size 24
		.amdhsa_user_sgpr_count 6
		.amdhsa_user_sgpr_private_segment_buffer 1
		.amdhsa_user_sgpr_dispatch_ptr 0
		.amdhsa_user_sgpr_queue_ptr 0
		.amdhsa_user_sgpr_kernarg_segment_ptr 1
		.amdhsa_user_sgpr_dispatch_id 0
		.amdhsa_user_sgpr_flat_scratch_init 0
		.amdhsa_user_sgpr_kernarg_preload_length 0
		.amdhsa_user_sgpr_kernarg_preload_offset 0
		.amdhsa_user_sgpr_private_segment_size 0
		.amdhsa_uses_dynamic_stack 0
		.amdhsa_system_sgpr_private_segment_wavefront_offset 0
		.amdhsa_system_sgpr_workgroup_id_x 1
		.amdhsa_system_sgpr_workgroup_id_y 0
		.amdhsa_system_sgpr_workgroup_id_z 0
		.amdhsa_system_sgpr_workgroup_info 0
		.amdhsa_system_vgpr_workitem_id 0
		.amdhsa_next_free_vgpr 10
		.amdhsa_next_free_sgpr 14
		.amdhsa_accum_offset 12
		.amdhsa_reserve_vcc 1
		.amdhsa_reserve_flat_scratch 0
		.amdhsa_float_round_mode_32 0
		.amdhsa_float_round_mode_16_64 0
		.amdhsa_float_denorm_mode_32 3
		.amdhsa_float_denorm_mode_16_64 3
		.amdhsa_dx10_clamp 1
		.amdhsa_ieee_mode 1
		.amdhsa_fp16_overflow 0
		.amdhsa_tg_split 0
		.amdhsa_exception_fp_ieee_invalid_op 0
		.amdhsa_exception_fp_denorm_src 0
		.amdhsa_exception_fp_ieee_div_zero 0
		.amdhsa_exception_fp_ieee_overflow 0
		.amdhsa_exception_fp_ieee_underflow 0
		.amdhsa_exception_fp_ieee_inexact 0
		.amdhsa_exception_int_div_zero 0
	.end_amdhsa_kernel
	.section	.text._ZL30rocblas_reduction_kernel_part2ILi1024ELi4E25rocblas_finalize_identityffEviPT2_PT3_,"axG",@progbits,_ZL30rocblas_reduction_kernel_part2ILi1024ELi4E25rocblas_finalize_identityffEviPT2_PT3_,comdat
.Lfunc_end275:
	.size	_ZL30rocblas_reduction_kernel_part2ILi1024ELi4E25rocblas_finalize_identityffEviPT2_PT3_, .Lfunc_end275-_ZL30rocblas_reduction_kernel_part2ILi1024ELi4E25rocblas_finalize_identityffEviPT2_PT3_
                                        ; -- End function
	.section	.AMDGPU.csdata,"",@progbits
; Kernel info:
; codeLenInByte = 820
; NumSgprs: 18
; NumVgprs: 10
; NumAgprs: 0
; TotalNumVgprs: 10
; ScratchSize: 0
; MemoryBound: 0
; FloatMode: 240
; IeeeMode: 1
; LDSByteSize: 256 bytes/workgroup (compile time only)
; SGPRBlocks: 2
; VGPRBlocks: 1
; NumSGPRsForWavesPerEU: 18
; NumVGPRsForWavesPerEU: 10
; AccumOffset: 12
; Occupancy: 8
; WaveLimiterHint : 0
; COMPUTE_PGM_RSRC2:SCRATCH_EN: 0
; COMPUTE_PGM_RSRC2:USER_SGPR: 6
; COMPUTE_PGM_RSRC2:TRAP_HANDLER: 0
; COMPUTE_PGM_RSRC2:TGID_X_EN: 1
; COMPUTE_PGM_RSRC2:TGID_Y_EN: 0
; COMPUTE_PGM_RSRC2:TGID_Z_EN: 0
; COMPUTE_PGM_RSRC2:TIDIG_COMP_CNT: 0
; COMPUTE_PGM_RSRC3_GFX90A:ACCUM_OFFSET: 2
; COMPUTE_PGM_RSRC3_GFX90A:TG_SPLIT: 0
	.section	.text._ZL23rocblas_dot_kernel_inc1ILb0ELi512ELi4ELb1EfPKDF16_fEviT4_llS2_lliPT5_PT3_,"axG",@progbits,_ZL23rocblas_dot_kernel_inc1ILb0ELi512ELi4ELb1EfPKDF16_fEviT4_llS2_lliPT5_PT3_,comdat
	.globl	_ZL23rocblas_dot_kernel_inc1ILb0ELi512ELi4ELb1EfPKDF16_fEviT4_llS2_lliPT5_PT3_ ; -- Begin function _ZL23rocblas_dot_kernel_inc1ILb0ELi512ELi4ELb1EfPKDF16_fEviT4_llS2_lliPT5_PT3_
	.p2align	8
	.type	_ZL23rocblas_dot_kernel_inc1ILb0ELi512ELi4ELb1EfPKDF16_fEviT4_llS2_lliPT5_PT3_,@function
_ZL23rocblas_dot_kernel_inc1ILb0ELi512ELi4ELb1EfPKDF16_fEviT4_llS2_lliPT5_PT3_: ; @_ZL23rocblas_dot_kernel_inc1ILb0ELi512ELi4ELb1EfPKDF16_fEviT4_llS2_lliPT5_PT3_
; %bb.0:
	s_mov_b32 s2, s7
	s_load_dword s18, s[4:5], 0x50
	s_load_dword s7, s[4:5], 0x0
	s_load_dwordx4 s[8:11], s[4:5], 0x40
	v_lshl_or_b32 v2, s6, 9, v0
	s_mov_b32 s3, 0
	v_mov_b32_e32 v1, 0
	s_waitcnt lgkmcnt(0)
	v_cmp_gt_i32_e32 vcc, s7, v2
	s_and_saveexec_b64 s[12:13], vcc
	s_cbranch_execz .LBB276_4
; %bb.1:
	s_load_dwordx4 s[20:23], s[4:5], 0x10
	s_load_dwordx2 s[0:1], s[4:5], 0x8
	s_load_dwordx2 s[14:15], s[4:5], 0x20
	s_load_dwordx4 s[24:27], s[4:5], 0x28
	v_ashrrev_i32_e32 v3, 31, v2
	s_waitcnt lgkmcnt(0)
	s_mul_i32 s4, s2, s23
	s_mul_hi_u32 s5, s2, s22
	s_add_i32 s5, s5, s4
	s_mul_i32 s4, s2, s22
	s_lshl_b64 s[4:5], s[4:5], 1
	s_add_u32 s4, s0, s4
	s_addc_u32 s5, s1, s5
	s_lshl_b64 s[0:1], s[20:21], 1
	s_add_u32 s19, s4, s0
	s_addc_u32 s21, s5, s1
	s_mul_i32 s0, s2, s27
	s_mul_hi_u32 s1, s2, s26
	s_add_i32 s1, s1, s0
	s_mul_i32 s0, s2, s26
	s_lshl_b64 s[0:1], s[0:1], 1
	s_add_u32 s4, s14, s0
	s_addc_u32 s5, s15, s1
	s_lshl_b64 s[0:1], s[24:25], 1
	s_add_u32 s20, s4, s0
	s_addc_u32 s0, s5, s1
	s_lshl_b32 s4, s18, 9
	s_ashr_i32 s5, s4, 31
	s_lshl_b64 s[16:17], s[4:5], 1
	v_add_u32_e32 v4, s4, v2
	v_lshlrev_b64 v[2:3], 1, v[2:3]
	s_mov_b64 s[14:15], 0
	v_mov_b32_e32 v1, 0
	v_mov_b32_e32 v5, s0
	;; [unrolled: 1-line block ×4, first 2 shown]
	s_mov_b32 s5, s3
.LBB276_2:                              ; =>This Inner Loop Header: Depth=1
	v_add_co_u32_e32 v8, vcc, s20, v2
	v_addc_co_u32_e32 v9, vcc, v5, v3, vcc
	v_add_co_u32_e32 v10, vcc, s19, v2
	v_addc_co_u32_e32 v11, vcc, v6, v3, vcc
	global_load_ushort v12, v[8:9], off
	global_load_ushort v13, v[10:11], off
	s_add_i32 s17, s5, 1
	v_add_co_u32_e64 v2, s[0:1], s16, v2
	v_addc_co_u32_e64 v3, s[0:1], v3, v7, s[0:1]
	s_cmp_gt_u32 s5, 2
	v_cmp_le_i32_e32 vcc, s7, v4
	s_cselect_b64 s[0:1], -1, 0
	s_or_b64 s[0:1], s[0:1], vcc
	s_and_b64 s[0:1], exec, s[0:1]
	v_add_u32_e32 v4, s4, v4
	s_mov_b32 s5, s17
	s_or_b64 s[14:15], s[0:1], s[14:15]
	s_waitcnt vmcnt(0)
	v_fma_mix_f32 v1, v12, v13, v1 op_sel_hi:[1,1,0]
	s_andn2_b64 exec, exec, s[14:15]
	s_cbranch_execnz .LBB276_2
; %bb.3:
	s_or_b64 exec, exec, s[14:15]
.LBB276_4:
	s_or_b64 exec, exec, s[12:13]
	v_and_b32_e32 v3, 63, v0
	v_cmp_gt_u32_e32 vcc, 64, v0
	v_lshlrev_b32_e32 v2, 2, v3
	s_and_saveexec_b64 s[0:1], vcc
	s_cbranch_execz .LBB276_6
; %bb.5:
	v_mov_b32_e32 v4, 0
	ds_write_b32 v2, v4
.LBB276_6:
	s_or_b64 exec, exec, s[0:1]
	v_mbcnt_lo_u32_b32 v4, -1, 0
	v_mbcnt_hi_u32_b32 v6, -1, v4
	v_and_b32_e32 v7, 63, v6
	v_cmp_gt_u32_e64 s[0:1], 32, v7
	v_cndmask_b32_e64 v4, 0, 1, s[0:1]
	v_lshlrev_b32_e32 v4, 5, v4
	v_add_lshl_u32 v4, v4, v6, 2
	ds_bpermute_b32 v4, v4, v1
	v_cmp_gt_u32_e64 s[0:1], 48, v7
	v_cndmask_b32_e64 v5, 0, 1, s[0:1]
	v_lshlrev_b32_e32 v5, 4, v5
	v_cmp_gt_u32_e64 s[0:1], 56, v7
	s_waitcnt lgkmcnt(0)
	v_add_f32_e32 v1, v1, v4
	v_add_lshl_u32 v4, v5, v6, 2
	ds_bpermute_b32 v4, v4, v1
	v_cndmask_b32_e64 v5, 0, 1, s[0:1]
	v_lshlrev_b32_e32 v5, 3, v5
	v_cmp_gt_u32_e64 s[0:1], 60, v7
	s_waitcnt lgkmcnt(0)
	v_add_f32_e32 v1, v1, v4
	v_add_lshl_u32 v4, v5, v6, 2
	ds_bpermute_b32 v4, v4, v1
	v_cndmask_b32_e64 v5, 0, 1, s[0:1]
	v_lshlrev_b32_e32 v5, 2, v5
	v_cmp_gt_u32_e64 s[0:1], 62, v7
	v_cndmask_b32_e64 v8, 0, 1, s[0:1]
	s_waitcnt lgkmcnt(0)
	v_add_f32_e32 v1, v1, v4
	v_add_lshl_u32 v4, v5, v6, 2
	ds_bpermute_b32 v5, v4, v1
	v_lshlrev_b32_e32 v8, 1, v8
	v_cmp_ne_u32_e64 s[0:1], 63, v7
	s_barrier
	s_waitcnt lgkmcnt(0)
	v_add_f32_e32 v1, v1, v5
	v_add_lshl_u32 v5, v8, v6, 2
	ds_bpermute_b32 v8, v5, v1
	v_addc_co_u32_e64 v6, s[0:1], 0, v6, s[0:1]
	v_lshlrev_b32_e32 v6, 2, v6
	v_cmp_eq_u32_e64 s[0:1], 0, v3
	s_waitcnt lgkmcnt(0)
	v_add_f32_e32 v1, v1, v8
	ds_bpermute_b32 v7, v6, v1
	s_and_saveexec_b64 s[4:5], s[0:1]
	s_cbranch_execz .LBB276_8
; %bb.7:
	v_lshrrev_b32_e32 v3, 4, v0
	s_waitcnt lgkmcnt(0)
	v_add_f32_e32 v1, v1, v7
	v_and_b32_e32 v3, 28, v3
	ds_write_b32 v3, v1
.LBB276_8:
	s_or_b64 exec, exec, s[4:5]
	v_cmp_gt_u32_e64 s[0:1], 8, v0
	v_mov_b32_e32 v1, 0
	s_waitcnt lgkmcnt(0)
	s_barrier
	s_and_saveexec_b64 s[4:5], s[0:1]
	s_cbranch_execnz .LBB276_12
; %bb.9:
	s_or_b64 exec, exec, s[4:5]
	s_and_saveexec_b64 s[0:1], vcc
	s_cbranch_execnz .LBB276_13
.LBB276_10:
	s_or_b64 exec, exec, s[0:1]
	v_cmp_eq_u32_e32 vcc, 0, v0
	s_and_saveexec_b64 s[0:1], vcc
	s_cbranch_execnz .LBB276_14
.LBB276_11:
	s_endpgm
.LBB276_12:
	ds_read_b32 v1, v2
	s_or_b64 exec, exec, s[4:5]
	s_and_saveexec_b64 s[0:1], vcc
	s_cbranch_execz .LBB276_10
.LBB276_13:
	s_waitcnt lgkmcnt(0)
	ds_bpermute_b32 v2, v4, v1
	s_waitcnt lgkmcnt(0)
	v_add_f32_e32 v1, v1, v2
	ds_bpermute_b32 v2, v5, v1
	s_waitcnt lgkmcnt(0)
	v_add_f32_e32 v1, v1, v2
	;; [unrolled: 3-line block ×3, first 2 shown]
	s_or_b64 exec, exec, s[0:1]
	v_cmp_eq_u32_e32 vcc, 0, v0
	s_and_saveexec_b64 s[0:1], vcc
	s_cbranch_execz .LBB276_11
.LBB276_14:
	s_cmp_lg_u32 s18, 1
	s_cbranch_scc0 .LBB276_16
; %bb.15:
	s_mul_hi_u32 s1, s18, s2
	s_mul_i32 s0, s18, s2
	s_lshl_b64 s[0:1], s[0:1], 2
	s_mov_b32 s7, 0
	s_add_u32 s4, s8, s0
	s_addc_u32 s5, s9, s1
	s_lshl_b64 s[0:1], s[6:7], 2
	s_add_u32 s0, s4, s0
	s_addc_u32 s1, s5, s1
	s_cbranch_execz .LBB276_17
	s_branch .LBB276_18
.LBB276_16:
                                        ; implicit-def: $sgpr0_sgpr1
.LBB276_17:
	s_lshl_b64 s[0:1], s[2:3], 2
	s_add_u32 s0, s10, s0
	s_addc_u32 s1, s11, s1
.LBB276_18:
	v_mov_b32_e32 v0, 0
	s_waitcnt lgkmcnt(0)
	global_store_dword v0, v1, s[0:1]
	s_endpgm
	.section	.rodata,"a",@progbits
	.p2align	6, 0x0
	.amdhsa_kernel _ZL23rocblas_dot_kernel_inc1ILb0ELi512ELi4ELb1EfPKDF16_fEviT4_llS2_lliPT5_PT3_
		.amdhsa_group_segment_fixed_size 256
		.amdhsa_private_segment_fixed_size 0
		.amdhsa_kernarg_size 336
		.amdhsa_user_sgpr_count 6
		.amdhsa_user_sgpr_private_segment_buffer 1
		.amdhsa_user_sgpr_dispatch_ptr 0
		.amdhsa_user_sgpr_queue_ptr 0
		.amdhsa_user_sgpr_kernarg_segment_ptr 1
		.amdhsa_user_sgpr_dispatch_id 0
		.amdhsa_user_sgpr_flat_scratch_init 0
		.amdhsa_user_sgpr_kernarg_preload_length 0
		.amdhsa_user_sgpr_kernarg_preload_offset 0
		.amdhsa_user_sgpr_private_segment_size 0
		.amdhsa_uses_dynamic_stack 0
		.amdhsa_system_sgpr_private_segment_wavefront_offset 0
		.amdhsa_system_sgpr_workgroup_id_x 1
		.amdhsa_system_sgpr_workgroup_id_y 0
		.amdhsa_system_sgpr_workgroup_id_z 1
		.amdhsa_system_sgpr_workgroup_info 0
		.amdhsa_system_vgpr_workitem_id 0
		.amdhsa_next_free_vgpr 14
		.amdhsa_next_free_sgpr 28
		.amdhsa_accum_offset 16
		.amdhsa_reserve_vcc 1
		.amdhsa_reserve_flat_scratch 0
		.amdhsa_float_round_mode_32 0
		.amdhsa_float_round_mode_16_64 0
		.amdhsa_float_denorm_mode_32 3
		.amdhsa_float_denorm_mode_16_64 3
		.amdhsa_dx10_clamp 1
		.amdhsa_ieee_mode 1
		.amdhsa_fp16_overflow 0
		.amdhsa_tg_split 0
		.amdhsa_exception_fp_ieee_invalid_op 0
		.amdhsa_exception_fp_denorm_src 0
		.amdhsa_exception_fp_ieee_div_zero 0
		.amdhsa_exception_fp_ieee_overflow 0
		.amdhsa_exception_fp_ieee_underflow 0
		.amdhsa_exception_fp_ieee_inexact 0
		.amdhsa_exception_int_div_zero 0
	.end_amdhsa_kernel
	.section	.text._ZL23rocblas_dot_kernel_inc1ILb0ELi512ELi4ELb1EfPKDF16_fEviT4_llS2_lliPT5_PT3_,"axG",@progbits,_ZL23rocblas_dot_kernel_inc1ILb0ELi512ELi4ELb1EfPKDF16_fEviT4_llS2_lliPT5_PT3_,comdat
.Lfunc_end276:
	.size	_ZL23rocblas_dot_kernel_inc1ILb0ELi512ELi4ELb1EfPKDF16_fEviT4_llS2_lliPT5_PT3_, .Lfunc_end276-_ZL23rocblas_dot_kernel_inc1ILb0ELi512ELi4ELb1EfPKDF16_fEviT4_llS2_lliPT5_PT3_
                                        ; -- End function
	.section	.AMDGPU.csdata,"",@progbits
; Kernel info:
; codeLenInByte = 924
; NumSgprs: 32
; NumVgprs: 14
; NumAgprs: 0
; TotalNumVgprs: 14
; ScratchSize: 0
; MemoryBound: 0
; FloatMode: 240
; IeeeMode: 1
; LDSByteSize: 256 bytes/workgroup (compile time only)
; SGPRBlocks: 3
; VGPRBlocks: 1
; NumSGPRsForWavesPerEU: 32
; NumVGPRsForWavesPerEU: 14
; AccumOffset: 16
; Occupancy: 8
; WaveLimiterHint : 0
; COMPUTE_PGM_RSRC2:SCRATCH_EN: 0
; COMPUTE_PGM_RSRC2:USER_SGPR: 6
; COMPUTE_PGM_RSRC2:TRAP_HANDLER: 0
; COMPUTE_PGM_RSRC2:TGID_X_EN: 1
; COMPUTE_PGM_RSRC2:TGID_Y_EN: 0
; COMPUTE_PGM_RSRC2:TGID_Z_EN: 1
; COMPUTE_PGM_RSRC2:TIDIG_COMP_CNT: 0
; COMPUTE_PGM_RSRC3_GFX90A:ACCUM_OFFSET: 3
; COMPUTE_PGM_RSRC3_GFX90A:TG_SPLIT: 0
	.section	.text._ZL18rocblas_dot_kernelIlLb0ELi512ELi4ELb1EfPKDF16_fEviT5_lT_lS2_lS3_liPT6_PT4_,"axG",@progbits,_ZL18rocblas_dot_kernelIlLb0ELi512ELi4ELb1EfPKDF16_fEviT5_lT_lS2_lS3_liPT6_PT4_,comdat
	.globl	_ZL18rocblas_dot_kernelIlLb0ELi512ELi4ELb1EfPKDF16_fEviT5_lT_lS2_lS3_liPT6_PT4_ ; -- Begin function _ZL18rocblas_dot_kernelIlLb0ELi512ELi4ELb1EfPKDF16_fEviT5_lT_lS2_lS3_liPT6_PT4_
	.p2align	8
	.type	_ZL18rocblas_dot_kernelIlLb0ELi512ELi4ELb1EfPKDF16_fEviT5_lT_lS2_lS3_liPT6_PT4_,@function
_ZL18rocblas_dot_kernelIlLb0ELi512ELi4ELb1EfPKDF16_fEviT5_lT_lS2_lS3_liPT6_PT4_: ; @_ZL18rocblas_dot_kernelIlLb0ELi512ELi4ELb1EfPKDF16_fEviT5_lT_lS2_lS3_liPT6_PT4_
; %bb.0:
	s_mov_b32 s2, s7
	s_load_dword s22, s[4:5], 0x60
	s_load_dword s7, s[4:5], 0x0
	s_load_dwordx4 s[16:19], s[4:5], 0x50
	v_lshl_or_b32 v4, s6, 9, v0
	s_mov_b32 s3, 0
	v_mov_b32_e32 v6, 0
	s_waitcnt lgkmcnt(0)
	v_cmp_gt_i32_e32 vcc, s7, v4
	s_and_saveexec_b64 s[20:21], vcc
	s_cbranch_execz .LBB277_4
; %bb.1:
	s_load_dwordx8 s[8:15], s[4:5], 0x20
	s_load_dwordx2 s[0:1], s[4:5], 0x8
	s_load_dwordx4 s[24:27], s[4:5], 0x10
	s_load_dwordx2 s[28:29], s[4:5], 0x40
	s_lshl_b32 s23, s22, 9
	v_ashrrev_i32_e32 v5, 31, v4
	v_add_u32_e32 v1, s23, v4
	s_waitcnt lgkmcnt(0)
	v_mad_u64_u32 v[2:3], s[4:5], s26, v4, 0
	s_mul_i32 s4, s9, s2
	s_mul_hi_u32 s5, s8, s2
	s_add_i32 s5, s5, s4
	s_mul_i32 s4, s8, s2
	s_lshl_b64 s[4:5], s[4:5], 1
	s_lshl_b64 s[8:9], s[24:25], 1
	s_add_u32 s0, s0, s8
	v_mul_lo_u32 v6, s27, v4
	v_mul_lo_u32 v7, s26, v5
	s_addc_u32 s1, s1, s9
	v_add3_u32 v3, v3, v7, v6
	s_add_u32 s0, s0, s4
	v_lshlrev_b64 v[2:3], 1, v[2:3]
	s_addc_u32 s1, s1, s5
	s_ashr_i32 s24, s23, 31
	v_mov_b32_e32 v6, s1
	v_add_co_u32_e32 v2, vcc, s0, v2
	s_mul_i32 s0, s26, s24
	s_mul_hi_u32 s1, s26, s23
	s_add_i32 s0, s1, s0
	s_mul_i32 s1, s27, s23
	s_add_i32 s1, s0, s1
	s_mul_i32 s0, s26, s23
	v_addc_co_u32_e32 v3, vcc, v6, v3, vcc
	s_lshl_b64 s[4:5], s[0:1], 1
	v_mul_lo_u32 v6, s15, v4
	v_mul_lo_u32 v7, s14, v5
	v_mad_u64_u32 v[4:5], s[0:1], s14, v4, 0
	s_mul_i32 s0, s29, s2
	s_mul_hi_u32 s1, s28, s2
	s_add_i32 s1, s1, s0
	s_mul_i32 s0, s28, s2
	s_lshl_b64 s[0:1], s[0:1], 1
	s_lshl_b64 s[8:9], s[12:13], 1
	s_add_u32 s8, s10, s8
	s_addc_u32 s9, s11, s9
	v_add3_u32 v5, v5, v7, v6
	s_add_u32 s0, s8, s0
	v_lshlrev_b64 v[4:5], 1, v[4:5]
	s_addc_u32 s1, s9, s1
	v_mov_b32_e32 v6, s1
	v_add_co_u32_e32 v4, vcc, s0, v4
	s_mul_i32 s0, s14, s24
	s_mul_hi_u32 s1, s14, s23
	s_add_i32 s0, s1, s0
	s_mul_i32 s1, s15, s23
	s_add_i32 s1, s0, s1
	s_mul_i32 s0, s14, s23
	s_lshl_b64 s[10:11], s[0:1], 1
	v_addc_co_u32_e32 v5, vcc, v6, v5, vcc
	s_mov_b64 s[8:9], 0
	v_mov_b32_e32 v6, 0
	v_mov_b32_e32 v7, s5
	;; [unrolled: 1-line block ×3, first 2 shown]
	s_mov_b32 s5, s3
.LBB277_2:                              ; =>This Inner Loop Header: Depth=1
	global_load_ushort v9, v[4:5], off
	global_load_ushort v10, v[2:3], off
	v_add_co_u32_e64 v2, s[0:1], s4, v2
	v_addc_co_u32_e64 v3, s[0:1], v3, v7, s[0:1]
	s_add_i32 s11, s5, 1
	v_add_co_u32_e64 v4, s[0:1], s10, v4
	v_addc_co_u32_e64 v5, s[0:1], v5, v8, s[0:1]
	s_cmp_gt_u32 s5, 2
	v_cmp_le_i32_e32 vcc, s7, v1
	s_cselect_b64 s[0:1], -1, 0
	s_or_b64 s[0:1], s[0:1], vcc
	s_and_b64 s[0:1], exec, s[0:1]
	v_add_u32_e32 v1, s23, v1
	s_mov_b32 s5, s11
	s_or_b64 s[8:9], s[0:1], s[8:9]
	s_waitcnt vmcnt(0)
	v_fma_mix_f32 v6, v9, v10, v6 op_sel_hi:[1,1,0]
	s_andn2_b64 exec, exec, s[8:9]
	s_cbranch_execnz .LBB277_2
; %bb.3:
	s_or_b64 exec, exec, s[8:9]
.LBB277_4:
	s_or_b64 exec, exec, s[20:21]
	v_and_b32_e32 v2, 63, v0
	v_cmp_gt_u32_e32 vcc, 64, v0
	v_lshlrev_b32_e32 v1, 2, v2
	s_and_saveexec_b64 s[0:1], vcc
	s_cbranch_execz .LBB277_6
; %bb.5:
	v_mov_b32_e32 v3, 0
	ds_write_b32 v1, v3
.LBB277_6:
	s_or_b64 exec, exec, s[0:1]
	v_mbcnt_lo_u32_b32 v3, -1, 0
	v_mbcnt_hi_u32_b32 v5, -1, v3
	v_and_b32_e32 v7, 63, v5
	v_cmp_gt_u32_e64 s[0:1], 32, v7
	v_cndmask_b32_e64 v3, 0, 1, s[0:1]
	v_lshlrev_b32_e32 v3, 5, v3
	v_add_lshl_u32 v3, v3, v5, 2
	ds_bpermute_b32 v3, v3, v6
	v_cmp_gt_u32_e64 s[0:1], 48, v7
	v_cndmask_b32_e64 v4, 0, 1, s[0:1]
	v_lshlrev_b32_e32 v4, 4, v4
	v_add_lshl_u32 v4, v4, v5, 2
	s_waitcnt lgkmcnt(0)
	v_add_f32_e32 v3, v6, v3
	ds_bpermute_b32 v4, v4, v3
	v_cmp_gt_u32_e64 s[0:1], 56, v7
	v_cndmask_b32_e64 v6, 0, 1, s[0:1]
	v_lshlrev_b32_e32 v6, 3, v6
	v_cmp_gt_u32_e64 s[0:1], 60, v7
	s_waitcnt lgkmcnt(0)
	v_add_f32_e32 v3, v3, v4
	v_add_lshl_u32 v4, v6, v5, 2
	ds_bpermute_b32 v4, v4, v3
	v_cndmask_b32_e64 v6, 0, 1, s[0:1]
	v_lshlrev_b32_e32 v6, 2, v6
	v_cmp_gt_u32_e64 s[0:1], 62, v7
	v_cndmask_b32_e64 v8, 0, 1, s[0:1]
	s_waitcnt lgkmcnt(0)
	v_add_f32_e32 v4, v3, v4
	v_add_lshl_u32 v3, v6, v5, 2
	ds_bpermute_b32 v6, v3, v4
	v_lshlrev_b32_e32 v8, 1, v8
	v_cmp_ne_u32_e64 s[0:1], 63, v7
	s_waitcnt lgkmcnt(0)
	s_barrier
	v_add_f32_e32 v6, v4, v6
	v_add_lshl_u32 v4, v8, v5, 2
	ds_bpermute_b32 v8, v4, v6
	v_addc_co_u32_e64 v5, s[0:1], 0, v5, s[0:1]
	v_lshlrev_b32_e32 v5, 2, v5
	v_cmp_eq_u32_e64 s[0:1], 0, v2
	s_waitcnt lgkmcnt(0)
	v_add_f32_e32 v6, v6, v8
	ds_bpermute_b32 v7, v5, v6
	s_waitcnt lgkmcnt(0)
	s_and_saveexec_b64 s[4:5], s[0:1]
	s_cbranch_execz .LBB277_8
; %bb.7:
	v_add_f32_e32 v2, v6, v7
	v_lshrrev_b32_e32 v6, 4, v0
	v_and_b32_e32 v6, 28, v6
	ds_write_b32 v6, v2
.LBB277_8:
	s_or_b64 exec, exec, s[4:5]
	v_cmp_gt_u32_e64 s[0:1], 8, v0
	v_mov_b32_e32 v2, 0
	s_waitcnt lgkmcnt(0)
	s_barrier
	s_and_saveexec_b64 s[4:5], s[0:1]
	s_cbranch_execnz .LBB277_12
; %bb.9:
	s_or_b64 exec, exec, s[4:5]
	s_and_saveexec_b64 s[0:1], vcc
	s_cbranch_execnz .LBB277_13
.LBB277_10:
	s_or_b64 exec, exec, s[0:1]
	v_cmp_eq_u32_e32 vcc, 0, v0
	s_and_saveexec_b64 s[0:1], vcc
	s_cbranch_execnz .LBB277_14
.LBB277_11:
	s_endpgm
.LBB277_12:
	ds_read_b32 v2, v1
	s_or_b64 exec, exec, s[4:5]
	s_and_saveexec_b64 s[0:1], vcc
	s_cbranch_execz .LBB277_10
.LBB277_13:
	s_waitcnt lgkmcnt(0)
	ds_bpermute_b32 v1, v3, v2
	s_waitcnt lgkmcnt(0)
	v_add_f32_e32 v1, v2, v1
	ds_bpermute_b32 v2, v4, v1
	s_waitcnt lgkmcnt(0)
	v_add_f32_e32 v1, v1, v2
	;; [unrolled: 3-line block ×3, first 2 shown]
	s_or_b64 exec, exec, s[0:1]
	v_cmp_eq_u32_e32 vcc, 0, v0
	s_and_saveexec_b64 s[0:1], vcc
	s_cbranch_execz .LBB277_11
.LBB277_14:
	s_cmp_lg_u32 s22, 1
	s_cbranch_scc0 .LBB277_16
; %bb.15:
	s_mul_hi_u32 s1, s22, s2
	s_mul_i32 s0, s22, s2
	s_lshl_b64 s[0:1], s[0:1], 2
	s_mov_b32 s7, 0
	s_add_u32 s4, s16, s0
	s_addc_u32 s5, s17, s1
	s_lshl_b64 s[0:1], s[6:7], 2
	s_add_u32 s0, s4, s0
	s_addc_u32 s1, s5, s1
	s_cbranch_execz .LBB277_17
	s_branch .LBB277_18
.LBB277_16:
                                        ; implicit-def: $sgpr0_sgpr1
.LBB277_17:
	s_lshl_b64 s[0:1], s[2:3], 2
	s_add_u32 s0, s18, s0
	s_addc_u32 s1, s19, s1
.LBB277_18:
	v_mov_b32_e32 v0, 0
	s_waitcnt lgkmcnt(0)
	global_store_dword v0, v2, s[0:1]
	s_endpgm
	.section	.rodata,"a",@progbits
	.p2align	6, 0x0
	.amdhsa_kernel _ZL18rocblas_dot_kernelIlLb0ELi512ELi4ELb1EfPKDF16_fEviT5_lT_lS2_lS3_liPT6_PT4_
		.amdhsa_group_segment_fixed_size 256
		.amdhsa_private_segment_fixed_size 0
		.amdhsa_kernarg_size 352
		.amdhsa_user_sgpr_count 6
		.amdhsa_user_sgpr_private_segment_buffer 1
		.amdhsa_user_sgpr_dispatch_ptr 0
		.amdhsa_user_sgpr_queue_ptr 0
		.amdhsa_user_sgpr_kernarg_segment_ptr 1
		.amdhsa_user_sgpr_dispatch_id 0
		.amdhsa_user_sgpr_flat_scratch_init 0
		.amdhsa_user_sgpr_kernarg_preload_length 0
		.amdhsa_user_sgpr_kernarg_preload_offset 0
		.amdhsa_user_sgpr_private_segment_size 0
		.amdhsa_uses_dynamic_stack 0
		.amdhsa_system_sgpr_private_segment_wavefront_offset 0
		.amdhsa_system_sgpr_workgroup_id_x 1
		.amdhsa_system_sgpr_workgroup_id_y 0
		.amdhsa_system_sgpr_workgroup_id_z 1
		.amdhsa_system_sgpr_workgroup_info 0
		.amdhsa_system_vgpr_workitem_id 0
		.amdhsa_next_free_vgpr 11
		.amdhsa_next_free_sgpr 30
		.amdhsa_accum_offset 12
		.amdhsa_reserve_vcc 1
		.amdhsa_reserve_flat_scratch 0
		.amdhsa_float_round_mode_32 0
		.amdhsa_float_round_mode_16_64 0
		.amdhsa_float_denorm_mode_32 3
		.amdhsa_float_denorm_mode_16_64 3
		.amdhsa_dx10_clamp 1
		.amdhsa_ieee_mode 1
		.amdhsa_fp16_overflow 0
		.amdhsa_tg_split 0
		.amdhsa_exception_fp_ieee_invalid_op 0
		.amdhsa_exception_fp_denorm_src 0
		.amdhsa_exception_fp_ieee_div_zero 0
		.amdhsa_exception_fp_ieee_overflow 0
		.amdhsa_exception_fp_ieee_underflow 0
		.amdhsa_exception_fp_ieee_inexact 0
		.amdhsa_exception_int_div_zero 0
	.end_amdhsa_kernel
	.section	.text._ZL18rocblas_dot_kernelIlLb0ELi512ELi4ELb1EfPKDF16_fEviT5_lT_lS2_lS3_liPT6_PT4_,"axG",@progbits,_ZL18rocblas_dot_kernelIlLb0ELi512ELi4ELb1EfPKDF16_fEviT5_lT_lS2_lS3_liPT6_PT4_,comdat
.Lfunc_end277:
	.size	_ZL18rocblas_dot_kernelIlLb0ELi512ELi4ELb1EfPKDF16_fEviT5_lT_lS2_lS3_liPT6_PT4_, .Lfunc_end277-_ZL18rocblas_dot_kernelIlLb0ELi512ELi4ELb1EfPKDF16_fEviT5_lT_lS2_lS3_liPT6_PT4_
                                        ; -- End function
	.section	.AMDGPU.csdata,"",@progbits
; Kernel info:
; codeLenInByte = 1068
; NumSgprs: 34
; NumVgprs: 11
; NumAgprs: 0
; TotalNumVgprs: 11
; ScratchSize: 0
; MemoryBound: 0
; FloatMode: 240
; IeeeMode: 1
; LDSByteSize: 256 bytes/workgroup (compile time only)
; SGPRBlocks: 4
; VGPRBlocks: 1
; NumSGPRsForWavesPerEU: 34
; NumVGPRsForWavesPerEU: 11
; AccumOffset: 12
; Occupancy: 8
; WaveLimiterHint : 0
; COMPUTE_PGM_RSRC2:SCRATCH_EN: 0
; COMPUTE_PGM_RSRC2:USER_SGPR: 6
; COMPUTE_PGM_RSRC2:TRAP_HANDLER: 0
; COMPUTE_PGM_RSRC2:TGID_X_EN: 1
; COMPUTE_PGM_RSRC2:TGID_Y_EN: 0
; COMPUTE_PGM_RSRC2:TGID_Z_EN: 1
; COMPUTE_PGM_RSRC2:TIDIG_COMP_CNT: 0
; COMPUTE_PGM_RSRC3_GFX90A:ACCUM_OFFSET: 2
; COMPUTE_PGM_RSRC3_GFX90A:TG_SPLIT: 0
	.section	.text._ZL24rocblas_dot_kernel_magsqIlLb0ELi512ELi4ELb1EfPKDF16_fEviT5_lT_liPT6_PT4_,"axG",@progbits,_ZL24rocblas_dot_kernel_magsqIlLb0ELi512ELi4ELb1EfPKDF16_fEviT5_lT_liPT6_PT4_,comdat
	.globl	_ZL24rocblas_dot_kernel_magsqIlLb0ELi512ELi4ELb1EfPKDF16_fEviT5_lT_liPT6_PT4_ ; -- Begin function _ZL24rocblas_dot_kernel_magsqIlLb0ELi512ELi4ELb1EfPKDF16_fEviT5_lT_liPT6_PT4_
	.p2align	8
	.type	_ZL24rocblas_dot_kernel_magsqIlLb0ELi512ELi4ELb1EfPKDF16_fEviT5_lT_liPT6_PT4_,@function
_ZL24rocblas_dot_kernel_magsqIlLb0ELi512ELi4ELb1EfPKDF16_fEviT5_lT_liPT6_PT4_: ; @_ZL24rocblas_dot_kernel_magsqIlLb0ELi512ELi4ELb1EfPKDF16_fEviT5_lT_liPT6_PT4_
; %bb.0:
	s_mov_b32 s2, s7
	s_load_dword s7, s[4:5], 0x0
	s_load_dwordx4 s[8:11], s[4:5], 0x30
	s_load_dword s16, s[4:5], 0x40
	v_lshl_or_b32 v2, s6, 9, v0
	s_mov_b32 s3, 0
	s_waitcnt lgkmcnt(0)
	v_cmp_gt_i32_e32 vcc, s7, v2
	v_mov_b32_e32 v1, 0
	s_and_saveexec_b64 s[12:13], vcc
	s_cbranch_execz .LBB278_4
; %bb.1:
	s_load_dwordx2 s[0:1], s[4:5], 0x8
	s_load_dwordx4 s[20:23], s[4:5], 0x10
	s_load_dwordx2 s[14:15], s[4:5], 0x20
	s_lshl_b32 s17, s16, 9
	v_add_u32_e32 v4, s17, v2
	v_ashrrev_i32_e32 v1, 31, v2
	s_waitcnt lgkmcnt(0)
	v_mul_lo_u32 v5, s23, v2
	v_mad_u64_u32 v[2:3], s[4:5], s22, v2, 0
	s_mul_i32 s4, s15, s2
	s_mul_hi_u32 s5, s14, s2
	s_add_i32 s5, s5, s4
	s_mul_i32 s4, s14, s2
	s_lshl_b64 s[4:5], s[4:5], 1
	s_lshl_b64 s[14:15], s[20:21], 1
	v_mul_lo_u32 v1, s22, v1
	s_add_u32 s0, s0, s14
	v_add3_u32 v3, v3, v1, v5
	s_addc_u32 s1, s1, s15
	v_lshlrev_b64 v[2:3], 1, v[2:3]
	s_add_u32 s0, s0, s4
	s_addc_u32 s1, s1, s5
	v_add_co_u32_e32 v2, vcc, s0, v2
	s_ashr_i32 s0, s17, 31
	v_mov_b32_e32 v1, s1
	s_mul_i32 s0, s22, s0
	s_mul_hi_u32 s1, s22, s17
	s_add_i32 s0, s1, s0
	s_mul_i32 s1, s23, s17
	s_add_i32 s1, s0, s1
	s_mul_i32 s0, s22, s17
	s_lshl_b64 s[14:15], s[0:1], 1
	v_addc_co_u32_e32 v3, vcc, v1, v3, vcc
	s_mov_b64 s[4:5], 0
	v_mov_b32_e32 v1, 0
	v_mov_b32_e32 v5, s15
	s_mov_b32 s15, s3
.LBB278_2:                              ; =>This Inner Loop Header: Depth=1
	global_load_ushort v6, v[2:3], off
	s_add_i32 s18, s15, 1
	v_add_co_u32_e64 v2, s[0:1], s14, v2
	v_addc_co_u32_e64 v3, s[0:1], v3, v5, s[0:1]
	s_cmp_gt_u32 s15, 2
	v_cmp_le_i32_e32 vcc, s7, v4
	s_cselect_b64 s[0:1], -1, 0
	s_or_b64 s[0:1], s[0:1], vcc
	s_and_b64 s[0:1], exec, s[0:1]
	v_add_u32_e32 v4, s17, v4
	s_mov_b32 s15, s18
	s_or_b64 s[4:5], s[0:1], s[4:5]
	s_waitcnt vmcnt(0)
	v_fma_mix_f32 v1, v6, v6, v1 op_sel_hi:[1,1,0]
	s_andn2_b64 exec, exec, s[4:5]
	s_cbranch_execnz .LBB278_2
; %bb.3:
	s_or_b64 exec, exec, s[4:5]
.LBB278_4:
	s_or_b64 exec, exec, s[12:13]
	v_and_b32_e32 v3, 63, v0
	v_cmp_gt_u32_e32 vcc, 64, v0
	v_lshlrev_b32_e32 v2, 2, v3
	s_and_saveexec_b64 s[0:1], vcc
	s_cbranch_execz .LBB278_6
; %bb.5:
	v_mov_b32_e32 v4, 0
	ds_write_b32 v2, v4
.LBB278_6:
	s_or_b64 exec, exec, s[0:1]
	v_mbcnt_lo_u32_b32 v4, -1, 0
	v_mbcnt_hi_u32_b32 v6, -1, v4
	v_and_b32_e32 v7, 63, v6
	v_cmp_gt_u32_e64 s[0:1], 32, v7
	v_cndmask_b32_e64 v4, 0, 1, s[0:1]
	v_lshlrev_b32_e32 v4, 5, v4
	v_add_lshl_u32 v4, v4, v6, 2
	ds_bpermute_b32 v4, v4, v1
	v_cmp_gt_u32_e64 s[0:1], 48, v7
	v_cndmask_b32_e64 v5, 0, 1, s[0:1]
	v_lshlrev_b32_e32 v5, 4, v5
	v_cmp_gt_u32_e64 s[0:1], 56, v7
	s_waitcnt lgkmcnt(0)
	v_add_f32_e32 v1, v1, v4
	v_add_lshl_u32 v4, v5, v6, 2
	ds_bpermute_b32 v4, v4, v1
	v_cndmask_b32_e64 v5, 0, 1, s[0:1]
	v_lshlrev_b32_e32 v5, 3, v5
	v_cmp_gt_u32_e64 s[0:1], 60, v7
	s_waitcnt lgkmcnt(0)
	v_add_f32_e32 v1, v1, v4
	v_add_lshl_u32 v4, v5, v6, 2
	ds_bpermute_b32 v4, v4, v1
	v_cndmask_b32_e64 v5, 0, 1, s[0:1]
	v_lshlrev_b32_e32 v5, 2, v5
	v_cmp_gt_u32_e64 s[0:1], 62, v7
	v_cndmask_b32_e64 v8, 0, 1, s[0:1]
	s_waitcnt lgkmcnt(0)
	v_add_f32_e32 v1, v1, v4
	v_add_lshl_u32 v4, v5, v6, 2
	ds_bpermute_b32 v5, v4, v1
	v_lshlrev_b32_e32 v8, 1, v8
	v_cmp_ne_u32_e64 s[0:1], 63, v7
	s_barrier
	s_waitcnt lgkmcnt(0)
	v_add_f32_e32 v1, v1, v5
	v_add_lshl_u32 v5, v8, v6, 2
	ds_bpermute_b32 v8, v5, v1
	v_addc_co_u32_e64 v6, s[0:1], 0, v6, s[0:1]
	v_lshlrev_b32_e32 v6, 2, v6
	v_cmp_eq_u32_e64 s[0:1], 0, v3
	s_waitcnt lgkmcnt(0)
	v_add_f32_e32 v1, v1, v8
	ds_bpermute_b32 v7, v6, v1
	s_and_saveexec_b64 s[4:5], s[0:1]
	s_cbranch_execz .LBB278_8
; %bb.7:
	v_lshrrev_b32_e32 v3, 4, v0
	s_waitcnt lgkmcnt(0)
	v_add_f32_e32 v1, v1, v7
	v_and_b32_e32 v3, 28, v3
	ds_write_b32 v3, v1
.LBB278_8:
	s_or_b64 exec, exec, s[4:5]
	v_cmp_gt_u32_e64 s[0:1], 8, v0
	v_mov_b32_e32 v1, 0
	s_waitcnt lgkmcnt(0)
	s_barrier
	s_and_saveexec_b64 s[4:5], s[0:1]
	s_cbranch_execnz .LBB278_12
; %bb.9:
	s_or_b64 exec, exec, s[4:5]
	s_and_saveexec_b64 s[0:1], vcc
	s_cbranch_execnz .LBB278_13
.LBB278_10:
	s_or_b64 exec, exec, s[0:1]
	v_cmp_eq_u32_e32 vcc, 0, v0
	s_and_saveexec_b64 s[0:1], vcc
	s_cbranch_execnz .LBB278_14
.LBB278_11:
	s_endpgm
.LBB278_12:
	ds_read_b32 v1, v2
	s_or_b64 exec, exec, s[4:5]
	s_and_saveexec_b64 s[0:1], vcc
	s_cbranch_execz .LBB278_10
.LBB278_13:
	s_waitcnt lgkmcnt(0)
	ds_bpermute_b32 v2, v4, v1
	s_waitcnt lgkmcnt(0)
	v_add_f32_e32 v1, v1, v2
	ds_bpermute_b32 v2, v5, v1
	s_waitcnt lgkmcnt(0)
	v_add_f32_e32 v1, v1, v2
	ds_bpermute_b32 v2, v6, v1
	s_waitcnt lgkmcnt(0)
	v_add_f32_e32 v1, v1, v2
	s_or_b64 exec, exec, s[0:1]
	v_cmp_eq_u32_e32 vcc, 0, v0
	s_and_saveexec_b64 s[0:1], vcc
	s_cbranch_execz .LBB278_11
.LBB278_14:
	s_cmp_lg_u32 s16, 1
	s_cbranch_scc0 .LBB278_16
; %bb.15:
	s_mul_hi_u32 s1, s16, s2
	s_mul_i32 s0, s16, s2
	s_lshl_b64 s[0:1], s[0:1], 2
	s_mov_b32 s7, 0
	s_add_u32 s4, s8, s0
	s_addc_u32 s5, s9, s1
	s_lshl_b64 s[0:1], s[6:7], 2
	s_add_u32 s0, s4, s0
	s_addc_u32 s1, s5, s1
	s_cbranch_execz .LBB278_17
	s_branch .LBB278_18
.LBB278_16:
                                        ; implicit-def: $sgpr0_sgpr1
.LBB278_17:
	s_lshl_b64 s[0:1], s[2:3], 2
	s_add_u32 s0, s10, s0
	s_addc_u32 s1, s11, s1
.LBB278_18:
	v_mov_b32_e32 v0, 0
	s_waitcnt lgkmcnt(0)
	global_store_dword v0, v1, s[0:1]
	s_endpgm
	.section	.rodata,"a",@progbits
	.p2align	6, 0x0
	.amdhsa_kernel _ZL24rocblas_dot_kernel_magsqIlLb0ELi512ELi4ELb1EfPKDF16_fEviT5_lT_liPT6_PT4_
		.amdhsa_group_segment_fixed_size 256
		.amdhsa_private_segment_fixed_size 0
		.amdhsa_kernarg_size 320
		.amdhsa_user_sgpr_count 6
		.amdhsa_user_sgpr_private_segment_buffer 1
		.amdhsa_user_sgpr_dispatch_ptr 0
		.amdhsa_user_sgpr_queue_ptr 0
		.amdhsa_user_sgpr_kernarg_segment_ptr 1
		.amdhsa_user_sgpr_dispatch_id 0
		.amdhsa_user_sgpr_flat_scratch_init 0
		.amdhsa_user_sgpr_kernarg_preload_length 0
		.amdhsa_user_sgpr_kernarg_preload_offset 0
		.amdhsa_user_sgpr_private_segment_size 0
		.amdhsa_uses_dynamic_stack 0
		.amdhsa_system_sgpr_private_segment_wavefront_offset 0
		.amdhsa_system_sgpr_workgroup_id_x 1
		.amdhsa_system_sgpr_workgroup_id_y 0
		.amdhsa_system_sgpr_workgroup_id_z 1
		.amdhsa_system_sgpr_workgroup_info 0
		.amdhsa_system_vgpr_workitem_id 0
		.amdhsa_next_free_vgpr 9
		.amdhsa_next_free_sgpr 24
		.amdhsa_accum_offset 12
		.amdhsa_reserve_vcc 1
		.amdhsa_reserve_flat_scratch 0
		.amdhsa_float_round_mode_32 0
		.amdhsa_float_round_mode_16_64 0
		.amdhsa_float_denorm_mode_32 3
		.amdhsa_float_denorm_mode_16_64 3
		.amdhsa_dx10_clamp 1
		.amdhsa_ieee_mode 1
		.amdhsa_fp16_overflow 0
		.amdhsa_tg_split 0
		.amdhsa_exception_fp_ieee_invalid_op 0
		.amdhsa_exception_fp_denorm_src 0
		.amdhsa_exception_fp_ieee_div_zero 0
		.amdhsa_exception_fp_ieee_overflow 0
		.amdhsa_exception_fp_ieee_underflow 0
		.amdhsa_exception_fp_ieee_inexact 0
		.amdhsa_exception_int_div_zero 0
	.end_amdhsa_kernel
	.section	.text._ZL24rocblas_dot_kernel_magsqIlLb0ELi512ELi4ELb1EfPKDF16_fEviT5_lT_liPT6_PT4_,"axG",@progbits,_ZL24rocblas_dot_kernel_magsqIlLb0ELi512ELi4ELb1EfPKDF16_fEviT5_lT_liPT6_PT4_,comdat
.Lfunc_end278:
	.size	_ZL24rocblas_dot_kernel_magsqIlLb0ELi512ELi4ELb1EfPKDF16_fEviT5_lT_liPT6_PT4_, .Lfunc_end278-_ZL24rocblas_dot_kernel_magsqIlLb0ELi512ELi4ELb1EfPKDF16_fEviT5_lT_liPT6_PT4_
                                        ; -- End function
	.section	.AMDGPU.csdata,"",@progbits
; Kernel info:
; codeLenInByte = 912
; NumSgprs: 28
; NumVgprs: 9
; NumAgprs: 0
; TotalNumVgprs: 9
; ScratchSize: 0
; MemoryBound: 0
; FloatMode: 240
; IeeeMode: 1
; LDSByteSize: 256 bytes/workgroup (compile time only)
; SGPRBlocks: 3
; VGPRBlocks: 1
; NumSGPRsForWavesPerEU: 28
; NumVGPRsForWavesPerEU: 9
; AccumOffset: 12
; Occupancy: 8
; WaveLimiterHint : 0
; COMPUTE_PGM_RSRC2:SCRATCH_EN: 0
; COMPUTE_PGM_RSRC2:USER_SGPR: 6
; COMPUTE_PGM_RSRC2:TRAP_HANDLER: 0
; COMPUTE_PGM_RSRC2:TGID_X_EN: 1
; COMPUTE_PGM_RSRC2:TGID_Y_EN: 0
; COMPUTE_PGM_RSRC2:TGID_Z_EN: 1
; COMPUTE_PGM_RSRC2:TIDIG_COMP_CNT: 0
; COMPUTE_PGM_RSRC3_GFX90A:ACCUM_OFFSET: 2
; COMPUTE_PGM_RSRC3_GFX90A:TG_SPLIT: 0
	.section	.text._ZL30rocblas_reduction_kernel_part2ILi512ELi4E25rocblas_finalize_identityffEviPT2_PT3_,"axG",@progbits,_ZL30rocblas_reduction_kernel_part2ILi512ELi4E25rocblas_finalize_identityffEviPT2_PT3_,comdat
	.globl	_ZL30rocblas_reduction_kernel_part2ILi512ELi4E25rocblas_finalize_identityffEviPT2_PT3_ ; -- Begin function _ZL30rocblas_reduction_kernel_part2ILi512ELi4E25rocblas_finalize_identityffEviPT2_PT3_
	.p2align	8
	.type	_ZL30rocblas_reduction_kernel_part2ILi512ELi4E25rocblas_finalize_identityffEviPT2_PT3_,@function
_ZL30rocblas_reduction_kernel_part2ILi512ELi4E25rocblas_finalize_identityffEviPT2_PT3_: ; @_ZL30rocblas_reduction_kernel_part2ILi512ELi4E25rocblas_finalize_identityffEviPT2_PT3_
; %bb.0:
	s_load_dword s12, s[4:5], 0x0
	s_load_dwordx4 s[0:3], s[4:5], 0x8
	v_lshlrev_b32_e32 v4, 2, v0
	s_mov_b32 s7, 0
	v_mov_b32_e32 v1, 0
	s_waitcnt lgkmcnt(0)
	s_ashr_i32 s8, s12, 31
	s_mul_i32 s5, s8, s6
	s_lshr_b32 s8, s8, 30
	s_add_i32 s8, s12, s8
	s_mul_hi_u32 s4, s12, s6
	s_and_b32 s13, s8, -4
	s_add_i32 s5, s4, s5
	s_mul_i32 s4, s12, s6
	v_cmp_gt_i32_e32 vcc, s13, v4
	s_and_saveexec_b64 s[8:9], vcc
	s_cbranch_execz .LBB279_4
; %bb.1:
	s_lshl_b64 s[10:11], s[4:5], 2
	s_add_u32 s10, s0, s10
	v_lshlrev_b32_e32 v2, 4, v0
	s_addc_u32 s11, s1, s11
	v_mov_b32_e32 v3, s11
	v_add_co_u32_e32 v2, vcc, s10, v2
	v_addc_co_u32_e32 v3, vcc, 0, v3, vcc
	v_add_co_u32_e32 v2, vcc, 8, v2
	v_mov_b32_e32 v1, 0
	v_addc_co_u32_e32 v3, vcc, 0, v3, vcc
	s_mov_b64 s[10:11], 0
.LBB279_2:                              ; =>This Inner Loop Header: Depth=1
	global_load_dwordx4 v[6:9], v[2:3], off offset:-8
	v_add_co_u32_e32 v2, vcc, 0x2000, v2
	v_add_u32_e32 v4, 0x800, v4
	v_addc_co_u32_e32 v3, vcc, 0, v3, vcc
	v_cmp_le_i32_e32 vcc, s13, v4
	s_or_b64 s[10:11], vcc, s[10:11]
	s_waitcnt vmcnt(0)
	v_add_f32_e32 v1, v1, v6
	v_add_f32_e32 v1, v1, v7
	;; [unrolled: 1-line block ×4, first 2 shown]
	s_andn2_b64 exec, exec, s[10:11]
	s_cbranch_execnz .LBB279_2
; %bb.3:
	s_or_b64 exec, exec, s[10:11]
.LBB279_4:
	s_or_b64 exec, exec, s[8:9]
	s_sub_i32 s8, s12, s13
	v_cmp_gt_u32_e32 vcc, s8, v0
	s_and_saveexec_b64 s[8:9], vcc
	s_cbranch_execz .LBB279_6
; %bb.5:
	s_lshl_b64 s[4:5], s[4:5], 2
	s_add_u32 s0, s0, s4
	v_xad_u32 v2, v0, -1, s12
	v_mov_b32_e32 v3, 0
	s_addc_u32 s1, s1, s5
	v_lshlrev_b64 v[2:3], 2, v[2:3]
	v_mov_b32_e32 v4, s1
	v_add_co_u32_e32 v2, vcc, s0, v2
	v_addc_co_u32_e32 v3, vcc, v4, v3, vcc
	global_load_dword v2, v[2:3], off
	s_waitcnt vmcnt(0)
	v_add_f32_e32 v1, v1, v2
.LBB279_6:
	s_or_b64 exec, exec, s[8:9]
	v_and_b32_e32 v3, 63, v0
	v_cmp_gt_u32_e32 vcc, 64, v0
	v_lshlrev_b32_e32 v2, 2, v3
	s_and_saveexec_b64 s[0:1], vcc
	s_cbranch_execz .LBB279_8
; %bb.7:
	v_mov_b32_e32 v4, 0
	ds_write_b32 v2, v4
.LBB279_8:
	s_or_b64 exec, exec, s[0:1]
	v_mbcnt_lo_u32_b32 v4, -1, 0
	v_mbcnt_hi_u32_b32 v5, -1, v4
	v_and_b32_e32 v6, 63, v5
	v_cmp_gt_u32_e64 s[0:1], 32, v6
	v_cndmask_b32_e64 v4, 0, 1, s[0:1]
	v_lshlrev_b32_e32 v4, 5, v4
	v_add_lshl_u32 v4, v4, v5, 2
	ds_bpermute_b32 v4, v4, v1
	v_cmp_gt_u32_e64 s[0:1], 48, v6
	v_cndmask_b32_e64 v7, 0, 1, s[0:1]
	v_lshlrev_b32_e32 v7, 4, v7
	v_cmp_gt_u32_e64 s[0:1], 56, v6
	s_waitcnt lgkmcnt(0)
	v_add_f32_e32 v1, v1, v4
	v_add_lshl_u32 v4, v7, v5, 2
	ds_bpermute_b32 v4, v4, v1
	v_cndmask_b32_e64 v7, 0, 1, s[0:1]
	v_lshlrev_b32_e32 v7, 3, v7
	v_cmp_gt_u32_e64 s[0:1], 60, v6
	s_waitcnt lgkmcnt(0)
	v_add_f32_e32 v1, v1, v4
	v_add_lshl_u32 v4, v7, v5, 2
	ds_bpermute_b32 v4, v4, v1
	v_cndmask_b32_e64 v7, 0, 1, s[0:1]
	v_lshlrev_b32_e32 v7, 2, v7
	v_cmp_gt_u32_e64 s[0:1], 62, v6
	v_cndmask_b32_e64 v8, 0, 1, s[0:1]
	s_waitcnt lgkmcnt(0)
	v_add_f32_e32 v4, v1, v4
	v_add_lshl_u32 v1, v7, v5, 2
	ds_bpermute_b32 v7, v1, v4
	v_lshlrev_b32_e32 v8, 1, v8
	v_cmp_ne_u32_e64 s[0:1], 63, v6
	s_barrier
	s_waitcnt lgkmcnt(0)
	v_add_f32_e32 v7, v4, v7
	v_add_lshl_u32 v4, v8, v5, 2
	ds_bpermute_b32 v8, v4, v7
	v_addc_co_u32_e64 v5, s[0:1], 0, v5, s[0:1]
	v_lshlrev_b32_e32 v5, 2, v5
	v_cmp_eq_u32_e64 s[0:1], 0, v3
	s_waitcnt lgkmcnt(0)
	v_add_f32_e32 v6, v7, v8
	ds_bpermute_b32 v7, v5, v6
	s_and_saveexec_b64 s[4:5], s[0:1]
	s_cbranch_execz .LBB279_10
; %bb.9:
	s_waitcnt lgkmcnt(0)
	v_add_f32_e32 v3, v6, v7
	v_lshrrev_b32_e32 v6, 4, v0
	v_and_b32_e32 v6, 28, v6
	ds_write_b32 v6, v3
.LBB279_10:
	s_or_b64 exec, exec, s[4:5]
	v_cmp_gt_u32_e64 s[0:1], 8, v0
	v_mov_b32_e32 v3, 0
	s_waitcnt lgkmcnt(0)
	s_barrier
	s_and_saveexec_b64 s[4:5], s[0:1]
	s_cbranch_execnz .LBB279_14
; %bb.11:
	s_or_b64 exec, exec, s[4:5]
	s_and_saveexec_b64 s[0:1], vcc
	s_cbranch_execnz .LBB279_15
.LBB279_12:
	s_or_b64 exec, exec, s[0:1]
	v_cmp_eq_u32_e32 vcc, 0, v0
	s_and_saveexec_b64 s[0:1], vcc
	s_cbranch_execnz .LBB279_16
.LBB279_13:
	s_endpgm
.LBB279_14:
	ds_read_b32 v3, v2
	s_or_b64 exec, exec, s[4:5]
	s_and_saveexec_b64 s[0:1], vcc
	s_cbranch_execz .LBB279_12
.LBB279_15:
	s_waitcnt lgkmcnt(0)
	ds_bpermute_b32 v1, v1, v3
	s_waitcnt lgkmcnt(0)
	v_add_f32_e32 v1, v3, v1
	ds_bpermute_b32 v2, v4, v1
	s_waitcnt lgkmcnt(0)
	v_add_f32_e32 v1, v1, v2
	;; [unrolled: 3-line block ×3, first 2 shown]
	s_or_b64 exec, exec, s[0:1]
	v_cmp_eq_u32_e32 vcc, 0, v0
	s_and_saveexec_b64 s[0:1], vcc
	s_cbranch_execz .LBB279_13
.LBB279_16:
	s_lshl_b64 s[0:1], s[6:7], 2
	s_add_u32 s0, s2, s0
	s_addc_u32 s1, s3, s1
	v_mov_b32_e32 v0, 0
	s_waitcnt lgkmcnt(0)
	global_store_dword v0, v3, s[0:1]
	s_endpgm
	.section	.rodata,"a",@progbits
	.p2align	6, 0x0
	.amdhsa_kernel _ZL30rocblas_reduction_kernel_part2ILi512ELi4E25rocblas_finalize_identityffEviPT2_PT3_
		.amdhsa_group_segment_fixed_size 256
		.amdhsa_private_segment_fixed_size 0
		.amdhsa_kernarg_size 24
		.amdhsa_user_sgpr_count 6
		.amdhsa_user_sgpr_private_segment_buffer 1
		.amdhsa_user_sgpr_dispatch_ptr 0
		.amdhsa_user_sgpr_queue_ptr 0
		.amdhsa_user_sgpr_kernarg_segment_ptr 1
		.amdhsa_user_sgpr_dispatch_id 0
		.amdhsa_user_sgpr_flat_scratch_init 0
		.amdhsa_user_sgpr_kernarg_preload_length 0
		.amdhsa_user_sgpr_kernarg_preload_offset 0
		.amdhsa_user_sgpr_private_segment_size 0
		.amdhsa_uses_dynamic_stack 0
		.amdhsa_system_sgpr_private_segment_wavefront_offset 0
		.amdhsa_system_sgpr_workgroup_id_x 1
		.amdhsa_system_sgpr_workgroup_id_y 0
		.amdhsa_system_sgpr_workgroup_id_z 0
		.amdhsa_system_sgpr_workgroup_info 0
		.amdhsa_system_vgpr_workitem_id 0
		.amdhsa_next_free_vgpr 10
		.amdhsa_next_free_sgpr 14
		.amdhsa_accum_offset 12
		.amdhsa_reserve_vcc 1
		.amdhsa_reserve_flat_scratch 0
		.amdhsa_float_round_mode_32 0
		.amdhsa_float_round_mode_16_64 0
		.amdhsa_float_denorm_mode_32 3
		.amdhsa_float_denorm_mode_16_64 3
		.amdhsa_dx10_clamp 1
		.amdhsa_ieee_mode 1
		.amdhsa_fp16_overflow 0
		.amdhsa_tg_split 0
		.amdhsa_exception_fp_ieee_invalid_op 0
		.amdhsa_exception_fp_denorm_src 0
		.amdhsa_exception_fp_ieee_div_zero 0
		.amdhsa_exception_fp_ieee_overflow 0
		.amdhsa_exception_fp_ieee_underflow 0
		.amdhsa_exception_fp_ieee_inexact 0
		.amdhsa_exception_int_div_zero 0
	.end_amdhsa_kernel
	.section	.text._ZL30rocblas_reduction_kernel_part2ILi512ELi4E25rocblas_finalize_identityffEviPT2_PT3_,"axG",@progbits,_ZL30rocblas_reduction_kernel_part2ILi512ELi4E25rocblas_finalize_identityffEviPT2_PT3_,comdat
.Lfunc_end279:
	.size	_ZL30rocblas_reduction_kernel_part2ILi512ELi4E25rocblas_finalize_identityffEviPT2_PT3_, .Lfunc_end279-_ZL30rocblas_reduction_kernel_part2ILi512ELi4E25rocblas_finalize_identityffEviPT2_PT3_
                                        ; -- End function
	.section	.AMDGPU.csdata,"",@progbits
; Kernel info:
; codeLenInByte = 804
; NumSgprs: 18
; NumVgprs: 10
; NumAgprs: 0
; TotalNumVgprs: 10
; ScratchSize: 0
; MemoryBound: 0
; FloatMode: 240
; IeeeMode: 1
; LDSByteSize: 256 bytes/workgroup (compile time only)
; SGPRBlocks: 2
; VGPRBlocks: 1
; NumSGPRsForWavesPerEU: 18
; NumVGPRsForWavesPerEU: 10
; AccumOffset: 12
; Occupancy: 8
; WaveLimiterHint : 0
; COMPUTE_PGM_RSRC2:SCRATCH_EN: 0
; COMPUTE_PGM_RSRC2:USER_SGPR: 6
; COMPUTE_PGM_RSRC2:TRAP_HANDLER: 0
; COMPUTE_PGM_RSRC2:TGID_X_EN: 1
; COMPUTE_PGM_RSRC2:TGID_Y_EN: 0
; COMPUTE_PGM_RSRC2:TGID_Z_EN: 0
; COMPUTE_PGM_RSRC2:TIDIG_COMP_CNT: 0
; COMPUTE_PGM_RSRC3_GFX90A:ACCUM_OFFSET: 2
; COMPUTE_PGM_RSRC3_GFX90A:TG_SPLIT: 0
	.section	.text._ZL28rocblas_dot_batched_4_kernelIlLi32ELi4ELb1EffPKPKDF16_EviT5_lT_lS4_lS5_liPT4_,"axG",@progbits,_ZL28rocblas_dot_batched_4_kernelIlLi32ELi4ELb1EffPKPKDF16_EviT5_lT_lS4_lS5_liPT4_,comdat
	.globl	_ZL28rocblas_dot_batched_4_kernelIlLi32ELi4ELb1EffPKPKDF16_EviT5_lT_lS4_lS5_liPT4_ ; -- Begin function _ZL28rocblas_dot_batched_4_kernelIlLi32ELi4ELb1EffPKPKDF16_EviT5_lT_lS4_lS5_liPT4_
	.p2align	8
	.type	_ZL28rocblas_dot_batched_4_kernelIlLi32ELi4ELb1EffPKPKDF16_EviT5_lT_lS4_lS5_liPT4_,@function
_ZL28rocblas_dot_batched_4_kernelIlLi32ELi4ELb1EffPKPKDF16_EviT5_lT_lS4_lS5_liPT4_: ; @_ZL28rocblas_dot_batched_4_kernelIlLi32ELi4ELb1EffPKPKDF16_EviT5_lT_lS4_lS5_liPT4_
; %bb.0:
	s_load_dword s0, s[4:5], 0x48
	v_bfe_u32 v1, v0, 10, 10
	v_lshl_add_u32 v2, s6, 2, v1
	s_waitcnt lgkmcnt(0)
	v_cmp_gt_u32_e32 vcc, s0, v2
	s_and_saveexec_b64 s[0:1], vcc
	s_cbranch_execz .LBB280_7
; %bb.1:
	s_load_dword s14, s[4:5], 0x0
	s_load_dwordx2 s[8:9], s[4:5], 0x50
	v_mov_b32_e32 v3, 0
	v_and_b32_e32 v6, 0x3ff, v0
	v_mov_b32_e32 v7, v3
	s_waitcnt lgkmcnt(0)
	v_cmp_gt_i32_e32 vcc, s14, v6
	s_and_saveexec_b64 s[10:11], vcc
	s_cbranch_execz .LBB280_5
; %bb.2:
	s_load_dwordx2 s[6:7], s[4:5], 0x8
	s_load_dwordx2 s[12:13], s[4:5], 0x28
	v_lshlrev_b64 v[0:1], 3, v[2:3]
	s_load_dwordx4 s[0:3], s[4:5], 0x10
	s_waitcnt lgkmcnt(0)
	v_mov_b32_e32 v5, s7
	v_add_co_u32_e32 v4, vcc, s6, v0
	v_addc_co_u32_e32 v5, vcc, v5, v1, vcc
	global_load_dwordx2 v[4:5], v[4:5], off
	v_mov_b32_e32 v7, s13
	v_add_co_u32_e32 v0, vcc, s12, v0
	v_addc_co_u32_e32 v1, vcc, v7, v1, vcc
	global_load_dwordx2 v[10:11], v[0:1], off
	s_load_dwordx4 s[4:7], s[4:5], 0x30
	v_mad_u64_u32 v[0:1], s[16:17], s2, v6, 0
	v_mov_b32_e32 v14, v1
	s_lshl_b64 s[16:17], s[0:1], 1
	s_lshl_b64 s[0:1], s[2:3], 6
	s_waitcnt lgkmcnt(0)
	v_mad_u64_u32 v[12:13], s[18:19], s6, v6, 0
	v_mad_u64_u32 v[14:15], s[2:3], s3, v6, v[14:15]
	v_mov_b32_e32 v16, v13
	v_mov_b32_e32 v1, v14
	v_mad_u64_u32 v[16:17], s[2:3], s7, v6, v[16:17]
	v_lshlrev_b64 v[0:1], 1, v[0:1]
	v_mov_b32_e32 v18, s17
	v_mov_b32_e32 v13, v16
	v_add_co_u32_e32 v0, vcc, s16, v0
	s_lshl_b64 s[18:19], s[4:5], 1
	v_lshlrev_b64 v[12:13], 1, v[12:13]
	v_addc_co_u32_e32 v1, vcc, v1, v18, vcc
	v_mov_b32_e32 v19, s19
	v_add_co_u32_e32 v12, vcc, s18, v12
	v_addc_co_u32_e32 v13, vcc, v13, v19, vcc
	s_lshl_b64 s[4:5], s[6:7], 6
	s_mov_b64 s[12:13], 0
	v_mov_b32_e32 v7, 0
	v_mov_b32_e32 v8, s1
	v_mov_b32_e32 v9, s5
	s_waitcnt vmcnt(1)
	v_add_co_u32_e32 v0, vcc, v4, v0
	v_addc_co_u32_e32 v1, vcc, v5, v1, vcc
	s_waitcnt vmcnt(0)
	v_add_co_u32_e32 v4, vcc, v10, v12
	v_addc_co_u32_e32 v5, vcc, v11, v13, vcc
	v_mov_b32_e32 v10, v6
.LBB280_3:                              ; =>This Inner Loop Header: Depth=1
	global_load_ushort v11, v[0:1], off
	global_load_ushort v12, v[4:5], off
	v_add_co_u32_e32 v0, vcc, s0, v0
	v_addc_co_u32_e32 v1, vcc, v1, v8, vcc
	v_add_co_u32_e32 v4, vcc, s4, v4
	v_add_u32_e32 v10, 32, v10
	v_addc_co_u32_e32 v5, vcc, v5, v9, vcc
	v_cmp_le_i32_e32 vcc, s14, v10
	s_or_b64 s[12:13], vcc, s[12:13]
	s_waitcnt vmcnt(0)
	v_fma_mix_f32 v7, v11, v12, v7 op_sel_hi:[1,1,0]
	s_andn2_b64 exec, exec, s[12:13]
	s_cbranch_execnz .LBB280_3
; %bb.4:
	s_or_b64 exec, exec, s[12:13]
.LBB280_5:
	s_or_b64 exec, exec, s[10:11]
	v_mbcnt_lo_u32_b32 v0, -1, 0
	v_mbcnt_hi_u32_b32 v0, -1, v0
	v_and_b32_e32 v1, 63, v0
	v_cmp_gt_u32_e32 vcc, 48, v1
	v_cndmask_b32_e64 v4, 0, 1, vcc
	v_lshlrev_b32_e32 v4, 4, v4
	v_add_lshl_u32 v4, v4, v0, 2
	ds_bpermute_b32 v4, v4, v7
	v_cmp_gt_u32_e32 vcc, 56, v1
	v_cndmask_b32_e64 v5, 0, 1, vcc
	v_lshlrev_b32_e32 v5, 3, v5
	v_add_lshl_u32 v5, v5, v0, 2
	s_waitcnt lgkmcnt(0)
	v_add_f32_e32 v4, v7, v4
	ds_bpermute_b32 v5, v5, v4
	v_cmp_gt_u32_e32 vcc, 60, v1
	v_cndmask_b32_e64 v7, 0, 1, vcc
	v_lshlrev_b32_e32 v7, 2, v7
	v_cmp_gt_u32_e32 vcc, 62, v1
	s_waitcnt lgkmcnt(0)
	v_add_f32_e32 v4, v4, v5
	v_add_lshl_u32 v5, v7, v0, 2
	ds_bpermute_b32 v5, v5, v4
	v_cndmask_b32_e64 v7, 0, 1, vcc
	v_lshlrev_b32_e32 v7, 1, v7
	v_cmp_ne_u32_e32 vcc, 63, v1
	v_addc_co_u32_e32 v1, vcc, 0, v0, vcc
	s_waitcnt lgkmcnt(0)
	v_add_f32_e32 v4, v4, v5
	v_add_lshl_u32 v5, v7, v0, 2
	ds_bpermute_b32 v5, v5, v4
	v_lshlrev_b32_e32 v1, 2, v1
	v_cmp_eq_u32_e32 vcc, 0, v6
	s_waitcnt lgkmcnt(0)
	s_barrier
	v_add_f32_e32 v0, v4, v5
	ds_bpermute_b32 v1, v1, v0
	s_waitcnt lgkmcnt(0)
	s_and_b64 exec, exec, vcc
	s_cbranch_execz .LBB280_7
; %bb.6:
	v_lshlrev_b64 v[2:3], 2, v[2:3]
	v_mov_b32_e32 v4, s9
	v_add_co_u32_e32 v2, vcc, s8, v2
	v_addc_co_u32_e32 v3, vcc, v4, v3, vcc
	v_add_f32_e32 v0, v0, v1
	global_store_dword v[2:3], v0, off
.LBB280_7:
	s_endpgm
	.section	.rodata,"a",@progbits
	.p2align	6, 0x0
	.amdhsa_kernel _ZL28rocblas_dot_batched_4_kernelIlLi32ELi4ELb1EffPKPKDF16_EviT5_lT_lS4_lS5_liPT4_
		.amdhsa_group_segment_fixed_size 0
		.amdhsa_private_segment_fixed_size 0
		.amdhsa_kernarg_size 88
		.amdhsa_user_sgpr_count 6
		.amdhsa_user_sgpr_private_segment_buffer 1
		.amdhsa_user_sgpr_dispatch_ptr 0
		.amdhsa_user_sgpr_queue_ptr 0
		.amdhsa_user_sgpr_kernarg_segment_ptr 1
		.amdhsa_user_sgpr_dispatch_id 0
		.amdhsa_user_sgpr_flat_scratch_init 0
		.amdhsa_user_sgpr_kernarg_preload_length 0
		.amdhsa_user_sgpr_kernarg_preload_offset 0
		.amdhsa_user_sgpr_private_segment_size 0
		.amdhsa_uses_dynamic_stack 0
		.amdhsa_system_sgpr_private_segment_wavefront_offset 0
		.amdhsa_system_sgpr_workgroup_id_x 1
		.amdhsa_system_sgpr_workgroup_id_y 0
		.amdhsa_system_sgpr_workgroup_id_z 0
		.amdhsa_system_sgpr_workgroup_info 0
		.amdhsa_system_vgpr_workitem_id 1
		.amdhsa_next_free_vgpr 20
		.amdhsa_next_free_sgpr 20
		.amdhsa_accum_offset 20
		.amdhsa_reserve_vcc 1
		.amdhsa_reserve_flat_scratch 0
		.amdhsa_float_round_mode_32 0
		.amdhsa_float_round_mode_16_64 0
		.amdhsa_float_denorm_mode_32 3
		.amdhsa_float_denorm_mode_16_64 3
		.amdhsa_dx10_clamp 1
		.amdhsa_ieee_mode 1
		.amdhsa_fp16_overflow 0
		.amdhsa_tg_split 0
		.amdhsa_exception_fp_ieee_invalid_op 0
		.amdhsa_exception_fp_denorm_src 0
		.amdhsa_exception_fp_ieee_div_zero 0
		.amdhsa_exception_fp_ieee_overflow 0
		.amdhsa_exception_fp_ieee_underflow 0
		.amdhsa_exception_fp_ieee_inexact 0
		.amdhsa_exception_int_div_zero 0
	.end_amdhsa_kernel
	.section	.text._ZL28rocblas_dot_batched_4_kernelIlLi32ELi4ELb1EffPKPKDF16_EviT5_lT_lS4_lS5_liPT4_,"axG",@progbits,_ZL28rocblas_dot_batched_4_kernelIlLi32ELi4ELb1EffPKPKDF16_EviT5_lT_lS4_lS5_liPT4_,comdat
.Lfunc_end280:
	.size	_ZL28rocblas_dot_batched_4_kernelIlLi32ELi4ELb1EffPKPKDF16_EviT5_lT_lS4_lS5_liPT4_, .Lfunc_end280-_ZL28rocblas_dot_batched_4_kernelIlLi32ELi4ELb1EffPKPKDF16_EviT5_lT_lS4_lS5_liPT4_
                                        ; -- End function
	.section	.AMDGPU.csdata,"",@progbits
; Kernel info:
; codeLenInByte = 652
; NumSgprs: 24
; NumVgprs: 20
; NumAgprs: 0
; TotalNumVgprs: 20
; ScratchSize: 0
; MemoryBound: 0
; FloatMode: 240
; IeeeMode: 1
; LDSByteSize: 0 bytes/workgroup (compile time only)
; SGPRBlocks: 2
; VGPRBlocks: 2
; NumSGPRsForWavesPerEU: 24
; NumVGPRsForWavesPerEU: 20
; AccumOffset: 20
; Occupancy: 8
; WaveLimiterHint : 0
; COMPUTE_PGM_RSRC2:SCRATCH_EN: 0
; COMPUTE_PGM_RSRC2:USER_SGPR: 6
; COMPUTE_PGM_RSRC2:TRAP_HANDLER: 0
; COMPUTE_PGM_RSRC2:TGID_X_EN: 1
; COMPUTE_PGM_RSRC2:TGID_Y_EN: 0
; COMPUTE_PGM_RSRC2:TGID_Z_EN: 0
; COMPUTE_PGM_RSRC2:TIDIG_COMP_CNT: 1
; COMPUTE_PGM_RSRC3_GFX90A:ACCUM_OFFSET: 4
; COMPUTE_PGM_RSRC3_GFX90A:TG_SPLIT: 0
	.section	.text._ZL28rocblas_dot_batched_4_kernelIlLi64ELi4ELb1EffPKPKDF16_EviT5_lT_lS4_lS5_liPT4_,"axG",@progbits,_ZL28rocblas_dot_batched_4_kernelIlLi64ELi4ELb1EffPKPKDF16_EviT5_lT_lS4_lS5_liPT4_,comdat
	.globl	_ZL28rocblas_dot_batched_4_kernelIlLi64ELi4ELb1EffPKPKDF16_EviT5_lT_lS4_lS5_liPT4_ ; -- Begin function _ZL28rocblas_dot_batched_4_kernelIlLi64ELi4ELb1EffPKPKDF16_EviT5_lT_lS4_lS5_liPT4_
	.p2align	8
	.type	_ZL28rocblas_dot_batched_4_kernelIlLi64ELi4ELb1EffPKPKDF16_EviT5_lT_lS4_lS5_liPT4_,@function
_ZL28rocblas_dot_batched_4_kernelIlLi64ELi4ELb1EffPKPKDF16_EviT5_lT_lS4_lS5_liPT4_: ; @_ZL28rocblas_dot_batched_4_kernelIlLi64ELi4ELb1EffPKPKDF16_EviT5_lT_lS4_lS5_liPT4_
; %bb.0:
	s_load_dword s0, s[4:5], 0x48
	v_bfe_u32 v1, v0, 10, 10
	v_lshl_add_u32 v2, s6, 2, v1
	s_waitcnt lgkmcnt(0)
	v_cmp_gt_u32_e32 vcc, s0, v2
	s_and_saveexec_b64 s[0:1], vcc
	s_cbranch_execz .LBB281_7
; %bb.1:
	s_load_dword s14, s[4:5], 0x0
	s_load_dwordx2 s[8:9], s[4:5], 0x50
	v_mov_b32_e32 v3, 0
	v_and_b32_e32 v6, 0x3ff, v0
	v_mov_b32_e32 v7, v3
	s_waitcnt lgkmcnt(0)
	v_cmp_gt_i32_e32 vcc, s14, v6
	s_and_saveexec_b64 s[10:11], vcc
	s_cbranch_execz .LBB281_5
; %bb.2:
	s_load_dwordx2 s[6:7], s[4:5], 0x8
	s_load_dwordx2 s[12:13], s[4:5], 0x28
	v_lshlrev_b64 v[0:1], 3, v[2:3]
	s_load_dwordx4 s[0:3], s[4:5], 0x10
	s_waitcnt lgkmcnt(0)
	v_mov_b32_e32 v5, s7
	v_add_co_u32_e32 v4, vcc, s6, v0
	v_addc_co_u32_e32 v5, vcc, v5, v1, vcc
	global_load_dwordx2 v[4:5], v[4:5], off
	v_mov_b32_e32 v7, s13
	v_add_co_u32_e32 v0, vcc, s12, v0
	v_addc_co_u32_e32 v1, vcc, v7, v1, vcc
	global_load_dwordx2 v[10:11], v[0:1], off
	s_load_dwordx4 s[4:7], s[4:5], 0x30
	v_mad_u64_u32 v[0:1], s[16:17], s2, v6, 0
	v_mov_b32_e32 v14, v1
	s_lshl_b64 s[16:17], s[0:1], 1
	s_lshl_b64 s[0:1], s[2:3], 7
	s_waitcnt lgkmcnt(0)
	v_mad_u64_u32 v[12:13], s[18:19], s6, v6, 0
	v_mad_u64_u32 v[14:15], s[2:3], s3, v6, v[14:15]
	v_mov_b32_e32 v16, v13
	v_mov_b32_e32 v1, v14
	v_mad_u64_u32 v[16:17], s[2:3], s7, v6, v[16:17]
	v_lshlrev_b64 v[0:1], 1, v[0:1]
	v_mov_b32_e32 v18, s17
	v_mov_b32_e32 v13, v16
	v_add_co_u32_e32 v0, vcc, s16, v0
	s_lshl_b64 s[18:19], s[4:5], 1
	v_lshlrev_b64 v[12:13], 1, v[12:13]
	v_addc_co_u32_e32 v1, vcc, v1, v18, vcc
	v_mov_b32_e32 v19, s19
	v_add_co_u32_e32 v12, vcc, s18, v12
	v_addc_co_u32_e32 v13, vcc, v13, v19, vcc
	s_lshl_b64 s[4:5], s[6:7], 7
	s_mov_b64 s[12:13], 0
	v_mov_b32_e32 v7, 0
	v_mov_b32_e32 v8, s1
	;; [unrolled: 1-line block ×3, first 2 shown]
	s_waitcnt vmcnt(1)
	v_add_co_u32_e32 v0, vcc, v4, v0
	v_addc_co_u32_e32 v1, vcc, v5, v1, vcc
	s_waitcnt vmcnt(0)
	v_add_co_u32_e32 v4, vcc, v10, v12
	v_addc_co_u32_e32 v5, vcc, v11, v13, vcc
	v_mov_b32_e32 v10, v6
.LBB281_3:                              ; =>This Inner Loop Header: Depth=1
	global_load_ushort v11, v[0:1], off
	global_load_ushort v12, v[4:5], off
	v_add_co_u32_e32 v0, vcc, s0, v0
	v_addc_co_u32_e32 v1, vcc, v1, v8, vcc
	v_add_co_u32_e32 v4, vcc, s4, v4
	v_add_u32_e32 v10, 64, v10
	v_addc_co_u32_e32 v5, vcc, v5, v9, vcc
	v_cmp_le_i32_e32 vcc, s14, v10
	s_or_b64 s[12:13], vcc, s[12:13]
	s_waitcnt vmcnt(0)
	v_fma_mix_f32 v7, v11, v12, v7 op_sel_hi:[1,1,0]
	s_andn2_b64 exec, exec, s[12:13]
	s_cbranch_execnz .LBB281_3
; %bb.4:
	s_or_b64 exec, exec, s[12:13]
.LBB281_5:
	s_or_b64 exec, exec, s[10:11]
	v_mbcnt_lo_u32_b32 v0, -1, 0
	v_mbcnt_hi_u32_b32 v0, -1, v0
	v_and_b32_e32 v1, 63, v0
	v_cmp_gt_u32_e32 vcc, 32, v1
	v_cndmask_b32_e64 v4, 0, 1, vcc
	v_lshlrev_b32_e32 v4, 5, v4
	v_add_lshl_u32 v4, v4, v0, 2
	ds_bpermute_b32 v4, v4, v7
	v_cmp_gt_u32_e32 vcc, 48, v1
	v_cndmask_b32_e64 v5, 0, 1, vcc
	v_lshlrev_b32_e32 v5, 4, v5
	v_add_lshl_u32 v5, v5, v0, 2
	s_waitcnt lgkmcnt(0)
	v_add_f32_e32 v4, v7, v4
	ds_bpermute_b32 v5, v5, v4
	v_cmp_gt_u32_e32 vcc, 56, v1
	v_cndmask_b32_e64 v7, 0, 1, vcc
	v_lshlrev_b32_e32 v7, 3, v7
	v_cmp_gt_u32_e32 vcc, 60, v1
	s_waitcnt lgkmcnt(0)
	v_add_f32_e32 v4, v4, v5
	v_add_lshl_u32 v5, v7, v0, 2
	ds_bpermute_b32 v5, v5, v4
	v_cndmask_b32_e64 v7, 0, 1, vcc
	v_lshlrev_b32_e32 v7, 2, v7
	v_cmp_gt_u32_e32 vcc, 62, v1
	s_waitcnt lgkmcnt(0)
	v_add_f32_e32 v4, v4, v5
	v_add_lshl_u32 v5, v7, v0, 2
	ds_bpermute_b32 v5, v5, v4
	v_cndmask_b32_e64 v7, 0, 1, vcc
	v_lshlrev_b32_e32 v7, 1, v7
	v_cmp_ne_u32_e32 vcc, 63, v1
	v_addc_co_u32_e32 v1, vcc, 0, v0, vcc
	s_waitcnt lgkmcnt(0)
	v_add_f32_e32 v4, v4, v5
	v_add_lshl_u32 v5, v7, v0, 2
	ds_bpermute_b32 v5, v5, v4
	v_lshlrev_b32_e32 v1, 2, v1
	v_cmp_eq_u32_e32 vcc, 0, v6
	s_barrier
	s_waitcnt lgkmcnt(0)
	v_add_f32_e32 v0, v4, v5
	ds_bpermute_b32 v1, v1, v0
	s_and_b64 exec, exec, vcc
	s_cbranch_execz .LBB281_7
; %bb.6:
	v_lshlrev_b64 v[2:3], 2, v[2:3]
	v_mov_b32_e32 v4, s9
	v_add_co_u32_e32 v2, vcc, s8, v2
	v_addc_co_u32_e32 v3, vcc, v4, v3, vcc
	s_waitcnt lgkmcnt(0)
	v_add_f32_e32 v0, v0, v1
	global_store_dword v[2:3], v0, off
.LBB281_7:
	s_endpgm
	.section	.rodata,"a",@progbits
	.p2align	6, 0x0
	.amdhsa_kernel _ZL28rocblas_dot_batched_4_kernelIlLi64ELi4ELb1EffPKPKDF16_EviT5_lT_lS4_lS5_liPT4_
		.amdhsa_group_segment_fixed_size 0
		.amdhsa_private_segment_fixed_size 0
		.amdhsa_kernarg_size 88
		.amdhsa_user_sgpr_count 6
		.amdhsa_user_sgpr_private_segment_buffer 1
		.amdhsa_user_sgpr_dispatch_ptr 0
		.amdhsa_user_sgpr_queue_ptr 0
		.amdhsa_user_sgpr_kernarg_segment_ptr 1
		.amdhsa_user_sgpr_dispatch_id 0
		.amdhsa_user_sgpr_flat_scratch_init 0
		.amdhsa_user_sgpr_kernarg_preload_length 0
		.amdhsa_user_sgpr_kernarg_preload_offset 0
		.amdhsa_user_sgpr_private_segment_size 0
		.amdhsa_uses_dynamic_stack 0
		.amdhsa_system_sgpr_private_segment_wavefront_offset 0
		.amdhsa_system_sgpr_workgroup_id_x 1
		.amdhsa_system_sgpr_workgroup_id_y 0
		.amdhsa_system_sgpr_workgroup_id_z 0
		.amdhsa_system_sgpr_workgroup_info 0
		.amdhsa_system_vgpr_workitem_id 1
		.amdhsa_next_free_vgpr 20
		.amdhsa_next_free_sgpr 20
		.amdhsa_accum_offset 20
		.amdhsa_reserve_vcc 1
		.amdhsa_reserve_flat_scratch 0
		.amdhsa_float_round_mode_32 0
		.amdhsa_float_round_mode_16_64 0
		.amdhsa_float_denorm_mode_32 3
		.amdhsa_float_denorm_mode_16_64 3
		.amdhsa_dx10_clamp 1
		.amdhsa_ieee_mode 1
		.amdhsa_fp16_overflow 0
		.amdhsa_tg_split 0
		.amdhsa_exception_fp_ieee_invalid_op 0
		.amdhsa_exception_fp_denorm_src 0
		.amdhsa_exception_fp_ieee_div_zero 0
		.amdhsa_exception_fp_ieee_overflow 0
		.amdhsa_exception_fp_ieee_underflow 0
		.amdhsa_exception_fp_ieee_inexact 0
		.amdhsa_exception_int_div_zero 0
	.end_amdhsa_kernel
	.section	.text._ZL28rocblas_dot_batched_4_kernelIlLi64ELi4ELb1EffPKPKDF16_EviT5_lT_lS4_lS5_liPT4_,"axG",@progbits,_ZL28rocblas_dot_batched_4_kernelIlLi64ELi4ELb1EffPKPKDF16_EviT5_lT_lS4_lS5_liPT4_,comdat
.Lfunc_end281:
	.size	_ZL28rocblas_dot_batched_4_kernelIlLi64ELi4ELb1EffPKPKDF16_EviT5_lT_lS4_lS5_liPT4_, .Lfunc_end281-_ZL28rocblas_dot_batched_4_kernelIlLi64ELi4ELb1EffPKPKDF16_EviT5_lT_lS4_lS5_liPT4_
                                        ; -- End function
	.section	.AMDGPU.csdata,"",@progbits
; Kernel info:
; codeLenInByte = 692
; NumSgprs: 24
; NumVgprs: 20
; NumAgprs: 0
; TotalNumVgprs: 20
; ScratchSize: 0
; MemoryBound: 0
; FloatMode: 240
; IeeeMode: 1
; LDSByteSize: 0 bytes/workgroup (compile time only)
; SGPRBlocks: 2
; VGPRBlocks: 2
; NumSGPRsForWavesPerEU: 24
; NumVGPRsForWavesPerEU: 20
; AccumOffset: 20
; Occupancy: 8
; WaveLimiterHint : 0
; COMPUTE_PGM_RSRC2:SCRATCH_EN: 0
; COMPUTE_PGM_RSRC2:USER_SGPR: 6
; COMPUTE_PGM_RSRC2:TRAP_HANDLER: 0
; COMPUTE_PGM_RSRC2:TGID_X_EN: 1
; COMPUTE_PGM_RSRC2:TGID_Y_EN: 0
; COMPUTE_PGM_RSRC2:TGID_Z_EN: 0
; COMPUTE_PGM_RSRC2:TIDIG_COMP_CNT: 1
; COMPUTE_PGM_RSRC3_GFX90A:ACCUM_OFFSET: 4
; COMPUTE_PGM_RSRC3_GFX90A:TG_SPLIT: 0
	.section	.text._ZL26rocblas_dot_kernel_inc1by2ILb1ELi1024ELi32ELb1EfPKPKDF16_fEviT4_llS4_lliPT5_PT3_,"axG",@progbits,_ZL26rocblas_dot_kernel_inc1by2ILb1ELi1024ELi32ELb1EfPKPKDF16_fEviT4_llS4_lliPT5_PT3_,comdat
	.globl	_ZL26rocblas_dot_kernel_inc1by2ILb1ELi1024ELi32ELb1EfPKPKDF16_fEviT4_llS4_lliPT5_PT3_ ; -- Begin function _ZL26rocblas_dot_kernel_inc1by2ILb1ELi1024ELi32ELb1EfPKPKDF16_fEviT4_llS4_lliPT5_PT3_
	.p2align	8
	.type	_ZL26rocblas_dot_kernel_inc1by2ILb1ELi1024ELi32ELb1EfPKPKDF16_fEviT4_llS4_lliPT5_PT3_,@function
_ZL26rocblas_dot_kernel_inc1by2ILb1ELi1024ELi32ELb1EfPKPKDF16_fEviT4_llS4_lliPT5_PT3_: ; @_ZL26rocblas_dot_kernel_inc1by2ILb1ELi1024ELi32ELb1EfPKPKDF16_fEviT4_llS4_lliPT5_PT3_
; %bb.0:
	s_load_dword s20, s[4:5], 0x0
	s_load_dwordx4 s[0:3], s[4:5], 0x8
	s_load_dwordx2 s[12:13], s[4:5], 0x48
	s_load_dwordx4 s[8:11], s[4:5], 0x20
	s_mov_b32 s6, s7
	s_mov_b32 s7, 0
	s_lshl_b64 s[14:15], s[6:7], 3
	s_waitcnt lgkmcnt(0)
	s_add_u32 s0, s0, s14
	s_addc_u32 s1, s1, s15
	s_load_dwordx2 s[4:5], s[0:1], 0x0
	s_add_u32 s0, s8, s14
	s_addc_u32 s1, s9, s15
	s_load_dwordx2 s[14:15], s[0:1], 0x0
	v_lshlrev_b32_e32 v6, 1, v0
	s_add_i32 s8, s20, -1
	v_cmp_gt_i32_e32 vcc, s8, v6
	v_mov_b32_e32 v1, 0
	s_and_saveexec_b64 s[16:17], vcc
	s_cbranch_execz .LBB282_4
; %bb.1:
	s_lshl_b64 s[0:1], s[10:11], 1
	s_waitcnt lgkmcnt(0)
	s_add_u32 s0, s14, s0
	v_lshlrev_b32_e32 v4, 2, v0
	s_addc_u32 s1, s15, s1
	v_mov_b32_e32 v3, s1
	v_add_co_u32_e32 v2, vcc, s0, v4
	s_lshl_b64 s[0:1], s[2:3], 1
	s_add_u32 s0, s4, s0
	v_addc_co_u32_e32 v3, vcc, 0, v3, vcc
	s_addc_u32 s1, s5, s1
	v_mov_b32_e32 v5, s1
	v_add_co_u32_e32 v4, vcc, s0, v4
	v_mov_b32_e32 v1, 0
	v_addc_co_u32_e32 v5, vcc, 0, v5, vcc
	s_mov_b64 s[18:19], 0
	s_mov_b32 s9, s7
.LBB282_2:                              ; =>This Inner Loop Header: Depth=1
	global_load_dword v7, v[2:3], off
	global_load_dword v10, v[4:5], off
	s_add_i32 s21, s9, 1
	v_add_u32_e32 v6, 0x800, v6
	s_cmp_gt_u32 s9, 30
	v_add_co_u32_e32 v2, vcc, 0x1000, v2
	v_cmp_le_i32_e64 s[0:1], s8, v6
	s_cselect_b64 s[22:23], -1, 0
	v_addc_co_u32_e32 v3, vcc, 0, v3, vcc
	s_or_b64 s[0:1], s[22:23], s[0:1]
	v_add_co_u32_e32 v4, vcc, 0x1000, v4
	s_and_b64 s[0:1], exec, s[0:1]
	s_mov_b32 s9, s21
	v_addc_co_u32_e32 v5, vcc, 0, v5, vcc
	s_or_b64 s[18:19], s[0:1], s[18:19]
	s_waitcnt vmcnt(1)
	v_cvt_f32_f16_sdwa v9, v7 dst_sel:DWORD dst_unused:UNUSED_PAD src0_sel:WORD_1
	v_cvt_f32_f16_e32 v8, v7
	s_waitcnt vmcnt(0)
	v_cvt_f32_f16_sdwa v11, v10 dst_sel:DWORD dst_unused:UNUSED_PAD src0_sel:WORD_1
	v_cvt_f32_f16_e32 v10, v10
	v_pk_mul_f32 v[8:9], v[8:9], v[10:11]
	v_add_f32_e32 v1, v1, v8
	v_add_f32_e32 v1, v1, v9
	s_andn2_b64 exec, exec, s[18:19]
	s_cbranch_execnz .LBB282_2
; %bb.3:
	s_or_b64 exec, exec, s[18:19]
.LBB282_4:
	s_or_b64 exec, exec, s[16:17]
	s_bitcmp1_b32 s20, 0
	s_cselect_b64 s[0:1], -1, 0
	v_cmp_eq_u32_e32 vcc, s8, v6
	s_and_b64 s[16:17], s[0:1], vcc
	s_and_saveexec_b64 s[0:1], s[16:17]
	s_cbranch_execz .LBB282_6
; %bb.5:
	s_lshl_b64 s[2:3], s[2:3], 1
	s_waitcnt lgkmcnt(0)
	s_add_u32 s16, s4, s2
	s_addc_u32 s17, s5, s3
	s_lshl_b64 s[2:3], s[10:11], 1
	s_add_u32 s4, s14, s2
	s_mov_b32 s9, 0
	s_addc_u32 s5, s15, s3
	s_lshl_b64 s[2:3], s[8:9], 1
	s_add_u32 s4, s4, s2
	s_addc_u32 s5, s5, s3
	v_mov_b32_e32 v2, 0
	s_add_u32 s2, s16, s2
	s_addc_u32 s3, s17, s3
	global_load_ushort v3, v2, s[4:5]
	global_load_ushort v4, v2, s[2:3]
	s_waitcnt vmcnt(0)
	v_fma_mix_f32 v1, v3, v4, v1 op_sel_hi:[1,1,0]
.LBB282_6:
	s_or_b64 exec, exec, s[0:1]
	v_and_b32_e32 v3, 63, v0
	v_cmp_gt_u32_e32 vcc, 64, v0
	v_lshlrev_b32_e32 v2, 2, v3
	s_and_saveexec_b64 s[0:1], vcc
	s_cbranch_execz .LBB282_8
; %bb.7:
	v_mov_b32_e32 v4, 0
	ds_write_b32 v2, v4
.LBB282_8:
	s_or_b64 exec, exec, s[0:1]
	v_mbcnt_lo_u32_b32 v4, -1, 0
	v_mbcnt_hi_u32_b32 v6, -1, v4
	v_and_b32_e32 v7, 63, v6
	v_cmp_gt_u32_e64 s[0:1], 32, v7
	v_cndmask_b32_e64 v4, 0, 1, s[0:1]
	v_lshlrev_b32_e32 v4, 5, v4
	v_add_lshl_u32 v4, v4, v6, 2
	ds_bpermute_b32 v4, v4, v1
	v_cmp_gt_u32_e64 s[0:1], 48, v7
	v_cndmask_b32_e64 v5, 0, 1, s[0:1]
	v_lshlrev_b32_e32 v5, 4, v5
	v_cmp_gt_u32_e64 s[0:1], 56, v7
	s_waitcnt lgkmcnt(0)
	v_add_f32_e32 v1, v1, v4
	v_add_lshl_u32 v4, v5, v6, 2
	ds_bpermute_b32 v4, v4, v1
	v_cndmask_b32_e64 v5, 0, 1, s[0:1]
	v_lshlrev_b32_e32 v5, 3, v5
	v_cmp_gt_u32_e64 s[0:1], 60, v7
	v_cndmask_b32_e64 v8, 0, 1, s[0:1]
	s_waitcnt lgkmcnt(0)
	v_add_f32_e32 v4, v1, v4
	v_add_lshl_u32 v1, v5, v6, 2
	ds_bpermute_b32 v5, v1, v4
	v_lshlrev_b32_e32 v8, 2, v8
	v_cmp_gt_u32_e64 s[0:1], 62, v7
	v_cndmask_b32_e64 v9, 0, 1, s[0:1]
	v_lshlrev_b32_e32 v9, 1, v9
	s_waitcnt lgkmcnt(0)
	v_add_f32_e32 v5, v4, v5
	v_add_lshl_u32 v4, v8, v6, 2
	ds_bpermute_b32 v8, v4, v5
	v_cmp_ne_u32_e64 s[0:1], 63, v7
	s_waitcnt lgkmcnt(0)
	s_barrier
	v_add_f32_e32 v8, v5, v8
	v_add_lshl_u32 v5, v9, v6, 2
	ds_bpermute_b32 v9, v5, v8
	v_addc_co_u32_e64 v6, s[0:1], 0, v6, s[0:1]
	v_lshlrev_b32_e32 v6, 2, v6
	v_cmp_eq_u32_e64 s[0:1], 0, v3
	s_waitcnt lgkmcnt(0)
	v_add_f32_e32 v7, v8, v9
	ds_bpermute_b32 v8, v6, v7
	s_and_saveexec_b64 s[2:3], s[0:1]
	s_cbranch_execz .LBB282_10
; %bb.9:
	s_waitcnt lgkmcnt(0)
	v_add_f32_e32 v3, v7, v8
	v_lshrrev_b32_e32 v7, 4, v0
	v_and_b32_e32 v7, 60, v7
	ds_write_b32 v7, v3
.LBB282_10:
	s_or_b64 exec, exec, s[2:3]
	v_cmp_gt_u32_e64 s[0:1], 16, v0
	v_mov_b32_e32 v3, 0
	s_waitcnt lgkmcnt(0)
	s_barrier
	s_and_saveexec_b64 s[2:3], s[0:1]
	s_cbranch_execnz .LBB282_14
; %bb.11:
	s_or_b64 exec, exec, s[2:3]
	s_and_saveexec_b64 s[0:1], vcc
	s_cbranch_execnz .LBB282_15
.LBB282_12:
	s_or_b64 exec, exec, s[0:1]
	v_cmp_eq_u32_e32 vcc, 0, v0
	s_and_saveexec_b64 s[0:1], vcc
	s_cbranch_execnz .LBB282_16
.LBB282_13:
	s_endpgm
.LBB282_14:
	ds_read_b32 v3, v2
	s_or_b64 exec, exec, s[2:3]
	s_and_saveexec_b64 s[0:1], vcc
	s_cbranch_execz .LBB282_12
.LBB282_15:
	s_waitcnt lgkmcnt(0)
	ds_bpermute_b32 v1, v1, v3
	s_waitcnt lgkmcnt(0)
	v_add_f32_e32 v1, v3, v1
	ds_bpermute_b32 v2, v4, v1
	s_waitcnt lgkmcnt(0)
	v_add_f32_e32 v1, v1, v2
	;; [unrolled: 3-line block ×4, first 2 shown]
	s_or_b64 exec, exec, s[0:1]
	v_cmp_eq_u32_e32 vcc, 0, v0
	s_and_saveexec_b64 s[0:1], vcc
	s_cbranch_execz .LBB282_13
.LBB282_16:
	s_lshl_b64 s[0:1], s[6:7], 2
	s_add_u32 s0, s12, s0
	s_addc_u32 s1, s13, s1
	v_mov_b32_e32 v0, 0
	s_waitcnt lgkmcnt(0)
	global_store_dword v0, v3, s[0:1]
	s_endpgm
	.section	.rodata,"a",@progbits
	.p2align	6, 0x0
	.amdhsa_kernel _ZL26rocblas_dot_kernel_inc1by2ILb1ELi1024ELi32ELb1EfPKPKDF16_fEviT4_llS4_lliPT5_PT3_
		.amdhsa_group_segment_fixed_size 256
		.amdhsa_private_segment_fixed_size 0
		.amdhsa_kernarg_size 80
		.amdhsa_user_sgpr_count 6
		.amdhsa_user_sgpr_private_segment_buffer 1
		.amdhsa_user_sgpr_dispatch_ptr 0
		.amdhsa_user_sgpr_queue_ptr 0
		.amdhsa_user_sgpr_kernarg_segment_ptr 1
		.amdhsa_user_sgpr_dispatch_id 0
		.amdhsa_user_sgpr_flat_scratch_init 0
		.amdhsa_user_sgpr_kernarg_preload_length 0
		.amdhsa_user_sgpr_kernarg_preload_offset 0
		.amdhsa_user_sgpr_private_segment_size 0
		.amdhsa_uses_dynamic_stack 0
		.amdhsa_system_sgpr_private_segment_wavefront_offset 0
		.amdhsa_system_sgpr_workgroup_id_x 1
		.amdhsa_system_sgpr_workgroup_id_y 0
		.amdhsa_system_sgpr_workgroup_id_z 1
		.amdhsa_system_sgpr_workgroup_info 0
		.amdhsa_system_vgpr_workitem_id 0
		.amdhsa_next_free_vgpr 12
		.amdhsa_next_free_sgpr 24
		.amdhsa_accum_offset 12
		.amdhsa_reserve_vcc 1
		.amdhsa_reserve_flat_scratch 0
		.amdhsa_float_round_mode_32 0
		.amdhsa_float_round_mode_16_64 0
		.amdhsa_float_denorm_mode_32 3
		.amdhsa_float_denorm_mode_16_64 3
		.amdhsa_dx10_clamp 1
		.amdhsa_ieee_mode 1
		.amdhsa_fp16_overflow 0
		.amdhsa_tg_split 0
		.amdhsa_exception_fp_ieee_invalid_op 0
		.amdhsa_exception_fp_denorm_src 0
		.amdhsa_exception_fp_ieee_div_zero 0
		.amdhsa_exception_fp_ieee_overflow 0
		.amdhsa_exception_fp_ieee_underflow 0
		.amdhsa_exception_fp_ieee_inexact 0
		.amdhsa_exception_int_div_zero 0
	.end_amdhsa_kernel
	.section	.text._ZL26rocblas_dot_kernel_inc1by2ILb1ELi1024ELi32ELb1EfPKPKDF16_fEviT4_llS4_lliPT5_PT3_,"axG",@progbits,_ZL26rocblas_dot_kernel_inc1by2ILb1ELi1024ELi32ELb1EfPKPKDF16_fEviT4_llS4_lliPT5_PT3_,comdat
.Lfunc_end282:
	.size	_ZL26rocblas_dot_kernel_inc1by2ILb1ELi1024ELi32ELb1EfPKPKDF16_fEviT4_llS4_lliPT5_PT3_, .Lfunc_end282-_ZL26rocblas_dot_kernel_inc1by2ILb1ELi1024ELi32ELb1EfPKPKDF16_fEviT4_llS4_lliPT5_PT3_
                                        ; -- End function
	.section	.AMDGPU.csdata,"",@progbits
; Kernel info:
; codeLenInByte = 980
; NumSgprs: 28
; NumVgprs: 12
; NumAgprs: 0
; TotalNumVgprs: 12
; ScratchSize: 0
; MemoryBound: 0
; FloatMode: 240
; IeeeMode: 1
; LDSByteSize: 256 bytes/workgroup (compile time only)
; SGPRBlocks: 3
; VGPRBlocks: 1
; NumSGPRsForWavesPerEU: 28
; NumVGPRsForWavesPerEU: 12
; AccumOffset: 12
; Occupancy: 8
; WaveLimiterHint : 1
; COMPUTE_PGM_RSRC2:SCRATCH_EN: 0
; COMPUTE_PGM_RSRC2:USER_SGPR: 6
; COMPUTE_PGM_RSRC2:TRAP_HANDLER: 0
; COMPUTE_PGM_RSRC2:TGID_X_EN: 1
; COMPUTE_PGM_RSRC2:TGID_Y_EN: 0
; COMPUTE_PGM_RSRC2:TGID_Z_EN: 1
; COMPUTE_PGM_RSRC2:TIDIG_COMP_CNT: 0
; COMPUTE_PGM_RSRC3_GFX90A:ACCUM_OFFSET: 2
; COMPUTE_PGM_RSRC3_GFX90A:TG_SPLIT: 0
	.section	.text._ZL18rocblas_dot_kernelIlLb1ELi1024ELi32ELb1EfPKPKDF16_fEviT5_lT_lS4_lS5_liPT6_PT4_,"axG",@progbits,_ZL18rocblas_dot_kernelIlLb1ELi1024ELi32ELb1EfPKPKDF16_fEviT5_lT_lS4_lS5_liPT6_PT4_,comdat
	.globl	_ZL18rocblas_dot_kernelIlLb1ELi1024ELi32ELb1EfPKPKDF16_fEviT5_lT_lS4_lS5_liPT6_PT4_ ; -- Begin function _ZL18rocblas_dot_kernelIlLb1ELi1024ELi32ELb1EfPKPKDF16_fEviT5_lT_lS4_lS5_liPT6_PT4_
	.p2align	8
	.type	_ZL18rocblas_dot_kernelIlLb1ELi1024ELi32ELb1EfPKPKDF16_fEviT5_lT_lS4_lS5_liPT6_PT4_,@function
_ZL18rocblas_dot_kernelIlLb1ELi1024ELi32ELb1EfPKPKDF16_fEviT5_lT_lS4_lS5_liPT6_PT4_: ; @_ZL18rocblas_dot_kernelIlLb1ELi1024ELi32ELb1EfPKPKDF16_fEviT5_lT_lS4_lS5_liPT6_PT4_
; %bb.0:
	s_load_dword s16, s[4:5], 0x0
	s_load_dwordx2 s[12:13], s[4:5], 0x58
	s_mov_b32 s6, s7
	s_mov_b32 s7, 0
	v_mov_b32_e32 v6, 0
	s_waitcnt lgkmcnt(0)
	v_cmp_gt_i32_e32 vcc, s16, v0
	s_and_saveexec_b64 s[14:15], vcc
	s_cbranch_execz .LBB283_4
; %bb.1:
	s_load_dwordx2 s[18:19], s[4:5], 0x8
	s_load_dwordx4 s[8:11], s[4:5], 0x10
	s_load_dwordx2 s[20:21], s[4:5], 0x28
	s_load_dwordx4 s[0:3], s[4:5], 0x30
	s_lshl_b64 s[22:23], s[6:7], 3
	s_waitcnt lgkmcnt(0)
	s_add_u32 s18, s18, s22
	s_addc_u32 s19, s19, s23
	s_load_dword s17, s[4:5], 0x60
	s_load_dwordx2 s[24:25], s[18:19], 0x0
	s_add_u32 s4, s20, s22
	s_addc_u32 s5, s21, s23
	s_load_dwordx2 s[18:19], s[4:5], 0x0
	v_mad_u64_u32 v[2:3], s[4:5], s10, v0, 0
	v_mov_b32_e32 v4, v3
	v_mad_u64_u32 v[4:5], s[4:5], s11, v0, v[4:5]
	s_waitcnt lgkmcnt(0)
	s_lshl_b32 s17, s17, 10
	s_lshl_b64 s[4:5], s[8:9], 1
	v_mov_b32_e32 v3, v4
	s_add_u32 s4, s24, s4
	v_lshlrev_b64 v[2:3], 1, v[2:3]
	s_addc_u32 s5, s25, s5
	s_ashr_i32 s20, s17, 31
	v_mov_b32_e32 v4, s5
	v_add_co_u32_e32 v2, vcc, s4, v2
	s_mul_i32 s4, s10, s20
	s_mul_hi_u32 s5, s10, s17
	v_addc_co_u32_e32 v3, vcc, v4, v3, vcc
	s_add_i32 s4, s5, s4
	s_mul_i32 s5, s11, s17
	v_mad_u64_u32 v[4:5], s[8:9], s2, v0, 0
	s_add_i32 s5, s4, s5
	s_mul_i32 s4, s10, s17
	v_mov_b32_e32 v6, v5
	s_lshl_b64 s[4:5], s[4:5], 1
	v_mad_u64_u32 v[6:7], s[8:9], s3, v0, v[6:7]
	s_lshl_b64 s[0:1], s[0:1], 1
	v_mov_b32_e32 v5, v6
	s_add_u32 s0, s18, s0
	v_lshlrev_b64 v[4:5], 1, v[4:5]
	s_addc_u32 s1, s19, s1
	v_mov_b32_e32 v6, s1
	v_add_co_u32_e32 v4, vcc, s0, v4
	s_mul_i32 s0, s2, s20
	s_mul_hi_u32 s1, s2, s17
	s_add_i32 s0, s1, s0
	s_mul_i32 s1, s3, s17
	s_add_i32 s1, s0, s1
	s_mul_i32 s0, s2, s17
	s_lshl_b64 s[8:9], s[0:1], 1
	v_or_b32_e32 v1, s17, v0
	v_addc_co_u32_e32 v5, vcc, v6, v5, vcc
	s_mov_b64 s[2:3], 0
	v_mov_b32_e32 v6, 0
	v_mov_b32_e32 v7, s5
	;; [unrolled: 1-line block ×3, first 2 shown]
	s_mov_b32 s5, s7
.LBB283_2:                              ; =>This Inner Loop Header: Depth=1
	global_load_ushort v9, v[4:5], off
	global_load_ushort v10, v[2:3], off
	v_add_co_u32_e64 v2, s[0:1], s4, v2
	v_addc_co_u32_e64 v3, s[0:1], v3, v7, s[0:1]
	s_add_i32 s9, s5, 1
	v_add_co_u32_e64 v4, s[0:1], s8, v4
	v_addc_co_u32_e64 v5, s[0:1], v5, v8, s[0:1]
	s_cmp_gt_u32 s5, 30
	v_cmp_le_i32_e32 vcc, s16, v1
	s_cselect_b64 s[0:1], -1, 0
	s_or_b64 s[0:1], s[0:1], vcc
	s_and_b64 s[0:1], exec, s[0:1]
	v_add_u32_e32 v1, s17, v1
	s_mov_b32 s5, s9
	s_or_b64 s[2:3], s[0:1], s[2:3]
	s_waitcnt vmcnt(0)
	v_fma_mix_f32 v6, v9, v10, v6 op_sel_hi:[1,1,0]
	s_andn2_b64 exec, exec, s[2:3]
	s_cbranch_execnz .LBB283_2
; %bb.3:
	s_or_b64 exec, exec, s[2:3]
.LBB283_4:
	s_or_b64 exec, exec, s[14:15]
	v_and_b32_e32 v2, 63, v0
	v_cmp_gt_u32_e32 vcc, 64, v0
	v_lshlrev_b32_e32 v1, 2, v2
	s_and_saveexec_b64 s[0:1], vcc
	s_cbranch_execz .LBB283_6
; %bb.5:
	v_mov_b32_e32 v3, 0
	ds_write_b32 v1, v3
.LBB283_6:
	s_or_b64 exec, exec, s[0:1]
	v_mbcnt_lo_u32_b32 v3, -1, 0
	v_mbcnt_hi_u32_b32 v7, -1, v3
	v_and_b32_e32 v8, 63, v7
	v_cmp_gt_u32_e64 s[0:1], 32, v8
	v_cndmask_b32_e64 v3, 0, 1, s[0:1]
	v_lshlrev_b32_e32 v3, 5, v3
	v_add_lshl_u32 v3, v3, v7, 2
	ds_bpermute_b32 v3, v3, v6
	v_cmp_gt_u32_e64 s[0:1], 48, v8
	v_cndmask_b32_e64 v4, 0, 1, s[0:1]
	v_lshlrev_b32_e32 v4, 4, v4
	v_add_lshl_u32 v4, v4, v7, 2
	s_waitcnt lgkmcnt(0)
	v_add_f32_e32 v3, v6, v3
	ds_bpermute_b32 v4, v4, v3
	v_cmp_gt_u32_e64 s[0:1], 56, v8
	v_cndmask_b32_e64 v5, 0, 1, s[0:1]
	v_lshlrev_b32_e32 v5, 3, v5
	v_cmp_gt_u32_e64 s[0:1], 60, v8
	s_waitcnt lgkmcnt(0)
	v_add_f32_e32 v4, v3, v4
	v_add_lshl_u32 v3, v5, v7, 2
	ds_bpermute_b32 v5, v3, v4
	v_cndmask_b32_e64 v6, 0, 1, s[0:1]
	v_lshlrev_b32_e32 v6, 2, v6
	v_cmp_gt_u32_e64 s[0:1], 62, v8
	v_cndmask_b32_e64 v9, 0, 1, s[0:1]
	s_waitcnt lgkmcnt(0)
	v_add_f32_e32 v5, v4, v5
	v_add_lshl_u32 v4, v6, v7, 2
	ds_bpermute_b32 v6, v4, v5
	v_lshlrev_b32_e32 v9, 1, v9
	v_cmp_ne_u32_e64 s[0:1], 63, v8
	v_addc_co_u32_e64 v8, s[0:1], 0, v7, s[0:1]
	s_waitcnt lgkmcnt(0)
	v_add_f32_e32 v6, v5, v6
	v_add_lshl_u32 v5, v9, v7, 2
	ds_bpermute_b32 v9, v5, v6
	v_cmp_eq_u32_e64 s[0:1], 0, v2
	s_waitcnt lgkmcnt(0)
	s_barrier
	v_add_f32_e32 v7, v6, v9
	v_lshlrev_b32_e32 v6, 2, v8
	ds_bpermute_b32 v8, v6, v7
	s_and_saveexec_b64 s[2:3], s[0:1]
	s_cbranch_execz .LBB283_8
; %bb.7:
	s_waitcnt lgkmcnt(0)
	v_add_f32_e32 v2, v7, v8
	v_lshrrev_b32_e32 v7, 4, v0
	v_and_b32_e32 v7, 60, v7
	ds_write_b32 v7, v2
.LBB283_8:
	s_or_b64 exec, exec, s[2:3]
	v_cmp_gt_u32_e64 s[0:1], 16, v0
	v_mov_b32_e32 v2, 0
	s_waitcnt lgkmcnt(0)
	s_barrier
	s_and_saveexec_b64 s[2:3], s[0:1]
	s_cbranch_execnz .LBB283_12
; %bb.9:
	s_or_b64 exec, exec, s[2:3]
	s_and_saveexec_b64 s[0:1], vcc
	s_cbranch_execnz .LBB283_13
.LBB283_10:
	s_or_b64 exec, exec, s[0:1]
	v_cmp_eq_u32_e32 vcc, 0, v0
	s_and_saveexec_b64 s[0:1], vcc
	s_cbranch_execnz .LBB283_14
.LBB283_11:
	s_endpgm
.LBB283_12:
	ds_read_b32 v2, v1
	s_or_b64 exec, exec, s[2:3]
	s_and_saveexec_b64 s[0:1], vcc
	s_cbranch_execz .LBB283_10
.LBB283_13:
	s_waitcnt lgkmcnt(0)
	ds_bpermute_b32 v1, v3, v2
	s_waitcnt lgkmcnt(0)
	v_add_f32_e32 v1, v2, v1
	ds_bpermute_b32 v2, v4, v1
	s_waitcnt lgkmcnt(0)
	v_add_f32_e32 v1, v1, v2
	;; [unrolled: 3-line block ×4, first 2 shown]
	s_or_b64 exec, exec, s[0:1]
	v_cmp_eq_u32_e32 vcc, 0, v0
	s_and_saveexec_b64 s[0:1], vcc
	s_cbranch_execz .LBB283_11
.LBB283_14:
	s_lshl_b64 s[0:1], s[6:7], 2
	s_add_u32 s0, s12, s0
	s_addc_u32 s1, s13, s1
	v_mov_b32_e32 v0, 0
	s_waitcnt lgkmcnt(0)
	global_store_dword v0, v2, s[0:1]
	s_endpgm
	.section	.rodata,"a",@progbits
	.p2align	6, 0x0
	.amdhsa_kernel _ZL18rocblas_dot_kernelIlLb1ELi1024ELi32ELb1EfPKPKDF16_fEviT5_lT_lS4_lS5_liPT6_PT4_
		.amdhsa_group_segment_fixed_size 256
		.amdhsa_private_segment_fixed_size 0
		.amdhsa_kernarg_size 352
		.amdhsa_user_sgpr_count 6
		.amdhsa_user_sgpr_private_segment_buffer 1
		.amdhsa_user_sgpr_dispatch_ptr 0
		.amdhsa_user_sgpr_queue_ptr 0
		.amdhsa_user_sgpr_kernarg_segment_ptr 1
		.amdhsa_user_sgpr_dispatch_id 0
		.amdhsa_user_sgpr_flat_scratch_init 0
		.amdhsa_user_sgpr_kernarg_preload_length 0
		.amdhsa_user_sgpr_kernarg_preload_offset 0
		.amdhsa_user_sgpr_private_segment_size 0
		.amdhsa_uses_dynamic_stack 0
		.amdhsa_system_sgpr_private_segment_wavefront_offset 0
		.amdhsa_system_sgpr_workgroup_id_x 1
		.amdhsa_system_sgpr_workgroup_id_y 0
		.amdhsa_system_sgpr_workgroup_id_z 1
		.amdhsa_system_sgpr_workgroup_info 0
		.amdhsa_system_vgpr_workitem_id 0
		.amdhsa_next_free_vgpr 11
		.amdhsa_next_free_sgpr 26
		.amdhsa_accum_offset 12
		.amdhsa_reserve_vcc 1
		.amdhsa_reserve_flat_scratch 0
		.amdhsa_float_round_mode_32 0
		.amdhsa_float_round_mode_16_64 0
		.amdhsa_float_denorm_mode_32 3
		.amdhsa_float_denorm_mode_16_64 3
		.amdhsa_dx10_clamp 1
		.amdhsa_ieee_mode 1
		.amdhsa_fp16_overflow 0
		.amdhsa_tg_split 0
		.amdhsa_exception_fp_ieee_invalid_op 0
		.amdhsa_exception_fp_denorm_src 0
		.amdhsa_exception_fp_ieee_div_zero 0
		.amdhsa_exception_fp_ieee_overflow 0
		.amdhsa_exception_fp_ieee_underflow 0
		.amdhsa_exception_fp_ieee_inexact 0
		.amdhsa_exception_int_div_zero 0
	.end_amdhsa_kernel
	.section	.text._ZL18rocblas_dot_kernelIlLb1ELi1024ELi32ELb1EfPKPKDF16_fEviT5_lT_lS4_lS5_liPT6_PT4_,"axG",@progbits,_ZL18rocblas_dot_kernelIlLb1ELi1024ELi32ELb1EfPKPKDF16_fEviT5_lT_lS4_lS5_liPT6_PT4_,comdat
.Lfunc_end283:
	.size	_ZL18rocblas_dot_kernelIlLb1ELi1024ELi32ELb1EfPKPKDF16_fEviT5_lT_lS4_lS5_liPT6_PT4_, .Lfunc_end283-_ZL18rocblas_dot_kernelIlLb1ELi1024ELi32ELb1EfPKPKDF16_fEviT5_lT_lS4_lS5_liPT6_PT4_
                                        ; -- End function
	.section	.AMDGPU.csdata,"",@progbits
; Kernel info:
; codeLenInByte = 988
; NumSgprs: 30
; NumVgprs: 11
; NumAgprs: 0
; TotalNumVgprs: 11
; ScratchSize: 0
; MemoryBound: 0
; FloatMode: 240
; IeeeMode: 1
; LDSByteSize: 256 bytes/workgroup (compile time only)
; SGPRBlocks: 3
; VGPRBlocks: 1
; NumSGPRsForWavesPerEU: 30
; NumVGPRsForWavesPerEU: 11
; AccumOffset: 12
; Occupancy: 8
; WaveLimiterHint : 0
; COMPUTE_PGM_RSRC2:SCRATCH_EN: 0
; COMPUTE_PGM_RSRC2:USER_SGPR: 6
; COMPUTE_PGM_RSRC2:TRAP_HANDLER: 0
; COMPUTE_PGM_RSRC2:TGID_X_EN: 1
; COMPUTE_PGM_RSRC2:TGID_Y_EN: 0
; COMPUTE_PGM_RSRC2:TGID_Z_EN: 1
; COMPUTE_PGM_RSRC2:TIDIG_COMP_CNT: 0
; COMPUTE_PGM_RSRC3_GFX90A:ACCUM_OFFSET: 2
; COMPUTE_PGM_RSRC3_GFX90A:TG_SPLIT: 0
	.section	.text._ZL24rocblas_dot_kernel_magsqIlLb1ELi1024ELi32ELb1EfPKPKDF16_fEviT5_lT_liPT6_PT4_,"axG",@progbits,_ZL24rocblas_dot_kernel_magsqIlLb1ELi1024ELi32ELb1EfPKPKDF16_fEviT5_lT_liPT6_PT4_,comdat
	.globl	_ZL24rocblas_dot_kernel_magsqIlLb1ELi1024ELi32ELb1EfPKPKDF16_fEviT5_lT_liPT6_PT4_ ; -- Begin function _ZL24rocblas_dot_kernel_magsqIlLb1ELi1024ELi32ELb1EfPKPKDF16_fEviT5_lT_liPT6_PT4_
	.p2align	8
	.type	_ZL24rocblas_dot_kernel_magsqIlLb1ELi1024ELi32ELb1EfPKPKDF16_fEviT5_lT_liPT6_PT4_,@function
_ZL24rocblas_dot_kernel_magsqIlLb1ELi1024ELi32ELb1EfPKPKDF16_fEviT5_lT_liPT6_PT4_: ; @_ZL24rocblas_dot_kernel_magsqIlLb1ELi1024ELi32ELb1EfPKPKDF16_fEviT5_lT_liPT6_PT4_
; %bb.0:
	s_mov_b32 s2, s7
	s_load_dword s12, s[4:5], 0x0
	s_load_dwordx2 s[6:7], s[4:5], 0x38
	s_mov_b32 s3, 0
	v_mov_b32_e32 v1, 0
	s_waitcnt lgkmcnt(0)
	v_cmp_gt_i32_e32 vcc, s12, v0
	s_and_saveexec_b64 s[8:9], vcc
	s_cbranch_execz .LBB284_4
; %bb.1:
	s_load_dwordx2 s[0:1], s[4:5], 0x8
	s_load_dword s10, s[4:5], 0x40
	s_load_dwordx4 s[16:19], s[4:5], 0x10
	s_lshl_b64 s[4:5], s[2:3], 3
	s_waitcnt lgkmcnt(0)
	s_add_u32 s0, s0, s4
	s_addc_u32 s1, s1, s5
	s_load_dwordx2 s[0:1], s[0:1], 0x0
	v_mad_u64_u32 v[2:3], s[4:5], s18, v0, 0
	v_mov_b32_e32 v6, v3
	v_mad_u64_u32 v[6:7], s[4:5], s19, v0, v[6:7]
	s_lshl_b32 s13, s10, 10
	v_mov_b32_e32 v3, v6
	s_lshl_b64 s[4:5], s[16:17], 1
	v_lshlrev_b64 v[2:3], 1, v[2:3]
	s_waitcnt lgkmcnt(0)
	s_add_u32 s0, s0, s4
	s_addc_u32 s1, s1, s5
	v_add_co_u32_e32 v2, vcc, s0, v2
	s_ashr_i32 s0, s13, 31
	v_mov_b32_e32 v1, s1
	s_mul_i32 s0, s18, s0
	s_mul_hi_u32 s1, s18, s13
	s_add_i32 s0, s1, s0
	s_mul_i32 s1, s19, s13
	s_add_i32 s1, s0, s1
	s_mul_i32 s0, s18, s13
	s_lshl_b64 s[10:11], s[0:1], 1
	v_or_b32_e32 v4, s13, v0
	v_addc_co_u32_e32 v3, vcc, v1, v3, vcc
	s_mov_b64 s[4:5], 0
	v_mov_b32_e32 v1, 0
	v_mov_b32_e32 v5, s11
	s_mov_b32 s11, s3
.LBB284_2:                              ; =>This Inner Loop Header: Depth=1
	global_load_ushort v6, v[2:3], off
	s_add_i32 s14, s11, 1
	v_add_co_u32_e64 v2, s[0:1], s10, v2
	v_addc_co_u32_e64 v3, s[0:1], v3, v5, s[0:1]
	s_cmp_gt_u32 s11, 30
	v_cmp_le_i32_e32 vcc, s12, v4
	s_cselect_b64 s[0:1], -1, 0
	s_or_b64 s[0:1], s[0:1], vcc
	s_and_b64 s[0:1], exec, s[0:1]
	v_add_u32_e32 v4, s13, v4
	s_mov_b32 s11, s14
	s_or_b64 s[4:5], s[0:1], s[4:5]
	s_waitcnt vmcnt(0)
	v_fma_mix_f32 v1, v6, v6, v1 op_sel_hi:[1,1,0]
	s_andn2_b64 exec, exec, s[4:5]
	s_cbranch_execnz .LBB284_2
; %bb.3:
	s_or_b64 exec, exec, s[4:5]
.LBB284_4:
	s_or_b64 exec, exec, s[8:9]
	v_and_b32_e32 v3, 63, v0
	v_cmp_gt_u32_e32 vcc, 64, v0
	v_lshlrev_b32_e32 v2, 2, v3
	s_and_saveexec_b64 s[0:1], vcc
	s_cbranch_execz .LBB284_6
; %bb.5:
	v_mov_b32_e32 v4, 0
	ds_write_b32 v2, v4
.LBB284_6:
	s_or_b64 exec, exec, s[0:1]
	v_mbcnt_lo_u32_b32 v4, -1, 0
	v_mbcnt_hi_u32_b32 v6, -1, v4
	v_and_b32_e32 v7, 63, v6
	v_cmp_gt_u32_e64 s[0:1], 32, v7
	v_cndmask_b32_e64 v4, 0, 1, s[0:1]
	v_lshlrev_b32_e32 v4, 5, v4
	v_add_lshl_u32 v4, v4, v6, 2
	ds_bpermute_b32 v4, v4, v1
	v_cmp_gt_u32_e64 s[0:1], 48, v7
	v_cndmask_b32_e64 v5, 0, 1, s[0:1]
	v_lshlrev_b32_e32 v5, 4, v5
	v_cmp_gt_u32_e64 s[0:1], 56, v7
	s_waitcnt lgkmcnt(0)
	v_add_f32_e32 v1, v1, v4
	v_add_lshl_u32 v4, v5, v6, 2
	ds_bpermute_b32 v4, v4, v1
	v_cndmask_b32_e64 v5, 0, 1, s[0:1]
	v_lshlrev_b32_e32 v5, 3, v5
	v_cmp_gt_u32_e64 s[0:1], 60, v7
	v_cndmask_b32_e64 v8, 0, 1, s[0:1]
	s_waitcnt lgkmcnt(0)
	v_add_f32_e32 v4, v1, v4
	v_add_lshl_u32 v1, v5, v6, 2
	ds_bpermute_b32 v5, v1, v4
	v_lshlrev_b32_e32 v8, 2, v8
	v_cmp_gt_u32_e64 s[0:1], 62, v7
	v_cndmask_b32_e64 v9, 0, 1, s[0:1]
	v_lshlrev_b32_e32 v9, 1, v9
	s_waitcnt lgkmcnt(0)
	v_add_f32_e32 v5, v4, v5
	v_add_lshl_u32 v4, v8, v6, 2
	ds_bpermute_b32 v8, v4, v5
	v_cmp_ne_u32_e64 s[0:1], 63, v7
	s_waitcnt lgkmcnt(0)
	s_barrier
	v_add_f32_e32 v8, v5, v8
	v_add_lshl_u32 v5, v9, v6, 2
	ds_bpermute_b32 v9, v5, v8
	v_addc_co_u32_e64 v6, s[0:1], 0, v6, s[0:1]
	v_lshlrev_b32_e32 v6, 2, v6
	v_cmp_eq_u32_e64 s[0:1], 0, v3
	s_waitcnt lgkmcnt(0)
	v_add_f32_e32 v7, v8, v9
	ds_bpermute_b32 v8, v6, v7
	s_and_saveexec_b64 s[4:5], s[0:1]
	s_cbranch_execz .LBB284_8
; %bb.7:
	s_waitcnt lgkmcnt(0)
	v_add_f32_e32 v3, v7, v8
	v_lshrrev_b32_e32 v7, 4, v0
	v_and_b32_e32 v7, 60, v7
	ds_write_b32 v7, v3
.LBB284_8:
	s_or_b64 exec, exec, s[4:5]
	v_cmp_gt_u32_e64 s[0:1], 16, v0
	v_mov_b32_e32 v3, 0
	s_waitcnt lgkmcnt(0)
	s_barrier
	s_and_saveexec_b64 s[4:5], s[0:1]
	s_cbranch_execnz .LBB284_12
; %bb.9:
	s_or_b64 exec, exec, s[4:5]
	s_and_saveexec_b64 s[0:1], vcc
	s_cbranch_execnz .LBB284_13
.LBB284_10:
	s_or_b64 exec, exec, s[0:1]
	v_cmp_eq_u32_e32 vcc, 0, v0
	s_and_saveexec_b64 s[0:1], vcc
	s_cbranch_execnz .LBB284_14
.LBB284_11:
	s_endpgm
.LBB284_12:
	ds_read_b32 v3, v2
	s_or_b64 exec, exec, s[4:5]
	s_and_saveexec_b64 s[0:1], vcc
	s_cbranch_execz .LBB284_10
.LBB284_13:
	s_waitcnt lgkmcnt(0)
	ds_bpermute_b32 v1, v1, v3
	s_waitcnt lgkmcnt(0)
	v_add_f32_e32 v1, v3, v1
	ds_bpermute_b32 v2, v4, v1
	s_waitcnt lgkmcnt(0)
	v_add_f32_e32 v1, v1, v2
	;; [unrolled: 3-line block ×4, first 2 shown]
	s_or_b64 exec, exec, s[0:1]
	v_cmp_eq_u32_e32 vcc, 0, v0
	s_and_saveexec_b64 s[0:1], vcc
	s_cbranch_execz .LBB284_11
.LBB284_14:
	s_lshl_b64 s[0:1], s[2:3], 2
	s_add_u32 s0, s6, s0
	s_addc_u32 s1, s7, s1
	v_mov_b32_e32 v0, 0
	s_waitcnt lgkmcnt(0)
	global_store_dword v0, v3, s[0:1]
	s_endpgm
	.section	.rodata,"a",@progbits
	.p2align	6, 0x0
	.amdhsa_kernel _ZL24rocblas_dot_kernel_magsqIlLb1ELi1024ELi32ELb1EfPKPKDF16_fEviT5_lT_liPT6_PT4_
		.amdhsa_group_segment_fixed_size 256
		.amdhsa_private_segment_fixed_size 0
		.amdhsa_kernarg_size 320
		.amdhsa_user_sgpr_count 6
		.amdhsa_user_sgpr_private_segment_buffer 1
		.amdhsa_user_sgpr_dispatch_ptr 0
		.amdhsa_user_sgpr_queue_ptr 0
		.amdhsa_user_sgpr_kernarg_segment_ptr 1
		.amdhsa_user_sgpr_dispatch_id 0
		.amdhsa_user_sgpr_flat_scratch_init 0
		.amdhsa_user_sgpr_kernarg_preload_length 0
		.amdhsa_user_sgpr_kernarg_preload_offset 0
		.amdhsa_user_sgpr_private_segment_size 0
		.amdhsa_uses_dynamic_stack 0
		.amdhsa_system_sgpr_private_segment_wavefront_offset 0
		.amdhsa_system_sgpr_workgroup_id_x 1
		.amdhsa_system_sgpr_workgroup_id_y 0
		.amdhsa_system_sgpr_workgroup_id_z 1
		.amdhsa_system_sgpr_workgroup_info 0
		.amdhsa_system_vgpr_workitem_id 0
		.amdhsa_next_free_vgpr 10
		.amdhsa_next_free_sgpr 20
		.amdhsa_accum_offset 12
		.amdhsa_reserve_vcc 1
		.amdhsa_reserve_flat_scratch 0
		.amdhsa_float_round_mode_32 0
		.amdhsa_float_round_mode_16_64 0
		.amdhsa_float_denorm_mode_32 3
		.amdhsa_float_denorm_mode_16_64 3
		.amdhsa_dx10_clamp 1
		.amdhsa_ieee_mode 1
		.amdhsa_fp16_overflow 0
		.amdhsa_tg_split 0
		.amdhsa_exception_fp_ieee_invalid_op 0
		.amdhsa_exception_fp_denorm_src 0
		.amdhsa_exception_fp_ieee_div_zero 0
		.amdhsa_exception_fp_ieee_overflow 0
		.amdhsa_exception_fp_ieee_underflow 0
		.amdhsa_exception_fp_ieee_inexact 0
		.amdhsa_exception_int_div_zero 0
	.end_amdhsa_kernel
	.section	.text._ZL24rocblas_dot_kernel_magsqIlLb1ELi1024ELi32ELb1EfPKPKDF16_fEviT5_lT_liPT6_PT4_,"axG",@progbits,_ZL24rocblas_dot_kernel_magsqIlLb1ELi1024ELi32ELb1EfPKPKDF16_fEviT5_lT_liPT6_PT4_,comdat
.Lfunc_end284:
	.size	_ZL24rocblas_dot_kernel_magsqIlLb1ELi1024ELi32ELb1EfPKPKDF16_fEviT5_lT_liPT6_PT4_, .Lfunc_end284-_ZL24rocblas_dot_kernel_magsqIlLb1ELi1024ELi32ELb1EfPKPKDF16_fEviT5_lT_liPT6_PT4_
                                        ; -- End function
	.section	.AMDGPU.csdata,"",@progbits
; Kernel info:
; codeLenInByte = 844
; NumSgprs: 24
; NumVgprs: 10
; NumAgprs: 0
; TotalNumVgprs: 10
; ScratchSize: 0
; MemoryBound: 0
; FloatMode: 240
; IeeeMode: 1
; LDSByteSize: 256 bytes/workgroup (compile time only)
; SGPRBlocks: 2
; VGPRBlocks: 1
; NumSGPRsForWavesPerEU: 24
; NumVGPRsForWavesPerEU: 10
; AccumOffset: 12
; Occupancy: 8
; WaveLimiterHint : 0
; COMPUTE_PGM_RSRC2:SCRATCH_EN: 0
; COMPUTE_PGM_RSRC2:USER_SGPR: 6
; COMPUTE_PGM_RSRC2:TRAP_HANDLER: 0
; COMPUTE_PGM_RSRC2:TGID_X_EN: 1
; COMPUTE_PGM_RSRC2:TGID_Y_EN: 0
; COMPUTE_PGM_RSRC2:TGID_Z_EN: 1
; COMPUTE_PGM_RSRC2:TIDIG_COMP_CNT: 0
; COMPUTE_PGM_RSRC3_GFX90A:ACCUM_OFFSET: 2
; COMPUTE_PGM_RSRC3_GFX90A:TG_SPLIT: 0
	.section	.text._ZL38rocblas_dot_kernel_gfx942_float_doubleIlLi1024EfPKPKDF16_fEviT2_lT_lS4_lS5_lPT3_PT1_,"axG",@progbits,_ZL38rocblas_dot_kernel_gfx942_float_doubleIlLi1024EfPKPKDF16_fEviT2_lT_lS4_lS5_lPT3_PT1_,comdat
	.globl	_ZL38rocblas_dot_kernel_gfx942_float_doubleIlLi1024EfPKPKDF16_fEviT2_lT_lS4_lS5_lPT3_PT1_ ; -- Begin function _ZL38rocblas_dot_kernel_gfx942_float_doubleIlLi1024EfPKPKDF16_fEviT2_lT_lS4_lS5_lPT3_PT1_
	.p2align	8
	.type	_ZL38rocblas_dot_kernel_gfx942_float_doubleIlLi1024EfPKPKDF16_fEviT2_lT_lS4_lS5_lPT3_PT1_,@function
_ZL38rocblas_dot_kernel_gfx942_float_doubleIlLi1024EfPKPKDF16_fEviT2_lT_lS4_lS5_lPT3_PT1_: ; @_ZL38rocblas_dot_kernel_gfx942_float_doubleIlLi1024EfPKPKDF16_fEviT2_lT_lS4_lS5_lPT3_PT1_
; %bb.0:
	s_endpgm
	.section	.rodata,"a",@progbits
	.p2align	6, 0x0
	.amdhsa_kernel _ZL38rocblas_dot_kernel_gfx942_float_doubleIlLi1024EfPKPKDF16_fEviT2_lT_lS4_lS5_lPT3_PT1_
		.amdhsa_group_segment_fixed_size 0
		.amdhsa_private_segment_fixed_size 0
		.amdhsa_kernarg_size 88
		.amdhsa_user_sgpr_count 6
		.amdhsa_user_sgpr_private_segment_buffer 1
		.amdhsa_user_sgpr_dispatch_ptr 0
		.amdhsa_user_sgpr_queue_ptr 0
		.amdhsa_user_sgpr_kernarg_segment_ptr 1
		.amdhsa_user_sgpr_dispatch_id 0
		.amdhsa_user_sgpr_flat_scratch_init 0
		.amdhsa_user_sgpr_kernarg_preload_length 0
		.amdhsa_user_sgpr_kernarg_preload_offset 0
		.amdhsa_user_sgpr_private_segment_size 0
		.amdhsa_uses_dynamic_stack 0
		.amdhsa_system_sgpr_private_segment_wavefront_offset 0
		.amdhsa_system_sgpr_workgroup_id_x 1
		.amdhsa_system_sgpr_workgroup_id_y 0
		.amdhsa_system_sgpr_workgroup_id_z 0
		.amdhsa_system_sgpr_workgroup_info 0
		.amdhsa_system_vgpr_workitem_id 0
		.amdhsa_next_free_vgpr 1
		.amdhsa_next_free_sgpr 0
		.amdhsa_accum_offset 4
		.amdhsa_reserve_vcc 0
		.amdhsa_reserve_flat_scratch 0
		.amdhsa_float_round_mode_32 0
		.amdhsa_float_round_mode_16_64 0
		.amdhsa_float_denorm_mode_32 3
		.amdhsa_float_denorm_mode_16_64 3
		.amdhsa_dx10_clamp 1
		.amdhsa_ieee_mode 1
		.amdhsa_fp16_overflow 0
		.amdhsa_tg_split 0
		.amdhsa_exception_fp_ieee_invalid_op 0
		.amdhsa_exception_fp_denorm_src 0
		.amdhsa_exception_fp_ieee_div_zero 0
		.amdhsa_exception_fp_ieee_overflow 0
		.amdhsa_exception_fp_ieee_underflow 0
		.amdhsa_exception_fp_ieee_inexact 0
		.amdhsa_exception_int_div_zero 0
	.end_amdhsa_kernel
	.section	.text._ZL38rocblas_dot_kernel_gfx942_float_doubleIlLi1024EfPKPKDF16_fEviT2_lT_lS4_lS5_lPT3_PT1_,"axG",@progbits,_ZL38rocblas_dot_kernel_gfx942_float_doubleIlLi1024EfPKPKDF16_fEviT2_lT_lS4_lS5_lPT3_PT1_,comdat
.Lfunc_end285:
	.size	_ZL38rocblas_dot_kernel_gfx942_float_doubleIlLi1024EfPKPKDF16_fEviT2_lT_lS4_lS5_lPT3_PT1_, .Lfunc_end285-_ZL38rocblas_dot_kernel_gfx942_float_doubleIlLi1024EfPKPKDF16_fEviT2_lT_lS4_lS5_lPT3_PT1_
                                        ; -- End function
	.section	.AMDGPU.csdata,"",@progbits
; Kernel info:
; codeLenInByte = 4
; NumSgprs: 4
; NumVgprs: 0
; NumAgprs: 0
; TotalNumVgprs: 0
; ScratchSize: 0
; MemoryBound: 0
; FloatMode: 240
; IeeeMode: 1
; LDSByteSize: 0 bytes/workgroup (compile time only)
; SGPRBlocks: 0
; VGPRBlocks: 0
; NumSGPRsForWavesPerEU: 4
; NumVGPRsForWavesPerEU: 1
; AccumOffset: 4
; Occupancy: 8
; WaveLimiterHint : 0
; COMPUTE_PGM_RSRC2:SCRATCH_EN: 0
; COMPUTE_PGM_RSRC2:USER_SGPR: 6
; COMPUTE_PGM_RSRC2:TRAP_HANDLER: 0
; COMPUTE_PGM_RSRC2:TGID_X_EN: 1
; COMPUTE_PGM_RSRC2:TGID_Y_EN: 0
; COMPUTE_PGM_RSRC2:TGID_Z_EN: 0
; COMPUTE_PGM_RSRC2:TIDIG_COMP_CNT: 0
; COMPUTE_PGM_RSRC3_GFX90A:ACCUM_OFFSET: 0
; COMPUTE_PGM_RSRC3_GFX90A:TG_SPLIT: 0
	.section	.text._ZL23rocblas_dot_kernel_inc1ILb0ELi512ELi4ELb1EfPKPKDF16_fEviT4_llS4_lliPT5_PT3_,"axG",@progbits,_ZL23rocblas_dot_kernel_inc1ILb0ELi512ELi4ELb1EfPKPKDF16_fEviT4_llS4_lliPT5_PT3_,comdat
	.globl	_ZL23rocblas_dot_kernel_inc1ILb0ELi512ELi4ELb1EfPKPKDF16_fEviT4_llS4_lliPT5_PT3_ ; -- Begin function _ZL23rocblas_dot_kernel_inc1ILb0ELi512ELi4ELb1EfPKPKDF16_fEviT4_llS4_lliPT5_PT3_
	.p2align	8
	.type	_ZL23rocblas_dot_kernel_inc1ILb0ELi512ELi4ELb1EfPKPKDF16_fEviT4_llS4_lliPT5_PT3_,@function
_ZL23rocblas_dot_kernel_inc1ILb0ELi512ELi4ELb1EfPKPKDF16_fEviT4_llS4_lliPT5_PT3_: ; @_ZL23rocblas_dot_kernel_inc1ILb0ELi512ELi4ELb1EfPKPKDF16_fEviT4_llS4_lliPT5_PT3_
; %bb.0:
	s_mov_b32 s2, s7
	s_load_dword s18, s[4:5], 0x50
	s_load_dword s7, s[4:5], 0x0
	s_load_dwordx4 s[8:11], s[4:5], 0x40
	v_lshl_or_b32 v4, s6, 9, v0
	s_mov_b32 s3, 0
	v_mov_b32_e32 v1, 0
	s_waitcnt lgkmcnt(0)
	v_cmp_gt_i32_e32 vcc, s7, v4
	s_and_saveexec_b64 s[12:13], vcc
	s_cbranch_execz .LBB286_4
; %bb.1:
	s_load_dwordx4 s[20:23], s[4:5], 0x8
	s_load_dwordx4 s[24:27], s[4:5], 0x20
	s_lshl_b64 s[0:1], s[2:3], 3
	v_ashrrev_i32_e32 v5, 31, v4
	v_lshlrev_b64 v[2:3], 1, v[4:5]
	s_waitcnt lgkmcnt(0)
	s_add_u32 s4, s20, s0
	s_addc_u32 s5, s21, s1
	s_load_dwordx2 s[14:15], s[4:5], 0x0
	s_lshl_b64 s[16:17], s[22:23], 1
	s_mov_b64 s[4:5], 0
	v_mov_b32_e32 v1, 0
	s_waitcnt lgkmcnt(0)
	s_add_u32 s19, s14, s16
	s_addc_u32 s14, s15, s17
	s_add_u32 s0, s24, s0
	s_addc_u32 s1, s25, s1
	s_load_dwordx2 s[0:1], s[0:1], 0x0
	v_mov_b32_e32 v5, s14
	s_lshl_b64 s[14:15], s[26:27], 1
	s_waitcnt lgkmcnt(0)
	s_add_u32 s20, s0, s14
	s_addc_u32 s0, s1, s15
	s_lshl_b32 s14, s18, 9
	s_ashr_i32 s15, s14, 31
	s_lshl_b64 s[16:17], s[14:15], 1
	v_add_u32_e32 v4, s14, v4
	v_mov_b32_e32 v6, s0
	v_mov_b32_e32 v7, s17
	s_mov_b32 s15, s3
.LBB286_2:                              ; =>This Inner Loop Header: Depth=1
	v_add_co_u32_e32 v8, vcc, s20, v2
	v_addc_co_u32_e32 v9, vcc, v6, v3, vcc
	v_add_co_u32_e32 v10, vcc, s19, v2
	v_addc_co_u32_e32 v11, vcc, v5, v3, vcc
	global_load_ushort v12, v[8:9], off
	global_load_ushort v13, v[10:11], off
	s_add_i32 s17, s15, 1
	v_add_co_u32_e64 v2, s[0:1], s16, v2
	v_addc_co_u32_e64 v3, s[0:1], v3, v7, s[0:1]
	s_cmp_gt_u32 s15, 2
	v_cmp_le_i32_e32 vcc, s7, v4
	s_cselect_b64 s[0:1], -1, 0
	s_or_b64 s[0:1], s[0:1], vcc
	s_and_b64 s[0:1], exec, s[0:1]
	v_add_u32_e32 v4, s14, v4
	s_mov_b32 s15, s17
	s_or_b64 s[4:5], s[0:1], s[4:5]
	s_waitcnt vmcnt(0)
	v_fma_mix_f32 v1, v12, v13, v1 op_sel_hi:[1,1,0]
	s_andn2_b64 exec, exec, s[4:5]
	s_cbranch_execnz .LBB286_2
; %bb.3:
	s_or_b64 exec, exec, s[4:5]
.LBB286_4:
	s_or_b64 exec, exec, s[12:13]
	v_and_b32_e32 v3, 63, v0
	v_cmp_gt_u32_e32 vcc, 64, v0
	v_lshlrev_b32_e32 v2, 2, v3
	s_and_saveexec_b64 s[0:1], vcc
	s_cbranch_execz .LBB286_6
; %bb.5:
	v_mov_b32_e32 v4, 0
	ds_write_b32 v2, v4
.LBB286_6:
	s_or_b64 exec, exec, s[0:1]
	v_mbcnt_lo_u32_b32 v4, -1, 0
	v_mbcnt_hi_u32_b32 v6, -1, v4
	v_and_b32_e32 v7, 63, v6
	v_cmp_gt_u32_e64 s[0:1], 32, v7
	v_cndmask_b32_e64 v4, 0, 1, s[0:1]
	v_lshlrev_b32_e32 v4, 5, v4
	v_add_lshl_u32 v4, v4, v6, 2
	ds_bpermute_b32 v4, v4, v1
	v_cmp_gt_u32_e64 s[0:1], 48, v7
	v_cndmask_b32_e64 v5, 0, 1, s[0:1]
	v_lshlrev_b32_e32 v5, 4, v5
	v_cmp_gt_u32_e64 s[0:1], 56, v7
	s_waitcnt lgkmcnt(0)
	v_add_f32_e32 v1, v1, v4
	v_add_lshl_u32 v4, v5, v6, 2
	ds_bpermute_b32 v4, v4, v1
	v_cndmask_b32_e64 v5, 0, 1, s[0:1]
	v_lshlrev_b32_e32 v5, 3, v5
	v_cmp_gt_u32_e64 s[0:1], 60, v7
	s_waitcnt lgkmcnt(0)
	v_add_f32_e32 v1, v1, v4
	v_add_lshl_u32 v4, v5, v6, 2
	ds_bpermute_b32 v4, v4, v1
	v_cndmask_b32_e64 v5, 0, 1, s[0:1]
	v_lshlrev_b32_e32 v5, 2, v5
	v_cmp_gt_u32_e64 s[0:1], 62, v7
	v_cndmask_b32_e64 v8, 0, 1, s[0:1]
	s_waitcnt lgkmcnt(0)
	v_add_f32_e32 v1, v1, v4
	v_add_lshl_u32 v4, v5, v6, 2
	ds_bpermute_b32 v5, v4, v1
	v_lshlrev_b32_e32 v8, 1, v8
	v_cmp_ne_u32_e64 s[0:1], 63, v7
	s_barrier
	s_waitcnt lgkmcnt(0)
	v_add_f32_e32 v1, v1, v5
	v_add_lshl_u32 v5, v8, v6, 2
	ds_bpermute_b32 v8, v5, v1
	v_addc_co_u32_e64 v6, s[0:1], 0, v6, s[0:1]
	v_lshlrev_b32_e32 v6, 2, v6
	v_cmp_eq_u32_e64 s[0:1], 0, v3
	s_waitcnt lgkmcnt(0)
	v_add_f32_e32 v1, v1, v8
	ds_bpermute_b32 v7, v6, v1
	s_and_saveexec_b64 s[4:5], s[0:1]
	s_cbranch_execz .LBB286_8
; %bb.7:
	v_lshrrev_b32_e32 v3, 4, v0
	s_waitcnt lgkmcnt(0)
	v_add_f32_e32 v1, v1, v7
	v_and_b32_e32 v3, 28, v3
	ds_write_b32 v3, v1
.LBB286_8:
	s_or_b64 exec, exec, s[4:5]
	v_cmp_gt_u32_e64 s[0:1], 8, v0
	v_mov_b32_e32 v1, 0
	s_waitcnt lgkmcnt(0)
	s_barrier
	s_and_saveexec_b64 s[4:5], s[0:1]
	s_cbranch_execnz .LBB286_12
; %bb.9:
	s_or_b64 exec, exec, s[4:5]
	s_and_saveexec_b64 s[0:1], vcc
	s_cbranch_execnz .LBB286_13
.LBB286_10:
	s_or_b64 exec, exec, s[0:1]
	v_cmp_eq_u32_e32 vcc, 0, v0
	s_and_saveexec_b64 s[0:1], vcc
	s_cbranch_execnz .LBB286_14
.LBB286_11:
	s_endpgm
.LBB286_12:
	ds_read_b32 v1, v2
	s_or_b64 exec, exec, s[4:5]
	s_and_saveexec_b64 s[0:1], vcc
	s_cbranch_execz .LBB286_10
.LBB286_13:
	s_waitcnt lgkmcnt(0)
	ds_bpermute_b32 v2, v4, v1
	s_waitcnt lgkmcnt(0)
	v_add_f32_e32 v1, v1, v2
	ds_bpermute_b32 v2, v5, v1
	s_waitcnt lgkmcnt(0)
	v_add_f32_e32 v1, v1, v2
	;; [unrolled: 3-line block ×3, first 2 shown]
	s_or_b64 exec, exec, s[0:1]
	v_cmp_eq_u32_e32 vcc, 0, v0
	s_and_saveexec_b64 s[0:1], vcc
	s_cbranch_execz .LBB286_11
.LBB286_14:
	s_cmp_lg_u32 s18, 1
	s_cbranch_scc0 .LBB286_16
; %bb.15:
	s_mul_hi_u32 s1, s18, s2
	s_mul_i32 s0, s18, s2
	s_lshl_b64 s[0:1], s[0:1], 2
	s_mov_b32 s7, 0
	s_add_u32 s4, s8, s0
	s_addc_u32 s5, s9, s1
	s_lshl_b64 s[0:1], s[6:7], 2
	s_add_u32 s0, s4, s0
	s_addc_u32 s1, s5, s1
	s_cbranch_execz .LBB286_17
	s_branch .LBB286_18
.LBB286_16:
                                        ; implicit-def: $sgpr0_sgpr1
.LBB286_17:
	s_lshl_b64 s[0:1], s[2:3], 2
	s_add_u32 s0, s10, s0
	s_addc_u32 s1, s11, s1
.LBB286_18:
	v_mov_b32_e32 v0, 0
	s_waitcnt lgkmcnt(0)
	global_store_dword v0, v1, s[0:1]
	s_endpgm
	.section	.rodata,"a",@progbits
	.p2align	6, 0x0
	.amdhsa_kernel _ZL23rocblas_dot_kernel_inc1ILb0ELi512ELi4ELb1EfPKPKDF16_fEviT4_llS4_lliPT5_PT3_
		.amdhsa_group_segment_fixed_size 256
		.amdhsa_private_segment_fixed_size 0
		.amdhsa_kernarg_size 336
		.amdhsa_user_sgpr_count 6
		.amdhsa_user_sgpr_private_segment_buffer 1
		.amdhsa_user_sgpr_dispatch_ptr 0
		.amdhsa_user_sgpr_queue_ptr 0
		.amdhsa_user_sgpr_kernarg_segment_ptr 1
		.amdhsa_user_sgpr_dispatch_id 0
		.amdhsa_user_sgpr_flat_scratch_init 0
		.amdhsa_user_sgpr_kernarg_preload_length 0
		.amdhsa_user_sgpr_kernarg_preload_offset 0
		.amdhsa_user_sgpr_private_segment_size 0
		.amdhsa_uses_dynamic_stack 0
		.amdhsa_system_sgpr_private_segment_wavefront_offset 0
		.amdhsa_system_sgpr_workgroup_id_x 1
		.amdhsa_system_sgpr_workgroup_id_y 0
		.amdhsa_system_sgpr_workgroup_id_z 1
		.amdhsa_system_sgpr_workgroup_info 0
		.amdhsa_system_vgpr_workitem_id 0
		.amdhsa_next_free_vgpr 14
		.amdhsa_next_free_sgpr 28
		.amdhsa_accum_offset 16
		.amdhsa_reserve_vcc 1
		.amdhsa_reserve_flat_scratch 0
		.amdhsa_float_round_mode_32 0
		.amdhsa_float_round_mode_16_64 0
		.amdhsa_float_denorm_mode_32 3
		.amdhsa_float_denorm_mode_16_64 3
		.amdhsa_dx10_clamp 1
		.amdhsa_ieee_mode 1
		.amdhsa_fp16_overflow 0
		.amdhsa_tg_split 0
		.amdhsa_exception_fp_ieee_invalid_op 0
		.amdhsa_exception_fp_denorm_src 0
		.amdhsa_exception_fp_ieee_div_zero 0
		.amdhsa_exception_fp_ieee_overflow 0
		.amdhsa_exception_fp_ieee_underflow 0
		.amdhsa_exception_fp_ieee_inexact 0
		.amdhsa_exception_int_div_zero 0
	.end_amdhsa_kernel
	.section	.text._ZL23rocblas_dot_kernel_inc1ILb0ELi512ELi4ELb1EfPKPKDF16_fEviT4_llS4_lliPT5_PT3_,"axG",@progbits,_ZL23rocblas_dot_kernel_inc1ILb0ELi512ELi4ELb1EfPKPKDF16_fEviT4_llS4_lliPT5_PT3_,comdat
.Lfunc_end286:
	.size	_ZL23rocblas_dot_kernel_inc1ILb0ELi512ELi4ELb1EfPKPKDF16_fEviT4_llS4_lliPT5_PT3_, .Lfunc_end286-_ZL23rocblas_dot_kernel_inc1ILb0ELi512ELi4ELb1EfPKPKDF16_fEviT4_llS4_lliPT5_PT3_
                                        ; -- End function
	.section	.AMDGPU.csdata,"",@progbits
; Kernel info:
; codeLenInByte = 896
; NumSgprs: 32
; NumVgprs: 14
; NumAgprs: 0
; TotalNumVgprs: 14
; ScratchSize: 0
; MemoryBound: 0
; FloatMode: 240
; IeeeMode: 1
; LDSByteSize: 256 bytes/workgroup (compile time only)
; SGPRBlocks: 3
; VGPRBlocks: 1
; NumSGPRsForWavesPerEU: 32
; NumVGPRsForWavesPerEU: 14
; AccumOffset: 16
; Occupancy: 8
; WaveLimiterHint : 1
; COMPUTE_PGM_RSRC2:SCRATCH_EN: 0
; COMPUTE_PGM_RSRC2:USER_SGPR: 6
; COMPUTE_PGM_RSRC2:TRAP_HANDLER: 0
; COMPUTE_PGM_RSRC2:TGID_X_EN: 1
; COMPUTE_PGM_RSRC2:TGID_Y_EN: 0
; COMPUTE_PGM_RSRC2:TGID_Z_EN: 1
; COMPUTE_PGM_RSRC2:TIDIG_COMP_CNT: 0
; COMPUTE_PGM_RSRC3_GFX90A:ACCUM_OFFSET: 3
; COMPUTE_PGM_RSRC3_GFX90A:TG_SPLIT: 0
	.section	.text._ZL18rocblas_dot_kernelIlLb0ELi512ELi4ELb1EfPKPKDF16_fEviT5_lT_lS4_lS5_liPT6_PT4_,"axG",@progbits,_ZL18rocblas_dot_kernelIlLb0ELi512ELi4ELb1EfPKPKDF16_fEviT5_lT_lS4_lS5_liPT6_PT4_,comdat
	.globl	_ZL18rocblas_dot_kernelIlLb0ELi512ELi4ELb1EfPKPKDF16_fEviT5_lT_lS4_lS5_liPT6_PT4_ ; -- Begin function _ZL18rocblas_dot_kernelIlLb0ELi512ELi4ELb1EfPKPKDF16_fEviT5_lT_lS4_lS5_liPT6_PT4_
	.p2align	8
	.type	_ZL18rocblas_dot_kernelIlLb0ELi512ELi4ELb1EfPKPKDF16_fEviT5_lT_lS4_lS5_liPT6_PT4_,@function
_ZL18rocblas_dot_kernelIlLb0ELi512ELi4ELb1EfPKPKDF16_fEviT5_lT_lS4_lS5_liPT6_PT4_: ; @_ZL18rocblas_dot_kernelIlLb0ELi512ELi4ELb1EfPKPKDF16_fEviT5_lT_lS4_lS5_liPT6_PT4_
; %bb.0:
	s_mov_b32 s16, s7
	s_load_dword s20, s[4:5], 0x60
	s_load_dword s7, s[4:5], 0x0
	s_load_dwordx4 s[8:11], s[4:5], 0x50
	v_lshl_or_b32 v4, s6, 9, v0
	s_mov_b32 s17, 0
	v_mov_b32_e32 v6, 0
	s_waitcnt lgkmcnt(0)
	v_cmp_gt_i32_e32 vcc, s7, v4
	s_and_saveexec_b64 s[18:19], vcc
	s_cbranch_execz .LBB287_4
; %bb.1:
	s_load_dwordx2 s[22:23], s[4:5], 0x8
	s_load_dwordx4 s[12:15], s[4:5], 0x10
	s_load_dwordx2 s[24:25], s[4:5], 0x28
	s_load_dwordx4 s[0:3], s[4:5], 0x30
	s_lshl_b64 s[4:5], s[16:17], 3
	s_waitcnt lgkmcnt(0)
	s_add_u32 s22, s22, s4
	s_addc_u32 s23, s23, s5
	s_load_dwordx2 s[22:23], s[22:23], 0x0
	s_add_u32 s4, s24, s4
	s_addc_u32 s5, s25, s5
	s_load_dwordx2 s[24:25], s[4:5], 0x0
	v_ashrrev_i32_e32 v5, 31, v4
	v_mad_u64_u32 v[2:3], s[4:5], s14, v4, 0
	s_lshl_b32 s21, s20, 9
	v_mul_lo_u32 v6, s15, v4
	v_mul_lo_u32 v7, s14, v5
	s_lshl_b64 s[4:5], s[12:13], 1
	v_add3_u32 v3, v3, v7, v6
	s_waitcnt lgkmcnt(0)
	s_add_u32 s4, s22, s4
	v_lshlrev_b64 v[2:3], 1, v[2:3]
	s_addc_u32 s5, s23, s5
	s_ashr_i32 s22, s21, 31
	v_mov_b32_e32 v6, s5
	v_add_co_u32_e32 v2, vcc, s4, v2
	s_mul_i32 s4, s14, s22
	s_mul_hi_u32 s5, s14, s21
	s_add_i32 s4, s5, s4
	s_mul_i32 s5, s15, s21
	s_add_i32 s5, s4, s5
	s_mul_i32 s4, s14, s21
	v_add_u32_e32 v1, s21, v4
	v_addc_co_u32_e32 v3, vcc, v6, v3, vcc
	s_lshl_b64 s[4:5], s[4:5], 1
	v_mul_lo_u32 v6, s3, v4
	v_mul_lo_u32 v7, s2, v5
	v_mad_u64_u32 v[4:5], s[12:13], s2, v4, 0
	s_lshl_b64 s[0:1], s[0:1], 1
	v_add3_u32 v5, v5, v7, v6
	s_add_u32 s0, s24, s0
	v_lshlrev_b64 v[4:5], 1, v[4:5]
	s_addc_u32 s1, s25, s1
	v_mov_b32_e32 v6, s1
	v_add_co_u32_e32 v4, vcc, s0, v4
	s_mul_i32 s0, s2, s22
	s_mul_hi_u32 s1, s2, s21
	s_add_i32 s0, s1, s0
	s_mul_i32 s1, s3, s21
	s_add_i32 s1, s0, s1
	s_mul_i32 s0, s2, s21
	s_lshl_b64 s[12:13], s[0:1], 1
	v_addc_co_u32_e32 v5, vcc, v6, v5, vcc
	s_mov_b64 s[2:3], 0
	v_mov_b32_e32 v6, 0
	v_mov_b32_e32 v7, s5
	v_mov_b32_e32 v8, s13
	s_mov_b32 s5, s17
.LBB287_2:                              ; =>This Inner Loop Header: Depth=1
	global_load_ushort v9, v[4:5], off
	global_load_ushort v10, v[2:3], off
	v_add_co_u32_e64 v2, s[0:1], s4, v2
	v_addc_co_u32_e64 v3, s[0:1], v3, v7, s[0:1]
	s_add_i32 s13, s5, 1
	v_add_co_u32_e64 v4, s[0:1], s12, v4
	v_addc_co_u32_e64 v5, s[0:1], v5, v8, s[0:1]
	s_cmp_gt_u32 s5, 2
	v_cmp_le_i32_e32 vcc, s7, v1
	s_cselect_b64 s[0:1], -1, 0
	s_or_b64 s[0:1], s[0:1], vcc
	s_and_b64 s[0:1], exec, s[0:1]
	v_add_u32_e32 v1, s21, v1
	s_mov_b32 s5, s13
	s_or_b64 s[2:3], s[0:1], s[2:3]
	s_waitcnt vmcnt(0)
	v_fma_mix_f32 v6, v9, v10, v6 op_sel_hi:[1,1,0]
	s_andn2_b64 exec, exec, s[2:3]
	s_cbranch_execnz .LBB287_2
; %bb.3:
	s_or_b64 exec, exec, s[2:3]
.LBB287_4:
	s_or_b64 exec, exec, s[18:19]
	v_and_b32_e32 v2, 63, v0
	v_cmp_gt_u32_e32 vcc, 64, v0
	v_lshlrev_b32_e32 v1, 2, v2
	s_and_saveexec_b64 s[0:1], vcc
	s_cbranch_execz .LBB287_6
; %bb.5:
	v_mov_b32_e32 v3, 0
	ds_write_b32 v1, v3
.LBB287_6:
	s_or_b64 exec, exec, s[0:1]
	v_mbcnt_lo_u32_b32 v3, -1, 0
	v_mbcnt_hi_u32_b32 v5, -1, v3
	v_and_b32_e32 v7, 63, v5
	v_cmp_gt_u32_e64 s[0:1], 32, v7
	v_cndmask_b32_e64 v3, 0, 1, s[0:1]
	v_lshlrev_b32_e32 v3, 5, v3
	v_add_lshl_u32 v3, v3, v5, 2
	ds_bpermute_b32 v3, v3, v6
	v_cmp_gt_u32_e64 s[0:1], 48, v7
	v_cndmask_b32_e64 v4, 0, 1, s[0:1]
	v_lshlrev_b32_e32 v4, 4, v4
	v_add_lshl_u32 v4, v4, v5, 2
	s_waitcnt lgkmcnt(0)
	v_add_f32_e32 v3, v6, v3
	ds_bpermute_b32 v4, v4, v3
	v_cmp_gt_u32_e64 s[0:1], 56, v7
	v_cndmask_b32_e64 v6, 0, 1, s[0:1]
	v_lshlrev_b32_e32 v6, 3, v6
	v_cmp_gt_u32_e64 s[0:1], 60, v7
	s_waitcnt lgkmcnt(0)
	v_add_f32_e32 v3, v3, v4
	v_add_lshl_u32 v4, v6, v5, 2
	ds_bpermute_b32 v4, v4, v3
	v_cndmask_b32_e64 v6, 0, 1, s[0:1]
	v_lshlrev_b32_e32 v6, 2, v6
	v_cmp_gt_u32_e64 s[0:1], 62, v7
	v_cndmask_b32_e64 v8, 0, 1, s[0:1]
	s_waitcnt lgkmcnt(0)
	v_add_f32_e32 v4, v3, v4
	v_add_lshl_u32 v3, v6, v5, 2
	ds_bpermute_b32 v6, v3, v4
	v_lshlrev_b32_e32 v8, 1, v8
	v_cmp_ne_u32_e64 s[0:1], 63, v7
	s_waitcnt lgkmcnt(0)
	s_barrier
	v_add_f32_e32 v6, v4, v6
	v_add_lshl_u32 v4, v8, v5, 2
	ds_bpermute_b32 v8, v4, v6
	v_addc_co_u32_e64 v5, s[0:1], 0, v5, s[0:1]
	v_lshlrev_b32_e32 v5, 2, v5
	v_cmp_eq_u32_e64 s[0:1], 0, v2
	s_waitcnt lgkmcnt(0)
	v_add_f32_e32 v6, v6, v8
	ds_bpermute_b32 v7, v5, v6
	s_waitcnt lgkmcnt(0)
	s_and_saveexec_b64 s[2:3], s[0:1]
	s_cbranch_execz .LBB287_8
; %bb.7:
	v_add_f32_e32 v2, v6, v7
	v_lshrrev_b32_e32 v6, 4, v0
	v_and_b32_e32 v6, 28, v6
	ds_write_b32 v6, v2
.LBB287_8:
	s_or_b64 exec, exec, s[2:3]
	v_cmp_gt_u32_e64 s[0:1], 8, v0
	v_mov_b32_e32 v2, 0
	s_waitcnt lgkmcnt(0)
	s_barrier
	s_and_saveexec_b64 s[2:3], s[0:1]
	s_cbranch_execnz .LBB287_12
; %bb.9:
	s_or_b64 exec, exec, s[2:3]
	s_and_saveexec_b64 s[0:1], vcc
	s_cbranch_execnz .LBB287_13
.LBB287_10:
	s_or_b64 exec, exec, s[0:1]
	v_cmp_eq_u32_e32 vcc, 0, v0
	s_and_saveexec_b64 s[0:1], vcc
	s_cbranch_execnz .LBB287_14
.LBB287_11:
	s_endpgm
.LBB287_12:
	ds_read_b32 v2, v1
	s_or_b64 exec, exec, s[2:3]
	s_and_saveexec_b64 s[0:1], vcc
	s_cbranch_execz .LBB287_10
.LBB287_13:
	s_waitcnt lgkmcnt(0)
	ds_bpermute_b32 v1, v3, v2
	s_waitcnt lgkmcnt(0)
	v_add_f32_e32 v1, v2, v1
	ds_bpermute_b32 v2, v4, v1
	s_waitcnt lgkmcnt(0)
	v_add_f32_e32 v1, v1, v2
	;; [unrolled: 3-line block ×3, first 2 shown]
	s_or_b64 exec, exec, s[0:1]
	v_cmp_eq_u32_e32 vcc, 0, v0
	s_and_saveexec_b64 s[0:1], vcc
	s_cbranch_execz .LBB287_11
.LBB287_14:
	s_cmp_lg_u32 s20, 1
	s_cbranch_scc0 .LBB287_16
; %bb.15:
	s_mul_hi_u32 s1, s20, s16
	s_mul_i32 s0, s20, s16
	s_lshl_b64 s[0:1], s[0:1], 2
	s_mov_b32 s7, 0
	s_add_u32 s2, s8, s0
	s_addc_u32 s3, s9, s1
	s_lshl_b64 s[0:1], s[6:7], 2
	s_add_u32 s0, s2, s0
	s_addc_u32 s1, s3, s1
	s_cbranch_execz .LBB287_17
	s_branch .LBB287_18
.LBB287_16:
                                        ; implicit-def: $sgpr0_sgpr1
.LBB287_17:
	s_lshl_b64 s[0:1], s[16:17], 2
	s_add_u32 s0, s10, s0
	s_addc_u32 s1, s11, s1
.LBB287_18:
	v_mov_b32_e32 v0, 0
	s_waitcnt lgkmcnt(0)
	global_store_dword v0, v2, s[0:1]
	s_endpgm
	.section	.rodata,"a",@progbits
	.p2align	6, 0x0
	.amdhsa_kernel _ZL18rocblas_dot_kernelIlLb0ELi512ELi4ELb1EfPKPKDF16_fEviT5_lT_lS4_lS5_liPT6_PT4_
		.amdhsa_group_segment_fixed_size 256
		.amdhsa_private_segment_fixed_size 0
		.amdhsa_kernarg_size 352
		.amdhsa_user_sgpr_count 6
		.amdhsa_user_sgpr_private_segment_buffer 1
		.amdhsa_user_sgpr_dispatch_ptr 0
		.amdhsa_user_sgpr_queue_ptr 0
		.amdhsa_user_sgpr_kernarg_segment_ptr 1
		.amdhsa_user_sgpr_dispatch_id 0
		.amdhsa_user_sgpr_flat_scratch_init 0
		.amdhsa_user_sgpr_kernarg_preload_length 0
		.amdhsa_user_sgpr_kernarg_preload_offset 0
		.amdhsa_user_sgpr_private_segment_size 0
		.amdhsa_uses_dynamic_stack 0
		.amdhsa_system_sgpr_private_segment_wavefront_offset 0
		.amdhsa_system_sgpr_workgroup_id_x 1
		.amdhsa_system_sgpr_workgroup_id_y 0
		.amdhsa_system_sgpr_workgroup_id_z 1
		.amdhsa_system_sgpr_workgroup_info 0
		.amdhsa_system_vgpr_workitem_id 0
		.amdhsa_next_free_vgpr 11
		.amdhsa_next_free_sgpr 26
		.amdhsa_accum_offset 12
		.amdhsa_reserve_vcc 1
		.amdhsa_reserve_flat_scratch 0
		.amdhsa_float_round_mode_32 0
		.amdhsa_float_round_mode_16_64 0
		.amdhsa_float_denorm_mode_32 3
		.amdhsa_float_denorm_mode_16_64 3
		.amdhsa_dx10_clamp 1
		.amdhsa_ieee_mode 1
		.amdhsa_fp16_overflow 0
		.amdhsa_tg_split 0
		.amdhsa_exception_fp_ieee_invalid_op 0
		.amdhsa_exception_fp_denorm_src 0
		.amdhsa_exception_fp_ieee_div_zero 0
		.amdhsa_exception_fp_ieee_overflow 0
		.amdhsa_exception_fp_ieee_underflow 0
		.amdhsa_exception_fp_ieee_inexact 0
		.amdhsa_exception_int_div_zero 0
	.end_amdhsa_kernel
	.section	.text._ZL18rocblas_dot_kernelIlLb0ELi512ELi4ELb1EfPKPKDF16_fEviT5_lT_lS4_lS5_liPT6_PT4_,"axG",@progbits,_ZL18rocblas_dot_kernelIlLb0ELi512ELi4ELb1EfPKPKDF16_fEviT5_lT_lS4_lS5_liPT6_PT4_,comdat
.Lfunc_end287:
	.size	_ZL18rocblas_dot_kernelIlLb0ELi512ELi4ELb1EfPKPKDF16_fEviT5_lT_lS4_lS5_liPT6_PT4_, .Lfunc_end287-_ZL18rocblas_dot_kernelIlLb0ELi512ELi4ELb1EfPKPKDF16_fEviT5_lT_lS4_lS5_liPT6_PT4_
                                        ; -- End function
	.section	.AMDGPU.csdata,"",@progbits
; Kernel info:
; codeLenInByte = 1052
; NumSgprs: 30
; NumVgprs: 11
; NumAgprs: 0
; TotalNumVgprs: 11
; ScratchSize: 0
; MemoryBound: 0
; FloatMode: 240
; IeeeMode: 1
; LDSByteSize: 256 bytes/workgroup (compile time only)
; SGPRBlocks: 3
; VGPRBlocks: 1
; NumSGPRsForWavesPerEU: 30
; NumVGPRsForWavesPerEU: 11
; AccumOffset: 12
; Occupancy: 8
; WaveLimiterHint : 0
; COMPUTE_PGM_RSRC2:SCRATCH_EN: 0
; COMPUTE_PGM_RSRC2:USER_SGPR: 6
; COMPUTE_PGM_RSRC2:TRAP_HANDLER: 0
; COMPUTE_PGM_RSRC2:TGID_X_EN: 1
; COMPUTE_PGM_RSRC2:TGID_Y_EN: 0
; COMPUTE_PGM_RSRC2:TGID_Z_EN: 1
; COMPUTE_PGM_RSRC2:TIDIG_COMP_CNT: 0
; COMPUTE_PGM_RSRC3_GFX90A:ACCUM_OFFSET: 2
; COMPUTE_PGM_RSRC3_GFX90A:TG_SPLIT: 0
	.section	.text._ZL24rocblas_dot_kernel_magsqIlLb0ELi512ELi4ELb1EfPKPKDF16_fEviT5_lT_liPT6_PT4_,"axG",@progbits,_ZL24rocblas_dot_kernel_magsqIlLb0ELi512ELi4ELb1EfPKPKDF16_fEviT5_lT_liPT6_PT4_,comdat
	.globl	_ZL24rocblas_dot_kernel_magsqIlLb0ELi512ELi4ELb1EfPKPKDF16_fEviT5_lT_liPT6_PT4_ ; -- Begin function _ZL24rocblas_dot_kernel_magsqIlLb0ELi512ELi4ELb1EfPKPKDF16_fEviT5_lT_liPT6_PT4_
	.p2align	8
	.type	_ZL24rocblas_dot_kernel_magsqIlLb0ELi512ELi4ELb1EfPKPKDF16_fEviT5_lT_liPT6_PT4_,@function
_ZL24rocblas_dot_kernel_magsqIlLb0ELi512ELi4ELb1EfPKPKDF16_fEviT5_lT_liPT6_PT4_: ; @_ZL24rocblas_dot_kernel_magsqIlLb0ELi512ELi4ELb1EfPKPKDF16_fEviT5_lT_liPT6_PT4_
; %bb.0:
	s_mov_b32 s2, s7
	s_load_dword s7, s[4:5], 0x0
	s_load_dwordx4 s[8:11], s[4:5], 0x30
	s_load_dword s16, s[4:5], 0x40
	v_lshl_or_b32 v2, s6, 9, v0
	s_mov_b32 s3, 0
	s_waitcnt lgkmcnt(0)
	v_cmp_gt_i32_e32 vcc, s7, v2
	v_mov_b32_e32 v1, 0
	s_and_saveexec_b64 s[12:13], vcc
	s_cbranch_execz .LBB288_4
; %bb.1:
	s_load_dwordx2 s[0:1], s[4:5], 0x8
	s_load_dwordx4 s[20:23], s[4:5], 0x10
	s_lshl_b64 s[4:5], s[2:3], 3
	v_ashrrev_i32_e32 v1, 31, v2
	s_waitcnt lgkmcnt(0)
	s_add_u32 s0, s0, s4
	s_addc_u32 s1, s1, s5
	s_load_dwordx2 s[0:1], s[0:1], 0x0
	s_lshl_b32 s17, s16, 9
	v_add_u32_e32 v4, s17, v2
	v_mul_lo_u32 v5, s23, v2
	v_mul_lo_u32 v1, s22, v1
	v_mad_u64_u32 v[2:3], s[4:5], s22, v2, 0
	v_add3_u32 v3, v3, v1, v5
	s_lshl_b64 s[4:5], s[20:21], 1
	v_lshlrev_b64 v[2:3], 1, v[2:3]
	s_waitcnt lgkmcnt(0)
	s_add_u32 s0, s0, s4
	s_addc_u32 s1, s1, s5
	v_add_co_u32_e32 v2, vcc, s0, v2
	s_ashr_i32 s0, s17, 31
	v_mov_b32_e32 v1, s1
	s_mul_i32 s0, s22, s0
	s_mul_hi_u32 s1, s22, s17
	s_add_i32 s0, s1, s0
	s_mul_i32 s1, s23, s17
	s_add_i32 s1, s0, s1
	s_mul_i32 s0, s22, s17
	s_lshl_b64 s[14:15], s[0:1], 1
	v_addc_co_u32_e32 v3, vcc, v1, v3, vcc
	s_mov_b64 s[4:5], 0
	v_mov_b32_e32 v1, 0
	v_mov_b32_e32 v5, s15
	s_mov_b32 s15, s3
.LBB288_2:                              ; =>This Inner Loop Header: Depth=1
	global_load_ushort v6, v[2:3], off
	s_add_i32 s18, s15, 1
	v_add_co_u32_e64 v2, s[0:1], s14, v2
	v_addc_co_u32_e64 v3, s[0:1], v3, v5, s[0:1]
	s_cmp_gt_u32 s15, 2
	v_cmp_le_i32_e32 vcc, s7, v4
	s_cselect_b64 s[0:1], -1, 0
	s_or_b64 s[0:1], s[0:1], vcc
	s_and_b64 s[0:1], exec, s[0:1]
	v_add_u32_e32 v4, s17, v4
	s_mov_b32 s15, s18
	s_or_b64 s[4:5], s[0:1], s[4:5]
	s_waitcnt vmcnt(0)
	v_fma_mix_f32 v1, v6, v6, v1 op_sel_hi:[1,1,0]
	s_andn2_b64 exec, exec, s[4:5]
	s_cbranch_execnz .LBB288_2
; %bb.3:
	s_or_b64 exec, exec, s[4:5]
.LBB288_4:
	s_or_b64 exec, exec, s[12:13]
	v_and_b32_e32 v3, 63, v0
	v_cmp_gt_u32_e32 vcc, 64, v0
	v_lshlrev_b32_e32 v2, 2, v3
	s_and_saveexec_b64 s[0:1], vcc
	s_cbranch_execz .LBB288_6
; %bb.5:
	v_mov_b32_e32 v4, 0
	ds_write_b32 v2, v4
.LBB288_6:
	s_or_b64 exec, exec, s[0:1]
	v_mbcnt_lo_u32_b32 v4, -1, 0
	v_mbcnt_hi_u32_b32 v6, -1, v4
	v_and_b32_e32 v7, 63, v6
	v_cmp_gt_u32_e64 s[0:1], 32, v7
	v_cndmask_b32_e64 v4, 0, 1, s[0:1]
	v_lshlrev_b32_e32 v4, 5, v4
	v_add_lshl_u32 v4, v4, v6, 2
	ds_bpermute_b32 v4, v4, v1
	v_cmp_gt_u32_e64 s[0:1], 48, v7
	v_cndmask_b32_e64 v5, 0, 1, s[0:1]
	v_lshlrev_b32_e32 v5, 4, v5
	v_cmp_gt_u32_e64 s[0:1], 56, v7
	s_waitcnt lgkmcnt(0)
	v_add_f32_e32 v1, v1, v4
	v_add_lshl_u32 v4, v5, v6, 2
	ds_bpermute_b32 v4, v4, v1
	v_cndmask_b32_e64 v5, 0, 1, s[0:1]
	v_lshlrev_b32_e32 v5, 3, v5
	v_cmp_gt_u32_e64 s[0:1], 60, v7
	s_waitcnt lgkmcnt(0)
	v_add_f32_e32 v1, v1, v4
	v_add_lshl_u32 v4, v5, v6, 2
	ds_bpermute_b32 v4, v4, v1
	v_cndmask_b32_e64 v5, 0, 1, s[0:1]
	v_lshlrev_b32_e32 v5, 2, v5
	v_cmp_gt_u32_e64 s[0:1], 62, v7
	v_cndmask_b32_e64 v8, 0, 1, s[0:1]
	s_waitcnt lgkmcnt(0)
	v_add_f32_e32 v1, v1, v4
	v_add_lshl_u32 v4, v5, v6, 2
	ds_bpermute_b32 v5, v4, v1
	v_lshlrev_b32_e32 v8, 1, v8
	v_cmp_ne_u32_e64 s[0:1], 63, v7
	s_barrier
	s_waitcnt lgkmcnt(0)
	v_add_f32_e32 v1, v1, v5
	v_add_lshl_u32 v5, v8, v6, 2
	ds_bpermute_b32 v8, v5, v1
	v_addc_co_u32_e64 v6, s[0:1], 0, v6, s[0:1]
	v_lshlrev_b32_e32 v6, 2, v6
	v_cmp_eq_u32_e64 s[0:1], 0, v3
	s_waitcnt lgkmcnt(0)
	v_add_f32_e32 v1, v1, v8
	ds_bpermute_b32 v7, v6, v1
	s_and_saveexec_b64 s[4:5], s[0:1]
	s_cbranch_execz .LBB288_8
; %bb.7:
	v_lshrrev_b32_e32 v3, 4, v0
	s_waitcnt lgkmcnt(0)
	v_add_f32_e32 v1, v1, v7
	v_and_b32_e32 v3, 28, v3
	ds_write_b32 v3, v1
.LBB288_8:
	s_or_b64 exec, exec, s[4:5]
	v_cmp_gt_u32_e64 s[0:1], 8, v0
	v_mov_b32_e32 v1, 0
	s_waitcnt lgkmcnt(0)
	s_barrier
	s_and_saveexec_b64 s[4:5], s[0:1]
	s_cbranch_execnz .LBB288_12
; %bb.9:
	s_or_b64 exec, exec, s[4:5]
	s_and_saveexec_b64 s[0:1], vcc
	s_cbranch_execnz .LBB288_13
.LBB288_10:
	s_or_b64 exec, exec, s[0:1]
	v_cmp_eq_u32_e32 vcc, 0, v0
	s_and_saveexec_b64 s[0:1], vcc
	s_cbranch_execnz .LBB288_14
.LBB288_11:
	s_endpgm
.LBB288_12:
	ds_read_b32 v1, v2
	s_or_b64 exec, exec, s[4:5]
	s_and_saveexec_b64 s[0:1], vcc
	s_cbranch_execz .LBB288_10
.LBB288_13:
	s_waitcnt lgkmcnt(0)
	ds_bpermute_b32 v2, v4, v1
	s_waitcnt lgkmcnt(0)
	v_add_f32_e32 v1, v1, v2
	ds_bpermute_b32 v2, v5, v1
	s_waitcnt lgkmcnt(0)
	v_add_f32_e32 v1, v1, v2
	;; [unrolled: 3-line block ×3, first 2 shown]
	s_or_b64 exec, exec, s[0:1]
	v_cmp_eq_u32_e32 vcc, 0, v0
	s_and_saveexec_b64 s[0:1], vcc
	s_cbranch_execz .LBB288_11
.LBB288_14:
	s_cmp_lg_u32 s16, 1
	s_cbranch_scc0 .LBB288_16
; %bb.15:
	s_mul_hi_u32 s1, s16, s2
	s_mul_i32 s0, s16, s2
	s_lshl_b64 s[0:1], s[0:1], 2
	s_mov_b32 s7, 0
	s_add_u32 s4, s8, s0
	s_addc_u32 s5, s9, s1
	s_lshl_b64 s[0:1], s[6:7], 2
	s_add_u32 s0, s4, s0
	s_addc_u32 s1, s5, s1
	s_cbranch_execz .LBB288_17
	s_branch .LBB288_18
.LBB288_16:
                                        ; implicit-def: $sgpr0_sgpr1
.LBB288_17:
	s_lshl_b64 s[0:1], s[2:3], 2
	s_add_u32 s0, s10, s0
	s_addc_u32 s1, s11, s1
.LBB288_18:
	v_mov_b32_e32 v0, 0
	s_waitcnt lgkmcnt(0)
	global_store_dword v0, v1, s[0:1]
	s_endpgm
	.section	.rodata,"a",@progbits
	.p2align	6, 0x0
	.amdhsa_kernel _ZL24rocblas_dot_kernel_magsqIlLb0ELi512ELi4ELb1EfPKPKDF16_fEviT5_lT_liPT6_PT4_
		.amdhsa_group_segment_fixed_size 256
		.amdhsa_private_segment_fixed_size 0
		.amdhsa_kernarg_size 320
		.amdhsa_user_sgpr_count 6
		.amdhsa_user_sgpr_private_segment_buffer 1
		.amdhsa_user_sgpr_dispatch_ptr 0
		.amdhsa_user_sgpr_queue_ptr 0
		.amdhsa_user_sgpr_kernarg_segment_ptr 1
		.amdhsa_user_sgpr_dispatch_id 0
		.amdhsa_user_sgpr_flat_scratch_init 0
		.amdhsa_user_sgpr_kernarg_preload_length 0
		.amdhsa_user_sgpr_kernarg_preload_offset 0
		.amdhsa_user_sgpr_private_segment_size 0
		.amdhsa_uses_dynamic_stack 0
		.amdhsa_system_sgpr_private_segment_wavefront_offset 0
		.amdhsa_system_sgpr_workgroup_id_x 1
		.amdhsa_system_sgpr_workgroup_id_y 0
		.amdhsa_system_sgpr_workgroup_id_z 1
		.amdhsa_system_sgpr_workgroup_info 0
		.amdhsa_system_vgpr_workitem_id 0
		.amdhsa_next_free_vgpr 9
		.amdhsa_next_free_sgpr 24
		.amdhsa_accum_offset 12
		.amdhsa_reserve_vcc 1
		.amdhsa_reserve_flat_scratch 0
		.amdhsa_float_round_mode_32 0
		.amdhsa_float_round_mode_16_64 0
		.amdhsa_float_denorm_mode_32 3
		.amdhsa_float_denorm_mode_16_64 3
		.amdhsa_dx10_clamp 1
		.amdhsa_ieee_mode 1
		.amdhsa_fp16_overflow 0
		.amdhsa_tg_split 0
		.amdhsa_exception_fp_ieee_invalid_op 0
		.amdhsa_exception_fp_denorm_src 0
		.amdhsa_exception_fp_ieee_div_zero 0
		.amdhsa_exception_fp_ieee_overflow 0
		.amdhsa_exception_fp_ieee_underflow 0
		.amdhsa_exception_fp_ieee_inexact 0
		.amdhsa_exception_int_div_zero 0
	.end_amdhsa_kernel
	.section	.text._ZL24rocblas_dot_kernel_magsqIlLb0ELi512ELi4ELb1EfPKPKDF16_fEviT5_lT_liPT6_PT4_,"axG",@progbits,_ZL24rocblas_dot_kernel_magsqIlLb0ELi512ELi4ELb1EfPKPKDF16_fEviT5_lT_liPT6_PT4_,comdat
.Lfunc_end288:
	.size	_ZL24rocblas_dot_kernel_magsqIlLb0ELi512ELi4ELb1EfPKPKDF16_fEviT5_lT_liPT6_PT4_, .Lfunc_end288-_ZL24rocblas_dot_kernel_magsqIlLb0ELi512ELi4ELb1EfPKPKDF16_fEviT5_lT_liPT6_PT4_
                                        ; -- End function
	.section	.AMDGPU.csdata,"",@progbits
; Kernel info:
; codeLenInByte = 900
; NumSgprs: 28
; NumVgprs: 9
; NumAgprs: 0
; TotalNumVgprs: 9
; ScratchSize: 0
; MemoryBound: 0
; FloatMode: 240
; IeeeMode: 1
; LDSByteSize: 256 bytes/workgroup (compile time only)
; SGPRBlocks: 3
; VGPRBlocks: 1
; NumSGPRsForWavesPerEU: 28
; NumVGPRsForWavesPerEU: 9
; AccumOffset: 12
; Occupancy: 8
; WaveLimiterHint : 0
; COMPUTE_PGM_RSRC2:SCRATCH_EN: 0
; COMPUTE_PGM_RSRC2:USER_SGPR: 6
; COMPUTE_PGM_RSRC2:TRAP_HANDLER: 0
; COMPUTE_PGM_RSRC2:TGID_X_EN: 1
; COMPUTE_PGM_RSRC2:TGID_Y_EN: 0
; COMPUTE_PGM_RSRC2:TGID_Z_EN: 1
; COMPUTE_PGM_RSRC2:TIDIG_COMP_CNT: 0
; COMPUTE_PGM_RSRC3_GFX90A:ACCUM_OFFSET: 2
; COMPUTE_PGM_RSRC3_GFX90A:TG_SPLIT: 0
	.section	.text._ZL28rocblas_dot_batched_4_kernelIlLi32ELi4ELb1EDF16_fPKDF16_EviT5_lT_lS2_lS3_liPT4_,"axG",@progbits,_ZL28rocblas_dot_batched_4_kernelIlLi32ELi4ELb1EDF16_fPKDF16_EviT5_lT_lS2_lS3_liPT4_,comdat
	.globl	_ZL28rocblas_dot_batched_4_kernelIlLi32ELi4ELb1EDF16_fPKDF16_EviT5_lT_lS2_lS3_liPT4_ ; -- Begin function _ZL28rocblas_dot_batched_4_kernelIlLi32ELi4ELb1EDF16_fPKDF16_EviT5_lT_lS2_lS3_liPT4_
	.p2align	8
	.type	_ZL28rocblas_dot_batched_4_kernelIlLi32ELi4ELb1EDF16_fPKDF16_EviT5_lT_lS2_lS3_liPT4_,@function
_ZL28rocblas_dot_batched_4_kernelIlLi32ELi4ELb1EDF16_fPKDF16_EviT5_lT_lS2_lS3_liPT4_: ; @_ZL28rocblas_dot_batched_4_kernelIlLi32ELi4ELb1EDF16_fPKDF16_EviT5_lT_lS2_lS3_liPT4_
; %bb.0:
	s_load_dword s0, s[4:5], 0x48
	v_bfe_u32 v1, v0, 10, 10
	v_lshl_add_u32 v2, s6, 2, v1
	s_waitcnt lgkmcnt(0)
	v_cmp_gt_u32_e32 vcc, s0, v2
	s_and_saveexec_b64 s[0:1], vcc
	s_cbranch_execz .LBB289_7
; %bb.1:
	s_load_dword s16, s[4:5], 0x0
	s_load_dwordx2 s[0:1], s[4:5], 0x50
	v_mov_b32_e32 v3, 0
	v_and_b32_e32 v6, 0x3ff, v0
	v_mov_b32_e32 v7, v3
	s_waitcnt lgkmcnt(0)
	v_cmp_gt_i32_e32 vcc, s16, v6
	s_and_saveexec_b64 s[2:3], vcc
	s_cbranch_execz .LBB289_5
; %bb.2:
	s_load_dwordx4 s[20:23], s[4:5], 0x10
	s_load_dwordx2 s[6:7], s[4:5], 0x8
	s_load_dwordx8 s[8:15], s[4:5], 0x20
	s_load_dwordx2 s[18:19], s[4:5], 0x40
	s_waitcnt lgkmcnt(0)
	v_mad_u64_u32 v[0:1], s[4:5], s22, v6, 0
	v_mov_b32_e32 v4, v1
	v_mad_u64_u32 v[4:5], s[4:5], s23, v6, v[4:5]
	v_mov_b32_e32 v1, v4
	;; [unrolled: 2-line block ×4, first 2 shown]
	v_lshlrev_b64 v[0:1], 1, v[0:1]
	v_lshlrev_b64 v[4:5], 1, v[4:5]
	s_lshl_b64 s[4:5], s[20:21], 1
	v_add_co_u32_e32 v0, vcc, v0, v4
	s_add_u32 s4, s6, s4
	v_addc_co_u32_e32 v1, vcc, v1, v5, vcc
	s_addc_u32 s5, s7, s5
	v_mov_b32_e32 v4, s5
	v_add_co_u32_e32 v0, vcc, s4, v0
	v_addc_co_u32_e32 v1, vcc, v4, v1, vcc
	v_mad_u64_u32 v[4:5], s[6:7], s14, v6, 0
	v_mov_b32_e32 v8, v5
	v_mad_u64_u32 v[8:9], s[6:7], s15, v6, v[8:9]
	v_mov_b32_e32 v5, v8
	;; [unrolled: 2-line block ×4, first 2 shown]
	s_lshl_b64 s[4:5], s[22:23], 6
	v_lshlrev_b64 v[4:5], 1, v[4:5]
	v_lshlrev_b64 v[8:9], 1, v[8:9]
	s_lshl_b64 s[6:7], s[12:13], 1
	v_add_co_u32_e32 v4, vcc, v4, v8
	s_add_u32 s6, s10, s6
	v_addc_co_u32_e32 v5, vcc, v5, v9, vcc
	s_addc_u32 s7, s11, s7
	v_mov_b32_e32 v7, s7
	v_add_co_u32_e32 v4, vcc, s6, v4
	s_lshl_b64 s[8:9], s[14:15], 6
	v_addc_co_u32_e32 v5, vcc, v7, v5, vcc
	s_mov_b64 s[6:7], 0
	v_mov_b32_e32 v7, 0
	v_mov_b32_e32 v8, s5
	;; [unrolled: 1-line block ×4, first 2 shown]
.LBB289_3:                              ; =>This Inner Loop Header: Depth=1
	global_load_ushort v11, v[0:1], off
	global_load_ushort v12, v[4:5], off
	v_add_co_u32_e32 v0, vcc, s4, v0
	v_addc_co_u32_e32 v1, vcc, v1, v8, vcc
	v_add_co_u32_e32 v4, vcc, s8, v4
	v_add_u32_e32 v10, 32, v10
	v_addc_co_u32_e32 v5, vcc, v5, v9, vcc
	v_cmp_le_i32_e32 vcc, s16, v10
	s_or_b64 s[6:7], vcc, s[6:7]
	s_waitcnt vmcnt(0)
	v_fma_f16 v7, v11, v12, v7
	s_andn2_b64 exec, exec, s[6:7]
	s_cbranch_execnz .LBB289_3
; %bb.4:
	s_or_b64 exec, exec, s[6:7]
.LBB289_5:
	s_or_b64 exec, exec, s[2:3]
	v_mbcnt_lo_u32_b32 v0, -1, 0
	v_mbcnt_hi_u32_b32 v1, -1, v0
	v_and_b32_e32 v4, 63, v1
	v_cmp_gt_u32_e32 vcc, 48, v4
	v_cndmask_b32_e64 v5, 0, 1, vcc
	v_lshlrev_b32_e32 v5, 4, v5
	v_and_b32_e32 v0, 0xffff, v7
	v_add_lshl_u32 v5, v5, v1, 2
	ds_bpermute_b32 v0, v5, v0
	v_cmp_gt_u32_e32 vcc, 56, v4
	s_mov_b32 s2, 0xffff0000
	s_waitcnt lgkmcnt(0)
	s_barrier
	v_add_f16_e32 v5, v7, v0
	v_cndmask_b32_e64 v7, 0, 1, vcc
	v_lshlrev_b32_e32 v7, 3, v7
	v_and_or_b32 v0, v0, s2, v5
	v_add_lshl_u32 v7, v7, v1, 2
	ds_bpermute_b32 v0, v7, v0
	v_cmp_gt_u32_e32 vcc, 60, v4
	v_cndmask_b32_e64 v7, 0, 1, vcc
	v_lshlrev_b32_e32 v7, 2, v7
	v_add_lshl_u32 v7, v7, v1, 2
	s_waitcnt lgkmcnt(0)
	v_add_f16_e32 v5, v5, v0
	v_and_or_b32 v0, v0, s2, v5
	ds_bpermute_b32 v0, v7, v0
	v_cmp_gt_u32_e32 vcc, 62, v4
	v_cndmask_b32_e64 v7, 0, 1, vcc
	v_lshlrev_b32_e32 v7, 1, v7
	v_add_lshl_u32 v7, v7, v1, 2
	s_waitcnt lgkmcnt(0)
	v_add_f16_e32 v5, v5, v0
	v_and_or_b32 v0, v0, s2, v5
	ds_bpermute_b32 v7, v7, v0
	v_cmp_ne_u32_e32 vcc, 63, v4
	v_addc_co_u32_e32 v1, vcc, 0, v1, vcc
	v_lshlrev_b32_e32 v1, 2, v1
	s_waitcnt lgkmcnt(0)
	v_add_f16_e32 v0, v5, v7
	v_and_or_b32 v5, v7, s2, v0
	ds_bpermute_b32 v1, v1, v5
	v_cmp_eq_u32_e32 vcc, 0, v6
	s_waitcnt lgkmcnt(0)
	s_and_b64 exec, exec, vcc
	s_cbranch_execz .LBB289_7
; %bb.6:
	v_add_f16_e32 v0, v0, v1
	v_cvt_f32_f16_e32 v5, v0
	v_lshlrev_b64 v[2:3], 2, v[2:3]
	v_mov_b32_e32 v4, s1
	v_add_co_u32_e32 v0, vcc, s0, v2
	v_addc_co_u32_e32 v1, vcc, v4, v3, vcc
	global_store_dword v[0:1], v5, off
.LBB289_7:
	s_endpgm
	.section	.rodata,"a",@progbits
	.p2align	6, 0x0
	.amdhsa_kernel _ZL28rocblas_dot_batched_4_kernelIlLi32ELi4ELb1EDF16_fPKDF16_EviT5_lT_lS2_lS3_liPT4_
		.amdhsa_group_segment_fixed_size 0
		.amdhsa_private_segment_fixed_size 0
		.amdhsa_kernarg_size 88
		.amdhsa_user_sgpr_count 6
		.amdhsa_user_sgpr_private_segment_buffer 1
		.amdhsa_user_sgpr_dispatch_ptr 0
		.amdhsa_user_sgpr_queue_ptr 0
		.amdhsa_user_sgpr_kernarg_segment_ptr 1
		.amdhsa_user_sgpr_dispatch_id 0
		.amdhsa_user_sgpr_flat_scratch_init 0
		.amdhsa_user_sgpr_kernarg_preload_length 0
		.amdhsa_user_sgpr_kernarg_preload_offset 0
		.amdhsa_user_sgpr_private_segment_size 0
		.amdhsa_uses_dynamic_stack 0
		.amdhsa_system_sgpr_private_segment_wavefront_offset 0
		.amdhsa_system_sgpr_workgroup_id_x 1
		.amdhsa_system_sgpr_workgroup_id_y 0
		.amdhsa_system_sgpr_workgroup_id_z 0
		.amdhsa_system_sgpr_workgroup_info 0
		.amdhsa_system_vgpr_workitem_id 1
		.amdhsa_next_free_vgpr 13
		.amdhsa_next_free_sgpr 24
		.amdhsa_accum_offset 16
		.amdhsa_reserve_vcc 1
		.amdhsa_reserve_flat_scratch 0
		.amdhsa_float_round_mode_32 0
		.amdhsa_float_round_mode_16_64 0
		.amdhsa_float_denorm_mode_32 3
		.amdhsa_float_denorm_mode_16_64 3
		.amdhsa_dx10_clamp 1
		.amdhsa_ieee_mode 1
		.amdhsa_fp16_overflow 0
		.amdhsa_tg_split 0
		.amdhsa_exception_fp_ieee_invalid_op 0
		.amdhsa_exception_fp_denorm_src 0
		.amdhsa_exception_fp_ieee_div_zero 0
		.amdhsa_exception_fp_ieee_overflow 0
		.amdhsa_exception_fp_ieee_underflow 0
		.amdhsa_exception_fp_ieee_inexact 0
		.amdhsa_exception_int_div_zero 0
	.end_amdhsa_kernel
	.section	.text._ZL28rocblas_dot_batched_4_kernelIlLi32ELi4ELb1EDF16_fPKDF16_EviT5_lT_lS2_lS3_liPT4_,"axG",@progbits,_ZL28rocblas_dot_batched_4_kernelIlLi32ELi4ELb1EDF16_fPKDF16_EviT5_lT_lS2_lS3_liPT4_,comdat
.Lfunc_end289:
	.size	_ZL28rocblas_dot_batched_4_kernelIlLi32ELi4ELb1EDF16_fPKDF16_EviT5_lT_lS2_lS3_liPT4_, .Lfunc_end289-_ZL28rocblas_dot_batched_4_kernelIlLi32ELi4ELb1EDF16_fPKDF16_EviT5_lT_lS2_lS3_liPT4_
                                        ; -- End function
	.section	.AMDGPU.csdata,"",@progbits
; Kernel info:
; codeLenInByte = 724
; NumSgprs: 28
; NumVgprs: 13
; NumAgprs: 0
; TotalNumVgprs: 13
; ScratchSize: 0
; MemoryBound: 0
; FloatMode: 240
; IeeeMode: 1
; LDSByteSize: 0 bytes/workgroup (compile time only)
; SGPRBlocks: 3
; VGPRBlocks: 1
; NumSGPRsForWavesPerEU: 28
; NumVGPRsForWavesPerEU: 13
; AccumOffset: 16
; Occupancy: 8
; WaveLimiterHint : 0
; COMPUTE_PGM_RSRC2:SCRATCH_EN: 0
; COMPUTE_PGM_RSRC2:USER_SGPR: 6
; COMPUTE_PGM_RSRC2:TRAP_HANDLER: 0
; COMPUTE_PGM_RSRC2:TGID_X_EN: 1
; COMPUTE_PGM_RSRC2:TGID_Y_EN: 0
; COMPUTE_PGM_RSRC2:TGID_Z_EN: 0
; COMPUTE_PGM_RSRC2:TIDIG_COMP_CNT: 1
; COMPUTE_PGM_RSRC3_GFX90A:ACCUM_OFFSET: 3
; COMPUTE_PGM_RSRC3_GFX90A:TG_SPLIT: 0
	.section	.text._ZL28rocblas_dot_batched_4_kernelIlLi64ELi4ELb1EDF16_fPKDF16_EviT5_lT_lS2_lS3_liPT4_,"axG",@progbits,_ZL28rocblas_dot_batched_4_kernelIlLi64ELi4ELb1EDF16_fPKDF16_EviT5_lT_lS2_lS3_liPT4_,comdat
	.globl	_ZL28rocblas_dot_batched_4_kernelIlLi64ELi4ELb1EDF16_fPKDF16_EviT5_lT_lS2_lS3_liPT4_ ; -- Begin function _ZL28rocblas_dot_batched_4_kernelIlLi64ELi4ELb1EDF16_fPKDF16_EviT5_lT_lS2_lS3_liPT4_
	.p2align	8
	.type	_ZL28rocblas_dot_batched_4_kernelIlLi64ELi4ELb1EDF16_fPKDF16_EviT5_lT_lS2_lS3_liPT4_,@function
_ZL28rocblas_dot_batched_4_kernelIlLi64ELi4ELb1EDF16_fPKDF16_EviT5_lT_lS2_lS3_liPT4_: ; @_ZL28rocblas_dot_batched_4_kernelIlLi64ELi4ELb1EDF16_fPKDF16_EviT5_lT_lS2_lS3_liPT4_
; %bb.0:
	s_load_dword s0, s[4:5], 0x48
	v_bfe_u32 v1, v0, 10, 10
	v_lshl_add_u32 v2, s6, 2, v1
	s_waitcnt lgkmcnt(0)
	v_cmp_gt_u32_e32 vcc, s0, v2
	s_and_saveexec_b64 s[0:1], vcc
	s_cbranch_execz .LBB290_7
; %bb.1:
	s_load_dword s16, s[4:5], 0x0
	s_load_dwordx2 s[0:1], s[4:5], 0x50
	v_mov_b32_e32 v3, 0
	v_and_b32_e32 v6, 0x3ff, v0
	v_mov_b32_e32 v7, v3
	s_waitcnt lgkmcnt(0)
	v_cmp_gt_i32_e32 vcc, s16, v6
	s_and_saveexec_b64 s[2:3], vcc
	s_cbranch_execz .LBB290_5
; %bb.2:
	s_load_dwordx4 s[20:23], s[4:5], 0x10
	s_load_dwordx2 s[6:7], s[4:5], 0x8
	s_load_dwordx8 s[8:15], s[4:5], 0x20
	s_load_dwordx2 s[18:19], s[4:5], 0x40
	s_waitcnt lgkmcnt(0)
	v_mad_u64_u32 v[0:1], s[4:5], s22, v6, 0
	v_mov_b32_e32 v4, v1
	v_mad_u64_u32 v[4:5], s[4:5], s23, v6, v[4:5]
	v_mov_b32_e32 v1, v4
	;; [unrolled: 2-line block ×4, first 2 shown]
	v_lshlrev_b64 v[0:1], 1, v[0:1]
	v_lshlrev_b64 v[4:5], 1, v[4:5]
	s_lshl_b64 s[4:5], s[20:21], 1
	v_add_co_u32_e32 v0, vcc, v0, v4
	s_add_u32 s4, s6, s4
	v_addc_co_u32_e32 v1, vcc, v1, v5, vcc
	s_addc_u32 s5, s7, s5
	v_mov_b32_e32 v4, s5
	v_add_co_u32_e32 v0, vcc, s4, v0
	v_addc_co_u32_e32 v1, vcc, v4, v1, vcc
	v_mad_u64_u32 v[4:5], s[6:7], s14, v6, 0
	v_mov_b32_e32 v8, v5
	v_mad_u64_u32 v[8:9], s[6:7], s15, v6, v[8:9]
	v_mov_b32_e32 v5, v8
	;; [unrolled: 2-line block ×4, first 2 shown]
	s_lshl_b64 s[4:5], s[22:23], 7
	v_lshlrev_b64 v[4:5], 1, v[4:5]
	v_lshlrev_b64 v[8:9], 1, v[8:9]
	s_lshl_b64 s[6:7], s[12:13], 1
	v_add_co_u32_e32 v4, vcc, v4, v8
	s_add_u32 s6, s10, s6
	v_addc_co_u32_e32 v5, vcc, v5, v9, vcc
	s_addc_u32 s7, s11, s7
	v_mov_b32_e32 v7, s7
	v_add_co_u32_e32 v4, vcc, s6, v4
	s_lshl_b64 s[8:9], s[14:15], 7
	v_addc_co_u32_e32 v5, vcc, v7, v5, vcc
	s_mov_b64 s[6:7], 0
	v_mov_b32_e32 v7, 0
	v_mov_b32_e32 v8, s5
	;; [unrolled: 1-line block ×4, first 2 shown]
.LBB290_3:                              ; =>This Inner Loop Header: Depth=1
	global_load_ushort v11, v[0:1], off
	global_load_ushort v12, v[4:5], off
	v_add_co_u32_e32 v0, vcc, s4, v0
	v_addc_co_u32_e32 v1, vcc, v1, v8, vcc
	v_add_co_u32_e32 v4, vcc, s8, v4
	v_add_u32_e32 v10, 64, v10
	v_addc_co_u32_e32 v5, vcc, v5, v9, vcc
	v_cmp_le_i32_e32 vcc, s16, v10
	s_or_b64 s[6:7], vcc, s[6:7]
	s_waitcnt vmcnt(0)
	v_fma_f16 v7, v11, v12, v7
	s_andn2_b64 exec, exec, s[6:7]
	s_cbranch_execnz .LBB290_3
; %bb.4:
	s_or_b64 exec, exec, s[6:7]
.LBB290_5:
	s_or_b64 exec, exec, s[2:3]
	v_mbcnt_lo_u32_b32 v0, -1, 0
	v_mbcnt_hi_u32_b32 v1, -1, v0
	v_and_b32_e32 v4, 63, v1
	v_cmp_gt_u32_e32 vcc, 32, v4
	v_cndmask_b32_e64 v5, 0, 1, vcc
	v_lshlrev_b32_e32 v5, 5, v5
	v_and_b32_e32 v0, 0xffff, v7
	v_add_lshl_u32 v5, v5, v1, 2
	ds_bpermute_b32 v0, v5, v0
	v_cmp_gt_u32_e32 vcc, 48, v4
	s_mov_b32 s2, 0xffff0000
	s_waitcnt lgkmcnt(0)
	s_barrier
	v_add_f16_e32 v5, v7, v0
	v_cndmask_b32_e64 v7, 0, 1, vcc
	v_lshlrev_b32_e32 v7, 4, v7
	v_and_or_b32 v0, v0, s2, v5
	v_add_lshl_u32 v7, v7, v1, 2
	ds_bpermute_b32 v0, v7, v0
	v_cmp_gt_u32_e32 vcc, 56, v4
	v_cndmask_b32_e64 v7, 0, 1, vcc
	v_lshlrev_b32_e32 v7, 3, v7
	v_add_lshl_u32 v7, v7, v1, 2
	s_waitcnt lgkmcnt(0)
	v_add_f16_e32 v5, v5, v0
	v_and_or_b32 v0, v0, s2, v5
	ds_bpermute_b32 v0, v7, v0
	v_cmp_gt_u32_e32 vcc, 60, v4
	v_cndmask_b32_e64 v7, 0, 1, vcc
	v_lshlrev_b32_e32 v7, 2, v7
	v_add_lshl_u32 v7, v7, v1, 2
	s_waitcnt lgkmcnt(0)
	v_add_f16_e32 v5, v5, v0
	v_and_or_b32 v0, v0, s2, v5
	;; [unrolled: 8-line block ×3, first 2 shown]
	ds_bpermute_b32 v7, v7, v0
	v_cmp_ne_u32_e32 vcc, 63, v4
	v_addc_co_u32_e32 v1, vcc, 0, v1, vcc
	v_lshlrev_b32_e32 v1, 2, v1
	s_waitcnt lgkmcnt(0)
	v_add_f16_e32 v0, v5, v7
	v_and_or_b32 v5, v7, s2, v0
	ds_bpermute_b32 v1, v1, v5
	v_cmp_eq_u32_e32 vcc, 0, v6
	s_waitcnt lgkmcnt(0)
	s_and_b64 exec, exec, vcc
	s_cbranch_execz .LBB290_7
; %bb.6:
	v_add_f16_e32 v0, v0, v1
	v_cvt_f32_f16_e32 v5, v0
	v_lshlrev_b64 v[2:3], 2, v[2:3]
	v_mov_b32_e32 v4, s1
	v_add_co_u32_e32 v0, vcc, s0, v2
	v_addc_co_u32_e32 v1, vcc, v4, v3, vcc
	global_store_dword v[0:1], v5, off
.LBB290_7:
	s_endpgm
	.section	.rodata,"a",@progbits
	.p2align	6, 0x0
	.amdhsa_kernel _ZL28rocblas_dot_batched_4_kernelIlLi64ELi4ELb1EDF16_fPKDF16_EviT5_lT_lS2_lS3_liPT4_
		.amdhsa_group_segment_fixed_size 0
		.amdhsa_private_segment_fixed_size 0
		.amdhsa_kernarg_size 88
		.amdhsa_user_sgpr_count 6
		.amdhsa_user_sgpr_private_segment_buffer 1
		.amdhsa_user_sgpr_dispatch_ptr 0
		.amdhsa_user_sgpr_queue_ptr 0
		.amdhsa_user_sgpr_kernarg_segment_ptr 1
		.amdhsa_user_sgpr_dispatch_id 0
		.amdhsa_user_sgpr_flat_scratch_init 0
		.amdhsa_user_sgpr_kernarg_preload_length 0
		.amdhsa_user_sgpr_kernarg_preload_offset 0
		.amdhsa_user_sgpr_private_segment_size 0
		.amdhsa_uses_dynamic_stack 0
		.amdhsa_system_sgpr_private_segment_wavefront_offset 0
		.amdhsa_system_sgpr_workgroup_id_x 1
		.amdhsa_system_sgpr_workgroup_id_y 0
		.amdhsa_system_sgpr_workgroup_id_z 0
		.amdhsa_system_sgpr_workgroup_info 0
		.amdhsa_system_vgpr_workitem_id 1
		.amdhsa_next_free_vgpr 13
		.amdhsa_next_free_sgpr 24
		.amdhsa_accum_offset 16
		.amdhsa_reserve_vcc 1
		.amdhsa_reserve_flat_scratch 0
		.amdhsa_float_round_mode_32 0
		.amdhsa_float_round_mode_16_64 0
		.amdhsa_float_denorm_mode_32 3
		.amdhsa_float_denorm_mode_16_64 3
		.amdhsa_dx10_clamp 1
		.amdhsa_ieee_mode 1
		.amdhsa_fp16_overflow 0
		.amdhsa_tg_split 0
		.amdhsa_exception_fp_ieee_invalid_op 0
		.amdhsa_exception_fp_denorm_src 0
		.amdhsa_exception_fp_ieee_div_zero 0
		.amdhsa_exception_fp_ieee_overflow 0
		.amdhsa_exception_fp_ieee_underflow 0
		.amdhsa_exception_fp_ieee_inexact 0
		.amdhsa_exception_int_div_zero 0
	.end_amdhsa_kernel
	.section	.text._ZL28rocblas_dot_batched_4_kernelIlLi64ELi4ELb1EDF16_fPKDF16_EviT5_lT_lS2_lS3_liPT4_,"axG",@progbits,_ZL28rocblas_dot_batched_4_kernelIlLi64ELi4ELb1EDF16_fPKDF16_EviT5_lT_lS2_lS3_liPT4_,comdat
.Lfunc_end290:
	.size	_ZL28rocblas_dot_batched_4_kernelIlLi64ELi4ELb1EDF16_fPKDF16_EviT5_lT_lS2_lS3_liPT4_, .Lfunc_end290-_ZL28rocblas_dot_batched_4_kernelIlLi64ELi4ELb1EDF16_fPKDF16_EviT5_lT_lS2_lS3_liPT4_
                                        ; -- End function
	.section	.AMDGPU.csdata,"",@progbits
; Kernel info:
; codeLenInByte = 772
; NumSgprs: 28
; NumVgprs: 13
; NumAgprs: 0
; TotalNumVgprs: 13
; ScratchSize: 0
; MemoryBound: 0
; FloatMode: 240
; IeeeMode: 1
; LDSByteSize: 0 bytes/workgroup (compile time only)
; SGPRBlocks: 3
; VGPRBlocks: 1
; NumSGPRsForWavesPerEU: 28
; NumVGPRsForWavesPerEU: 13
; AccumOffset: 16
; Occupancy: 8
; WaveLimiterHint : 0
; COMPUTE_PGM_RSRC2:SCRATCH_EN: 0
; COMPUTE_PGM_RSRC2:USER_SGPR: 6
; COMPUTE_PGM_RSRC2:TRAP_HANDLER: 0
; COMPUTE_PGM_RSRC2:TGID_X_EN: 1
; COMPUTE_PGM_RSRC2:TGID_Y_EN: 0
; COMPUTE_PGM_RSRC2:TGID_Z_EN: 0
; COMPUTE_PGM_RSRC2:TIDIG_COMP_CNT: 1
; COMPUTE_PGM_RSRC3_GFX90A:ACCUM_OFFSET: 3
; COMPUTE_PGM_RSRC3_GFX90A:TG_SPLIT: 0
	.section	.text._ZL26rocblas_dot_kernel_inc1by2ILb1ELi1024ELi32ELb1EfPKDF16_DF16_EviT4_llS2_lliPT5_PT3_,"axG",@progbits,_ZL26rocblas_dot_kernel_inc1by2ILb1ELi1024ELi32ELb1EfPKDF16_DF16_EviT4_llS2_lliPT5_PT3_,comdat
	.globl	_ZL26rocblas_dot_kernel_inc1by2ILb1ELi1024ELi32ELb1EfPKDF16_DF16_EviT4_llS2_lliPT5_PT3_ ; -- Begin function _ZL26rocblas_dot_kernel_inc1by2ILb1ELi1024ELi32ELb1EfPKDF16_DF16_EviT4_llS2_lliPT5_PT3_
	.p2align	8
	.type	_ZL26rocblas_dot_kernel_inc1by2ILb1ELi1024ELi32ELb1EfPKDF16_DF16_EviT4_llS2_lliPT5_PT3_,@function
_ZL26rocblas_dot_kernel_inc1by2ILb1ELi1024ELi32ELb1EfPKDF16_DF16_EviT4_llS2_lliPT5_PT3_: ; @_ZL26rocblas_dot_kernel_inc1by2ILb1ELi1024ELi32ELb1EfPKDF16_DF16_EviT4_llS2_lliPT5_PT3_
; %bb.0:
	s_mov_b32 s2, s7
	s_load_dword s24, s[4:5], 0x0
	s_load_dwordx2 s[18:19], s[4:5], 0x8
	s_load_dwordx4 s[12:15], s[4:5], 0x10
	s_load_dwordx2 s[16:17], s[4:5], 0x20
	s_load_dwordx2 s[6:7], s[4:5], 0x48
	s_load_dwordx4 s[8:11], s[4:5], 0x28
	v_lshlrev_b32_e32 v6, 1, v0
	s_waitcnt lgkmcnt(0)
	s_mul_i32 s0, s2, s15
	s_mul_hi_u32 s1, s2, s14
	s_add_i32 s15, s1, s0
	s_mul_i32 s0, s2, s11
	s_mul_hi_u32 s1, s2, s10
	s_add_i32 s4, s24, -1
	s_mov_b32 s3, 0
	s_mul_i32 s14, s2, s14
	s_add_i32 s11, s1, s0
	s_mul_i32 s10, s2, s10
	v_cmp_gt_i32_e32 vcc, s4, v6
	v_mov_b32_e32 v1, 0
	s_and_saveexec_b64 s[20:21], vcc
	s_cbranch_execz .LBB291_4
; %bb.1:
	s_lshl_b64 s[0:1], s[10:11], 1
	s_lshl_b64 s[22:23], s[8:9], 1
	s_add_u32 s5, s16, s22
	s_addc_u32 s22, s17, s23
	s_add_u32 s0, s5, s0
	v_lshlrev_b32_e32 v4, 2, v0
	s_addc_u32 s1, s22, s1
	v_mov_b32_e32 v3, s1
	v_add_co_u32_e32 v2, vcc, s0, v4
	s_lshl_b64 s[0:1], s[14:15], 1
	s_lshl_b64 s[22:23], s[12:13], 1
	s_add_u32 s5, s18, s22
	s_addc_u32 s22, s19, s23
	s_add_u32 s0, s5, s0
	v_addc_co_u32_e32 v3, vcc, 0, v3, vcc
	s_addc_u32 s1, s22, s1
	v_mov_b32_e32 v5, s1
	v_add_co_u32_e32 v4, vcc, s0, v4
	v_mov_b32_e32 v1, 0
	v_addc_co_u32_e32 v5, vcc, 0, v5, vcc
	s_mov_b64 s[22:23], 0
	s_mov_b32 s5, s3
.LBB291_2:                              ; =>This Inner Loop Header: Depth=1
	global_load_dword v7, v[2:3], off
	global_load_dword v8, v[4:5], off
	s_add_i32 s25, s5, 1
	v_add_u32_e32 v6, 0x800, v6
	s_cmp_gt_u32 s5, 30
	v_add_co_u32_e32 v2, vcc, 0x1000, v2
	v_cmp_le_i32_e64 s[0:1], s4, v6
	s_cselect_b64 s[26:27], -1, 0
	v_addc_co_u32_e32 v3, vcc, 0, v3, vcc
	s_or_b64 s[0:1], s[26:27], s[0:1]
	v_add_co_u32_e32 v4, vcc, 0x1000, v4
	s_and_b64 s[0:1], exec, s[0:1]
	s_mov_b32 s5, s25
	v_addc_co_u32_e32 v5, vcc, 0, v5, vcc
	s_or_b64 s[22:23], s[0:1], s[22:23]
	s_waitcnt vmcnt(0)
	v_pk_mul_f16 v7, v7, v8
	v_add_f16_e32 v1, v1, v7
	v_add_f16_sdwa v1, v1, v7 dst_sel:DWORD dst_unused:UNUSED_PAD src0_sel:DWORD src1_sel:WORD_1
	s_andn2_b64 exec, exec, s[22:23]
	s_cbranch_execnz .LBB291_2
; %bb.3:
	s_or_b64 exec, exec, s[22:23]
.LBB291_4:
	s_or_b64 exec, exec, s[20:21]
	s_bitcmp1_b32 s24, 0
	s_cselect_b64 s[0:1], -1, 0
	v_cmp_eq_u32_e32 vcc, s4, v6
	s_and_b64 s[20:21], s[0:1], vcc
	s_and_saveexec_b64 s[0:1], s[20:21]
	s_cbranch_execz .LBB291_6
; %bb.5:
	s_lshl_b64 s[14:15], s[14:15], 1
	s_add_u32 s5, s18, s14
	s_addc_u32 s14, s19, s15
	s_lshl_b64 s[12:13], s[12:13], 1
	s_add_u32 s12, s5, s12
	s_addc_u32 s13, s14, s13
	;; [unrolled: 3-line block ×3, first 2 shown]
	s_lshl_b64 s[8:9], s[8:9], 1
	s_add_u32 s11, s5, s8
	s_mov_b32 s5, 0
	s_addc_u32 s10, s10, s9
	s_lshl_b64 s[4:5], s[4:5], 1
	s_add_u32 s8, s12, s4
	s_addc_u32 s9, s13, s5
	s_add_u32 s4, s11, s4
	v_mov_b32_e32 v2, 0
	s_addc_u32 s5, s10, s5
	global_load_ushort v3, v2, s[4:5]
	global_load_ushort v4, v2, s[8:9]
	s_waitcnt vmcnt(0)
	v_fma_f16 v1, v3, v4, v1
.LBB291_6:
	s_or_b64 exec, exec, s[0:1]
	v_and_b32_e32 v3, 63, v0
	v_cmp_gt_u32_e32 vcc, 64, v0
	v_lshlrev_b32_e32 v2, 1, v3
	s_and_saveexec_b64 s[0:1], vcc
	s_cbranch_execz .LBB291_8
; %bb.7:
	v_mov_b32_e32 v4, 0
	ds_write_b16 v2, v4
.LBB291_8:
	s_or_b64 exec, exec, s[0:1]
	v_mbcnt_lo_u32_b32 v4, -1, 0
	v_mbcnt_hi_u32_b32 v6, -1, v4
	v_and_b32_e32 v8, 63, v6
	v_cmp_gt_u32_e64 s[0:1], 32, v8
	v_cndmask_b32_e64 v5, 0, 1, s[0:1]
	v_lshlrev_b32_e32 v5, 5, v5
	v_and_b32_e32 v4, 0xffff, v1
	v_add_lshl_u32 v5, v5, v6, 2
	ds_bpermute_b32 v4, v5, v4
	v_cmp_gt_u32_e64 s[0:1], 48, v8
	v_cndmask_b32_e64 v5, 0, 1, s[0:1]
	s_mov_b32 s4, 0xffff0000
	v_lshlrev_b32_e32 v5, 4, v5
	s_waitcnt lgkmcnt(0)
	v_add_f16_e32 v1, v1, v4
	v_and_or_b32 v4, v4, s4, v1
	v_add_lshl_u32 v5, v5, v6, 2
	ds_bpermute_b32 v4, v5, v4
	v_cmp_gt_u32_e64 s[0:1], 56, v8
	s_waitcnt lgkmcnt(0)
	s_barrier
	v_add_f16_e32 v5, v1, v4
	v_cndmask_b32_e64 v1, 0, 1, s[0:1]
	v_lshlrev_b32_e32 v1, 3, v1
	v_and_or_b32 v4, v4, s4, v5
	v_add_lshl_u32 v1, v1, v6, 2
	ds_bpermute_b32 v4, v1, v4
	v_cmp_gt_u32_e64 s[0:1], 60, v8
	s_waitcnt lgkmcnt(0)
	v_add_f16_e32 v5, v5, v4
	v_and_or_b32 v7, v4, s4, v5
	v_cndmask_b32_e64 v4, 0, 1, s[0:1]
	v_lshlrev_b32_e32 v4, 2, v4
	v_add_lshl_u32 v4, v4, v6, 2
	ds_bpermute_b32 v7, v4, v7
	v_cmp_gt_u32_e64 s[0:1], 62, v8
	s_waitcnt lgkmcnt(0)
	v_add_f16_e32 v9, v5, v7
	v_cndmask_b32_e64 v5, 0, 1, s[0:1]
	v_lshlrev_b32_e32 v5, 1, v5
	v_and_or_b32 v7, v7, s4, v9
	v_add_lshl_u32 v5, v5, v6, 2
	ds_bpermute_b32 v10, v5, v7
	v_cmp_ne_u32_e64 s[0:1], 63, v8
	v_addc_co_u32_e64 v6, s[0:1], 0, v6, s[0:1]
	v_lshlrev_b32_e32 v6, 2, v6
	s_waitcnt lgkmcnt(0)
	v_add_f16_e32 v7, v9, v10
	v_and_or_b32 v9, v10, s4, v7
	ds_bpermute_b32 v8, v6, v9
	v_cmp_eq_u32_e64 s[0:1], 0, v3
	s_and_saveexec_b64 s[4:5], s[0:1]
	s_cbranch_execz .LBB291_10
; %bb.9:
	s_waitcnt lgkmcnt(0)
	v_add_f16_e32 v3, v7, v8
	v_lshrrev_b32_e32 v7, 5, v0
	v_and_b32_e32 v7, 30, v7
	ds_write_b16 v7, v3
.LBB291_10:
	s_or_b64 exec, exec, s[4:5]
	v_cmp_gt_u32_e64 s[0:1], 16, v0
	v_mov_b32_e32 v3, 0
	s_waitcnt lgkmcnt(0)
	s_barrier
	s_and_saveexec_b64 s[4:5], s[0:1]
	s_cbranch_execnz .LBB291_14
; %bb.11:
	s_or_b64 exec, exec, s[4:5]
	s_and_saveexec_b64 s[0:1], vcc
	s_cbranch_execnz .LBB291_15
.LBB291_12:
	s_or_b64 exec, exec, s[0:1]
	v_cmp_eq_u32_e32 vcc, 0, v0
	s_and_saveexec_b64 s[0:1], vcc
	s_cbranch_execnz .LBB291_16
.LBB291_13:
	s_endpgm
.LBB291_14:
	ds_read_u16 v3, v2
	s_or_b64 exec, exec, s[4:5]
	s_and_saveexec_b64 s[0:1], vcc
	s_cbranch_execz .LBB291_12
.LBB291_15:
	s_waitcnt lgkmcnt(0)
	v_and_b32_e32 v2, 0xffff, v3
	ds_bpermute_b32 v1, v1, v2
	s_mov_b32 s4, 0xffff0000
	s_waitcnt lgkmcnt(0)
	v_add_f16_e32 v2, v3, v1
	v_and_or_b32 v1, v1, s4, v2
	ds_bpermute_b32 v1, v4, v1
	s_waitcnt lgkmcnt(0)
	v_add_f16_e32 v2, v2, v1
	v_and_or_b32 v1, v1, s4, v2
	ds_bpermute_b32 v1, v5, v1
	;; [unrolled: 4-line block ×3, first 2 shown]
	s_waitcnt lgkmcnt(0)
	v_add_f16_e32 v3, v2, v1
	s_or_b64 exec, exec, s[0:1]
	v_cmp_eq_u32_e32 vcc, 0, v0
	s_and_saveexec_b64 s[0:1], vcc
	s_cbranch_execz .LBB291_13
.LBB291_16:
	s_waitcnt lgkmcnt(0)
	v_cvt_f32_f16_e32 v0, v3
	s_lshl_b64 s[0:1], s[2:3], 2
	s_add_u32 s0, s6, s0
	s_addc_u32 s1, s7, s1
	v_mov_b32_e32 v1, 0
	global_store_dword v1, v0, s[0:1]
	s_endpgm
	.section	.rodata,"a",@progbits
	.p2align	6, 0x0
	.amdhsa_kernel _ZL26rocblas_dot_kernel_inc1by2ILb1ELi1024ELi32ELb1EfPKDF16_DF16_EviT4_llS2_lliPT5_PT3_
		.amdhsa_group_segment_fixed_size 128
		.amdhsa_private_segment_fixed_size 0
		.amdhsa_kernarg_size 80
		.amdhsa_user_sgpr_count 6
		.amdhsa_user_sgpr_private_segment_buffer 1
		.amdhsa_user_sgpr_dispatch_ptr 0
		.amdhsa_user_sgpr_queue_ptr 0
		.amdhsa_user_sgpr_kernarg_segment_ptr 1
		.amdhsa_user_sgpr_dispatch_id 0
		.amdhsa_user_sgpr_flat_scratch_init 0
		.amdhsa_user_sgpr_kernarg_preload_length 0
		.amdhsa_user_sgpr_kernarg_preload_offset 0
		.amdhsa_user_sgpr_private_segment_size 0
		.amdhsa_uses_dynamic_stack 0
		.amdhsa_system_sgpr_private_segment_wavefront_offset 0
		.amdhsa_system_sgpr_workgroup_id_x 1
		.amdhsa_system_sgpr_workgroup_id_y 0
		.amdhsa_system_sgpr_workgroup_id_z 1
		.amdhsa_system_sgpr_workgroup_info 0
		.amdhsa_system_vgpr_workitem_id 0
		.amdhsa_next_free_vgpr 11
		.amdhsa_next_free_sgpr 28
		.amdhsa_accum_offset 12
		.amdhsa_reserve_vcc 1
		.amdhsa_reserve_flat_scratch 0
		.amdhsa_float_round_mode_32 0
		.amdhsa_float_round_mode_16_64 0
		.amdhsa_float_denorm_mode_32 3
		.amdhsa_float_denorm_mode_16_64 3
		.amdhsa_dx10_clamp 1
		.amdhsa_ieee_mode 1
		.amdhsa_fp16_overflow 0
		.amdhsa_tg_split 0
		.amdhsa_exception_fp_ieee_invalid_op 0
		.amdhsa_exception_fp_denorm_src 0
		.amdhsa_exception_fp_ieee_div_zero 0
		.amdhsa_exception_fp_ieee_overflow 0
		.amdhsa_exception_fp_ieee_underflow 0
		.amdhsa_exception_fp_ieee_inexact 0
		.amdhsa_exception_int_div_zero 0
	.end_amdhsa_kernel
	.section	.text._ZL26rocblas_dot_kernel_inc1by2ILb1ELi1024ELi32ELb1EfPKDF16_DF16_EviT4_llS2_lliPT5_PT3_,"axG",@progbits,_ZL26rocblas_dot_kernel_inc1by2ILb1ELi1024ELi32ELb1EfPKDF16_DF16_EviT4_llS2_lliPT5_PT3_,comdat
.Lfunc_end291:
	.size	_ZL26rocblas_dot_kernel_inc1by2ILb1ELi1024ELi32ELb1EfPKDF16_DF16_EviT4_llS2_lliPT5_PT3_, .Lfunc_end291-_ZL26rocblas_dot_kernel_inc1by2ILb1ELi1024ELi32ELb1EfPKDF16_DF16_EviT4_llS2_lliPT5_PT3_
                                        ; -- End function
	.section	.AMDGPU.csdata,"",@progbits
; Kernel info:
; codeLenInByte = 1108
; NumSgprs: 32
; NumVgprs: 11
; NumAgprs: 0
; TotalNumVgprs: 11
; ScratchSize: 0
; MemoryBound: 0
; FloatMode: 240
; IeeeMode: 1
; LDSByteSize: 128 bytes/workgroup (compile time only)
; SGPRBlocks: 3
; VGPRBlocks: 1
; NumSGPRsForWavesPerEU: 32
; NumVGPRsForWavesPerEU: 11
; AccumOffset: 12
; Occupancy: 8
; WaveLimiterHint : 0
; COMPUTE_PGM_RSRC2:SCRATCH_EN: 0
; COMPUTE_PGM_RSRC2:USER_SGPR: 6
; COMPUTE_PGM_RSRC2:TRAP_HANDLER: 0
; COMPUTE_PGM_RSRC2:TGID_X_EN: 1
; COMPUTE_PGM_RSRC2:TGID_Y_EN: 0
; COMPUTE_PGM_RSRC2:TGID_Z_EN: 1
; COMPUTE_PGM_RSRC2:TIDIG_COMP_CNT: 0
; COMPUTE_PGM_RSRC3_GFX90A:ACCUM_OFFSET: 2
; COMPUTE_PGM_RSRC3_GFX90A:TG_SPLIT: 0
	.section	.text._ZL18rocblas_dot_kernelIlLb1ELi1024ELi32ELb1EfPKDF16_DF16_EviT5_lT_lS2_lS3_liPT6_PT4_,"axG",@progbits,_ZL18rocblas_dot_kernelIlLb1ELi1024ELi32ELb1EfPKDF16_DF16_EviT5_lT_lS2_lS3_liPT6_PT4_,comdat
	.globl	_ZL18rocblas_dot_kernelIlLb1ELi1024ELi32ELb1EfPKDF16_DF16_EviT5_lT_lS2_lS3_liPT6_PT4_ ; -- Begin function _ZL18rocblas_dot_kernelIlLb1ELi1024ELi32ELb1EfPKDF16_DF16_EviT5_lT_lS2_lS3_liPT6_PT4_
	.p2align	8
	.type	_ZL18rocblas_dot_kernelIlLb1ELi1024ELi32ELb1EfPKDF16_DF16_EviT5_lT_lS2_lS3_liPT6_PT4_,@function
_ZL18rocblas_dot_kernelIlLb1ELi1024ELi32ELb1EfPKDF16_DF16_EviT5_lT_lS2_lS3_liPT6_PT4_: ; @_ZL18rocblas_dot_kernelIlLb1ELi1024ELi32ELb1EfPKDF16_DF16_EviT5_lT_lS2_lS3_liPT6_PT4_
; %bb.0:
	s_mov_b32 s2, s7
	s_load_dword s18, s[4:5], 0x0
	s_load_dwordx2 s[6:7], s[4:5], 0x58
	s_mov_b32 s3, 0
	v_mov_b32_e32 v6, 0
	s_waitcnt lgkmcnt(0)
	v_cmp_gt_i32_e32 vcc, s18, v0
	s_and_saveexec_b64 s[16:17], vcc
	s_cbranch_execz .LBB292_4
; %bb.1:
	s_load_dword s19, s[4:5], 0x60
	s_load_dwordx2 s[0:1], s[4:5], 0x40
	s_load_dwordx8 s[8:15], s[4:5], 0x20
	s_load_dwordx2 s[24:25], s[4:5], 0x8
	s_load_dwordx4 s[20:23], s[4:5], 0x10
	s_waitcnt lgkmcnt(0)
	s_lshl_b32 s19, s19, 10
	s_mul_i32 s1, s1, s2
	s_mul_i32 s4, s9, s2
	s_mul_hi_u32 s5, s8, s2
	s_add_i32 s5, s5, s4
	s_mul_i32 s4, s8, s2
	v_mad_u64_u32 v[2:3], s[8:9], s22, v0, 0
	v_mov_b32_e32 v4, v3
	v_mad_u64_u32 v[4:5], s[8:9], s23, v0, v[4:5]
	s_lshl_b64 s[4:5], s[4:5], 1
	s_lshl_b64 s[8:9], s[20:21], 1
	s_add_u32 s8, s24, s8
	s_addc_u32 s9, s25, s9
	v_mov_b32_e32 v3, v4
	s_add_u32 s4, s8, s4
	v_lshlrev_b64 v[2:3], 1, v[2:3]
	s_addc_u32 s5, s9, s5
	v_mov_b32_e32 v4, s5
	v_add_co_u32_e32 v2, vcc, s4, v2
	s_ashr_i32 s20, s19, 31
	s_mul_hi_u32 s8, s0, s2
	v_addc_co_u32_e32 v3, vcc, v4, v3, vcc
	s_mul_i32 s4, s22, s20
	s_mul_hi_u32 s5, s22, s19
	s_add_i32 s1, s8, s1
	v_mad_u64_u32 v[4:5], s[8:9], s14, v0, 0
	s_add_i32 s4, s5, s4
	s_mul_i32 s5, s23, s19
	v_mov_b32_e32 v6, v5
	s_add_i32 s5, s4, s5
	s_mul_i32 s4, s22, s19
	s_mul_i32 s0, s0, s2
	v_mad_u64_u32 v[6:7], s[8:9], s15, v0, v[6:7]
	s_lshl_b64 s[4:5], s[4:5], 1
	s_lshl_b64 s[0:1], s[0:1], 1
	;; [unrolled: 1-line block ×3, first 2 shown]
	s_add_u32 s8, s10, s8
	s_addc_u32 s9, s11, s9
	v_mov_b32_e32 v5, v6
	s_add_u32 s0, s8, s0
	v_lshlrev_b64 v[4:5], 1, v[4:5]
	s_addc_u32 s1, s9, s1
	v_mov_b32_e32 v6, s1
	v_add_co_u32_e32 v4, vcc, s0, v4
	s_mul_i32 s0, s14, s20
	s_mul_hi_u32 s1, s14, s19
	s_add_i32 s0, s1, s0
	s_mul_i32 s1, s15, s19
	s_add_i32 s1, s0, s1
	s_mul_i32 s0, s14, s19
	s_lshl_b64 s[10:11], s[0:1], 1
	v_or_b32_e32 v1, s19, v0
	v_addc_co_u32_e32 v5, vcc, v6, v5, vcc
	s_mov_b64 s[8:9], 0
	v_mov_b32_e32 v6, 0
	v_mov_b32_e32 v7, s5
	;; [unrolled: 1-line block ×3, first 2 shown]
	s_mov_b32 s5, s3
.LBB292_2:                              ; =>This Inner Loop Header: Depth=1
	global_load_ushort v9, v[4:5], off
	global_load_ushort v10, v[2:3], off
	v_add_co_u32_e64 v2, s[0:1], s4, v2
	v_addc_co_u32_e64 v3, s[0:1], v3, v7, s[0:1]
	s_add_i32 s11, s5, 1
	v_add_co_u32_e64 v4, s[0:1], s10, v4
	v_addc_co_u32_e64 v5, s[0:1], v5, v8, s[0:1]
	s_cmp_gt_u32 s5, 30
	v_cmp_le_i32_e32 vcc, s18, v1
	s_cselect_b64 s[0:1], -1, 0
	s_or_b64 s[0:1], s[0:1], vcc
	s_and_b64 s[0:1], exec, s[0:1]
	v_add_u32_e32 v1, s19, v1
	s_mov_b32 s5, s11
	s_or_b64 s[8:9], s[0:1], s[8:9]
	s_waitcnt vmcnt(0)
	v_fma_f16 v6, v9, v10, v6
	s_andn2_b64 exec, exec, s[8:9]
	s_cbranch_execnz .LBB292_2
; %bb.3:
	s_or_b64 exec, exec, s[8:9]
.LBB292_4:
	s_or_b64 exec, exec, s[16:17]
	v_and_b32_e32 v2, 63, v0
	v_cmp_gt_u32_e32 vcc, 64, v0
	v_lshlrev_b32_e32 v1, 1, v2
	s_and_saveexec_b64 s[0:1], vcc
	s_cbranch_execz .LBB292_6
; %bb.5:
	v_mov_b32_e32 v3, 0
	ds_write_b16 v1, v3
.LBB292_6:
	s_or_b64 exec, exec, s[0:1]
	v_mbcnt_lo_u32_b32 v3, -1, 0
	v_mbcnt_hi_u32_b32 v8, -1, v3
	v_and_b32_e32 v9, 63, v8
	v_cmp_gt_u32_e64 s[0:1], 32, v9
	v_cndmask_b32_e64 v4, 0, 1, s[0:1]
	v_lshlrev_b32_e32 v4, 5, v4
	v_and_b32_e32 v3, 0xffff, v6
	v_add_lshl_u32 v4, v4, v8, 2
	ds_bpermute_b32 v3, v4, v3
	v_cmp_gt_u32_e64 s[0:1], 48, v9
	v_cndmask_b32_e64 v5, 0, 1, s[0:1]
	s_mov_b32 s4, 0xffff0000
	v_lshlrev_b32_e32 v5, 4, v5
	s_waitcnt lgkmcnt(0)
	v_add_f16_e32 v4, v6, v3
	v_and_or_b32 v3, v3, s4, v4
	v_add_lshl_u32 v5, v5, v8, 2
	ds_bpermute_b32 v3, v5, v3
	v_cmp_gt_u32_e64 s[0:1], 56, v9
	s_waitcnt lgkmcnt(0)
	s_barrier
	v_add_f16_e32 v4, v4, v3
	v_and_or_b32 v5, v3, s4, v4
	v_cndmask_b32_e64 v3, 0, 1, s[0:1]
	v_lshlrev_b32_e32 v3, 3, v3
	v_add_lshl_u32 v3, v3, v8, 2
	ds_bpermute_b32 v5, v3, v5
	v_cmp_gt_u32_e64 s[0:1], 60, v9
	s_waitcnt lgkmcnt(0)
	v_add_f16_e32 v6, v4, v5
	v_cndmask_b32_e64 v4, 0, 1, s[0:1]
	v_lshlrev_b32_e32 v4, 2, v4
	v_and_or_b32 v5, v5, s4, v6
	v_add_lshl_u32 v4, v4, v8, 2
	ds_bpermute_b32 v5, v4, v5
	v_cmp_gt_u32_e64 s[0:1], 62, v9
	s_waitcnt lgkmcnt(0)
	v_add_f16_e32 v6, v6, v5
	v_and_or_b32 v7, v5, s4, v6
	v_cndmask_b32_e64 v5, 0, 1, s[0:1]
	v_lshlrev_b32_e32 v5, 1, v5
	v_add_lshl_u32 v5, v5, v8, 2
	ds_bpermute_b32 v10, v5, v7
	v_cmp_ne_u32_e64 s[0:1], 63, v9
	s_waitcnt lgkmcnt(0)
	v_add_f16_e32 v7, v6, v10
	v_addc_co_u32_e64 v6, s[0:1], 0, v8, s[0:1]
	v_and_or_b32 v10, v10, s4, v7
	v_lshlrev_b32_e32 v6, 2, v6
	ds_bpermute_b32 v8, v6, v10
	v_cmp_eq_u32_e64 s[0:1], 0, v2
	s_and_saveexec_b64 s[4:5], s[0:1]
	s_cbranch_execz .LBB292_8
; %bb.7:
	s_waitcnt lgkmcnt(0)
	v_add_f16_e32 v2, v7, v8
	v_lshrrev_b32_e32 v7, 5, v0
	v_and_b32_e32 v7, 30, v7
	ds_write_b16 v7, v2
.LBB292_8:
	s_or_b64 exec, exec, s[4:5]
	v_cmp_gt_u32_e64 s[0:1], 16, v0
	v_mov_b32_e32 v2, 0
	s_waitcnt lgkmcnt(0)
	s_barrier
	s_and_saveexec_b64 s[4:5], s[0:1]
	s_cbranch_execnz .LBB292_12
; %bb.9:
	s_or_b64 exec, exec, s[4:5]
	s_and_saveexec_b64 s[0:1], vcc
	s_cbranch_execnz .LBB292_13
.LBB292_10:
	s_or_b64 exec, exec, s[0:1]
	v_cmp_eq_u32_e32 vcc, 0, v0
	s_and_saveexec_b64 s[0:1], vcc
	s_cbranch_execnz .LBB292_14
.LBB292_11:
	s_endpgm
.LBB292_12:
	ds_read_u16 v2, v1
	s_or_b64 exec, exec, s[4:5]
	s_and_saveexec_b64 s[0:1], vcc
	s_cbranch_execz .LBB292_10
.LBB292_13:
	s_waitcnt lgkmcnt(0)
	v_and_b32_e32 v1, 0xffff, v2
	ds_bpermute_b32 v1, v3, v1
	s_mov_b32 s4, 0xffff0000
	s_waitcnt lgkmcnt(0)
	v_add_f16_e32 v2, v2, v1
	v_and_or_b32 v1, v1, s4, v2
	ds_bpermute_b32 v1, v4, v1
	s_waitcnt lgkmcnt(0)
	v_add_f16_e32 v2, v2, v1
	v_and_or_b32 v1, v1, s4, v2
	ds_bpermute_b32 v1, v5, v1
	;; [unrolled: 4-line block ×3, first 2 shown]
	s_waitcnt lgkmcnt(0)
	v_add_f16_e32 v2, v2, v1
	s_or_b64 exec, exec, s[0:1]
	v_cmp_eq_u32_e32 vcc, 0, v0
	s_and_saveexec_b64 s[0:1], vcc
	s_cbranch_execz .LBB292_11
.LBB292_14:
	s_waitcnt lgkmcnt(0)
	v_cvt_f32_f16_e32 v0, v2
	s_lshl_b64 s[0:1], s[2:3], 2
	s_add_u32 s0, s6, s0
	s_addc_u32 s1, s7, s1
	v_mov_b32_e32 v1, 0
	global_store_dword v1, v0, s[0:1]
	s_endpgm
	.section	.rodata,"a",@progbits
	.p2align	6, 0x0
	.amdhsa_kernel _ZL18rocblas_dot_kernelIlLb1ELi1024ELi32ELb1EfPKDF16_DF16_EviT5_lT_lS2_lS3_liPT6_PT4_
		.amdhsa_group_segment_fixed_size 128
		.amdhsa_private_segment_fixed_size 0
		.amdhsa_kernarg_size 352
		.amdhsa_user_sgpr_count 6
		.amdhsa_user_sgpr_private_segment_buffer 1
		.amdhsa_user_sgpr_dispatch_ptr 0
		.amdhsa_user_sgpr_queue_ptr 0
		.amdhsa_user_sgpr_kernarg_segment_ptr 1
		.amdhsa_user_sgpr_dispatch_id 0
		.amdhsa_user_sgpr_flat_scratch_init 0
		.amdhsa_user_sgpr_kernarg_preload_length 0
		.amdhsa_user_sgpr_kernarg_preload_offset 0
		.amdhsa_user_sgpr_private_segment_size 0
		.amdhsa_uses_dynamic_stack 0
		.amdhsa_system_sgpr_private_segment_wavefront_offset 0
		.amdhsa_system_sgpr_workgroup_id_x 1
		.amdhsa_system_sgpr_workgroup_id_y 0
		.amdhsa_system_sgpr_workgroup_id_z 1
		.amdhsa_system_sgpr_workgroup_info 0
		.amdhsa_system_vgpr_workitem_id 0
		.amdhsa_next_free_vgpr 11
		.amdhsa_next_free_sgpr 26
		.amdhsa_accum_offset 12
		.amdhsa_reserve_vcc 1
		.amdhsa_reserve_flat_scratch 0
		.amdhsa_float_round_mode_32 0
		.amdhsa_float_round_mode_16_64 0
		.amdhsa_float_denorm_mode_32 3
		.amdhsa_float_denorm_mode_16_64 3
		.amdhsa_dx10_clamp 1
		.amdhsa_ieee_mode 1
		.amdhsa_fp16_overflow 0
		.amdhsa_tg_split 0
		.amdhsa_exception_fp_ieee_invalid_op 0
		.amdhsa_exception_fp_denorm_src 0
		.amdhsa_exception_fp_ieee_div_zero 0
		.amdhsa_exception_fp_ieee_overflow 0
		.amdhsa_exception_fp_ieee_underflow 0
		.amdhsa_exception_fp_ieee_inexact 0
		.amdhsa_exception_int_div_zero 0
	.end_amdhsa_kernel
	.section	.text._ZL18rocblas_dot_kernelIlLb1ELi1024ELi32ELb1EfPKDF16_DF16_EviT5_lT_lS2_lS3_liPT6_PT4_,"axG",@progbits,_ZL18rocblas_dot_kernelIlLb1ELi1024ELi32ELb1EfPKDF16_DF16_EviT5_lT_lS2_lS3_liPT6_PT4_,comdat
.Lfunc_end292:
	.size	_ZL18rocblas_dot_kernelIlLb1ELi1024ELi32ELb1EfPKDF16_DF16_EviT5_lT_lS2_lS3_liPT6_PT4_, .Lfunc_end292-_ZL18rocblas_dot_kernelIlLb1ELi1024ELi32ELb1EfPKDF16_DF16_EviT5_lT_lS2_lS3_liPT6_PT4_
                                        ; -- End function
	.section	.AMDGPU.csdata,"",@progbits
; Kernel info:
; codeLenInByte = 1104
; NumSgprs: 30
; NumVgprs: 11
; NumAgprs: 0
; TotalNumVgprs: 11
; ScratchSize: 0
; MemoryBound: 0
; FloatMode: 240
; IeeeMode: 1
; LDSByteSize: 128 bytes/workgroup (compile time only)
; SGPRBlocks: 3
; VGPRBlocks: 1
; NumSGPRsForWavesPerEU: 30
; NumVGPRsForWavesPerEU: 11
; AccumOffset: 12
; Occupancy: 8
; WaveLimiterHint : 0
; COMPUTE_PGM_RSRC2:SCRATCH_EN: 0
; COMPUTE_PGM_RSRC2:USER_SGPR: 6
; COMPUTE_PGM_RSRC2:TRAP_HANDLER: 0
; COMPUTE_PGM_RSRC2:TGID_X_EN: 1
; COMPUTE_PGM_RSRC2:TGID_Y_EN: 0
; COMPUTE_PGM_RSRC2:TGID_Z_EN: 1
; COMPUTE_PGM_RSRC2:TIDIG_COMP_CNT: 0
; COMPUTE_PGM_RSRC3_GFX90A:ACCUM_OFFSET: 2
; COMPUTE_PGM_RSRC3_GFX90A:TG_SPLIT: 0
	.section	.text._ZL24rocblas_dot_kernel_magsqIlLb1ELi1024ELi32ELb1EfPKDF16_DF16_EviT5_lT_liPT6_PT4_,"axG",@progbits,_ZL24rocblas_dot_kernel_magsqIlLb1ELi1024ELi32ELb1EfPKDF16_DF16_EviT5_lT_liPT6_PT4_,comdat
	.globl	_ZL24rocblas_dot_kernel_magsqIlLb1ELi1024ELi32ELb1EfPKDF16_DF16_EviT5_lT_liPT6_PT4_ ; -- Begin function _ZL24rocblas_dot_kernel_magsqIlLb1ELi1024ELi32ELb1EfPKDF16_DF16_EviT5_lT_liPT6_PT4_
	.p2align	8
	.type	_ZL24rocblas_dot_kernel_magsqIlLb1ELi1024ELi32ELb1EfPKDF16_DF16_EviT5_lT_liPT6_PT4_,@function
_ZL24rocblas_dot_kernel_magsqIlLb1ELi1024ELi32ELb1EfPKDF16_DF16_EviT5_lT_liPT6_PT4_: ; @_ZL24rocblas_dot_kernel_magsqIlLb1ELi1024ELi32ELb1EfPKDF16_DF16_EviT5_lT_liPT6_PT4_
; %bb.0:
	s_mov_b32 s2, s7
	s_load_dword s12, s[4:5], 0x0
	s_load_dwordx2 s[6:7], s[4:5], 0x38
	s_mov_b32 s3, 0
	v_mov_b32_e32 v4, 0
	s_waitcnt lgkmcnt(0)
	v_cmp_gt_i32_e32 vcc, s12, v0
	s_and_saveexec_b64 s[8:9], vcc
	s_cbranch_execz .LBB293_4
; %bb.1:
	s_load_dword s13, s[4:5], 0x40
	s_load_dwordx2 s[0:1], s[4:5], 0x20
	s_load_dwordx2 s[10:11], s[4:5], 0x8
	s_load_dwordx4 s[16:19], s[4:5], 0x10
	s_waitcnt lgkmcnt(0)
	s_lshl_b32 s13, s13, 10
	s_mul_i32 s1, s1, s2
	s_mul_hi_u32 s4, s0, s2
	s_add_i32 s1, s4, s1
	v_mad_u64_u32 v[2:3], s[4:5], s18, v0, 0
	v_mov_b32_e32 v4, v3
	s_mul_i32 s0, s0, s2
	v_mad_u64_u32 v[4:5], s[4:5], s19, v0, v[4:5]
	s_lshl_b64 s[0:1], s[0:1], 1
	s_lshl_b64 s[4:5], s[16:17], 1
	s_add_u32 s4, s10, s4
	v_mov_b32_e32 v3, v4
	s_addc_u32 s5, s11, s5
	v_lshlrev_b64 v[2:3], 1, v[2:3]
	s_add_u32 s0, s4, s0
	s_addc_u32 s1, s5, s1
	v_add_co_u32_e32 v2, vcc, s0, v2
	s_ashr_i32 s0, s13, 31
	v_mov_b32_e32 v4, s1
	s_mul_i32 s0, s18, s0
	s_mul_hi_u32 s1, s18, s13
	s_add_i32 s0, s1, s0
	s_mul_i32 s1, s19, s13
	s_add_i32 s1, s0, s1
	s_mul_i32 s0, s18, s13
	s_lshl_b64 s[10:11], s[0:1], 1
	v_or_b32_e32 v1, s13, v0
	v_addc_co_u32_e32 v3, vcc, v4, v3, vcc
	s_mov_b64 s[4:5], 0
	v_mov_b32_e32 v4, 0
	v_mov_b32_e32 v5, s11
	s_mov_b32 s11, s3
.LBB293_2:                              ; =>This Inner Loop Header: Depth=1
	global_load_ushort v6, v[2:3], off
	s_add_i32 s14, s11, 1
	v_add_co_u32_e64 v2, s[0:1], s10, v2
	v_addc_co_u32_e64 v3, s[0:1], v3, v5, s[0:1]
	s_cmp_gt_u32 s11, 30
	v_cmp_le_i32_e32 vcc, s12, v1
	s_cselect_b64 s[0:1], -1, 0
	s_or_b64 s[0:1], s[0:1], vcc
	s_and_b64 s[0:1], exec, s[0:1]
	v_add_u32_e32 v1, s13, v1
	s_mov_b32 s11, s14
	s_or_b64 s[4:5], s[0:1], s[4:5]
	s_waitcnt vmcnt(0)
	v_fma_f16 v4, v6, v6, v4
	s_andn2_b64 exec, exec, s[4:5]
	s_cbranch_execnz .LBB293_2
; %bb.3:
	s_or_b64 exec, exec, s[4:5]
.LBB293_4:
	s_or_b64 exec, exec, s[8:9]
	v_and_b32_e32 v2, 63, v0
	v_cmp_gt_u32_e32 vcc, 64, v0
	v_lshlrev_b32_e32 v1, 1, v2
	s_and_saveexec_b64 s[0:1], vcc
	s_cbranch_execz .LBB293_6
; %bb.5:
	v_mov_b32_e32 v3, 0
	ds_write_b16 v1, v3
.LBB293_6:
	s_or_b64 exec, exec, s[0:1]
	v_mbcnt_lo_u32_b32 v3, -1, 0
	v_mbcnt_hi_u32_b32 v6, -1, v3
	v_and_b32_e32 v8, 63, v6
	v_cmp_gt_u32_e64 s[0:1], 32, v8
	v_cndmask_b32_e64 v5, 0, 1, s[0:1]
	v_lshlrev_b32_e32 v5, 5, v5
	v_and_b32_e32 v3, 0xffff, v4
	v_add_lshl_u32 v5, v5, v6, 2
	ds_bpermute_b32 v3, v5, v3
	v_cmp_gt_u32_e64 s[0:1], 48, v8
	v_cndmask_b32_e64 v5, 0, 1, s[0:1]
	s_mov_b32 s4, 0xffff0000
	v_lshlrev_b32_e32 v5, 4, v5
	s_waitcnt lgkmcnt(0)
	v_add_f16_e32 v4, v4, v3
	v_and_or_b32 v3, v3, s4, v4
	v_add_lshl_u32 v5, v5, v6, 2
	ds_bpermute_b32 v3, v5, v3
	v_cmp_gt_u32_e64 s[0:1], 56, v8
	s_waitcnt lgkmcnt(0)
	s_barrier
	v_add_f16_e32 v4, v4, v3
	v_and_or_b32 v5, v3, s4, v4
	v_cndmask_b32_e64 v3, 0, 1, s[0:1]
	v_lshlrev_b32_e32 v3, 3, v3
	v_add_lshl_u32 v3, v3, v6, 2
	ds_bpermute_b32 v5, v3, v5
	v_cmp_gt_u32_e64 s[0:1], 60, v8
	s_waitcnt lgkmcnt(0)
	v_add_f16_e32 v7, v4, v5
	v_cndmask_b32_e64 v4, 0, 1, s[0:1]
	v_lshlrev_b32_e32 v4, 2, v4
	v_and_or_b32 v5, v5, s4, v7
	v_add_lshl_u32 v4, v4, v6, 2
	ds_bpermute_b32 v5, v4, v5
	v_cmp_gt_u32_e64 s[0:1], 62, v8
	s_waitcnt lgkmcnt(0)
	v_add_f16_e32 v7, v7, v5
	v_and_or_b32 v9, v5, s4, v7
	v_cndmask_b32_e64 v5, 0, 1, s[0:1]
	v_lshlrev_b32_e32 v5, 1, v5
	v_add_lshl_u32 v5, v5, v6, 2
	ds_bpermute_b32 v9, v5, v9
	v_cmp_ne_u32_e64 s[0:1], 63, v8
	v_addc_co_u32_e64 v6, s[0:1], 0, v6, s[0:1]
	v_lshlrev_b32_e32 v6, 2, v6
	s_waitcnt lgkmcnt(0)
	v_add_f16_e32 v7, v7, v9
	v_and_or_b32 v9, v9, s4, v7
	ds_bpermute_b32 v8, v6, v9
	v_cmp_eq_u32_e64 s[0:1], 0, v2
	s_and_saveexec_b64 s[4:5], s[0:1]
	s_cbranch_execz .LBB293_8
; %bb.7:
	s_waitcnt lgkmcnt(0)
	v_add_f16_e32 v2, v7, v8
	v_lshrrev_b32_e32 v7, 5, v0
	v_and_b32_e32 v7, 30, v7
	ds_write_b16 v7, v2
.LBB293_8:
	s_or_b64 exec, exec, s[4:5]
	v_cmp_gt_u32_e64 s[0:1], 16, v0
	v_mov_b32_e32 v2, 0
	s_waitcnt lgkmcnt(0)
	s_barrier
	s_and_saveexec_b64 s[4:5], s[0:1]
	s_cbranch_execnz .LBB293_12
; %bb.9:
	s_or_b64 exec, exec, s[4:5]
	s_and_saveexec_b64 s[0:1], vcc
	s_cbranch_execnz .LBB293_13
.LBB293_10:
	s_or_b64 exec, exec, s[0:1]
	v_cmp_eq_u32_e32 vcc, 0, v0
	s_and_saveexec_b64 s[0:1], vcc
	s_cbranch_execnz .LBB293_14
.LBB293_11:
	s_endpgm
.LBB293_12:
	ds_read_u16 v2, v1
	s_or_b64 exec, exec, s[4:5]
	s_and_saveexec_b64 s[0:1], vcc
	s_cbranch_execz .LBB293_10
.LBB293_13:
	s_waitcnt lgkmcnt(0)
	v_and_b32_e32 v1, 0xffff, v2
	ds_bpermute_b32 v1, v3, v1
	s_mov_b32 s4, 0xffff0000
	s_waitcnt lgkmcnt(0)
	v_add_f16_e32 v2, v2, v1
	v_and_or_b32 v1, v1, s4, v2
	ds_bpermute_b32 v1, v4, v1
	s_waitcnt lgkmcnt(0)
	v_add_f16_e32 v2, v2, v1
	v_and_or_b32 v1, v1, s4, v2
	ds_bpermute_b32 v1, v5, v1
	;; [unrolled: 4-line block ×3, first 2 shown]
	s_waitcnt lgkmcnt(0)
	v_add_f16_e32 v2, v2, v1
	s_or_b64 exec, exec, s[0:1]
	v_cmp_eq_u32_e32 vcc, 0, v0
	s_and_saveexec_b64 s[0:1], vcc
	s_cbranch_execz .LBB293_11
.LBB293_14:
	s_waitcnt lgkmcnt(0)
	v_cvt_f32_f16_e32 v0, v2
	s_lshl_b64 s[0:1], s[2:3], 2
	s_add_u32 s0, s6, s0
	s_addc_u32 s1, s7, s1
	v_mov_b32_e32 v1, 0
	global_store_dword v1, v0, s[0:1]
	s_endpgm
	.section	.rodata,"a",@progbits
	.p2align	6, 0x0
	.amdhsa_kernel _ZL24rocblas_dot_kernel_magsqIlLb1ELi1024ELi32ELb1EfPKDF16_DF16_EviT5_lT_liPT6_PT4_
		.amdhsa_group_segment_fixed_size 128
		.amdhsa_private_segment_fixed_size 0
		.amdhsa_kernarg_size 320
		.amdhsa_user_sgpr_count 6
		.amdhsa_user_sgpr_private_segment_buffer 1
		.amdhsa_user_sgpr_dispatch_ptr 0
		.amdhsa_user_sgpr_queue_ptr 0
		.amdhsa_user_sgpr_kernarg_segment_ptr 1
		.amdhsa_user_sgpr_dispatch_id 0
		.amdhsa_user_sgpr_flat_scratch_init 0
		.amdhsa_user_sgpr_kernarg_preload_length 0
		.amdhsa_user_sgpr_kernarg_preload_offset 0
		.amdhsa_user_sgpr_private_segment_size 0
		.amdhsa_uses_dynamic_stack 0
		.amdhsa_system_sgpr_private_segment_wavefront_offset 0
		.amdhsa_system_sgpr_workgroup_id_x 1
		.amdhsa_system_sgpr_workgroup_id_y 0
		.amdhsa_system_sgpr_workgroup_id_z 1
		.amdhsa_system_sgpr_workgroup_info 0
		.amdhsa_system_vgpr_workitem_id 0
		.amdhsa_next_free_vgpr 10
		.amdhsa_next_free_sgpr 20
		.amdhsa_accum_offset 12
		.amdhsa_reserve_vcc 1
		.amdhsa_reserve_flat_scratch 0
		.amdhsa_float_round_mode_32 0
		.amdhsa_float_round_mode_16_64 0
		.amdhsa_float_denorm_mode_32 3
		.amdhsa_float_denorm_mode_16_64 3
		.amdhsa_dx10_clamp 1
		.amdhsa_ieee_mode 1
		.amdhsa_fp16_overflow 0
		.amdhsa_tg_split 0
		.amdhsa_exception_fp_ieee_invalid_op 0
		.amdhsa_exception_fp_denorm_src 0
		.amdhsa_exception_fp_ieee_div_zero 0
		.amdhsa_exception_fp_ieee_overflow 0
		.amdhsa_exception_fp_ieee_underflow 0
		.amdhsa_exception_fp_ieee_inexact 0
		.amdhsa_exception_int_div_zero 0
	.end_amdhsa_kernel
	.section	.text._ZL24rocblas_dot_kernel_magsqIlLb1ELi1024ELi32ELb1EfPKDF16_DF16_EviT5_lT_liPT6_PT4_,"axG",@progbits,_ZL24rocblas_dot_kernel_magsqIlLb1ELi1024ELi32ELb1EfPKDF16_DF16_EviT5_lT_liPT6_PT4_,comdat
.Lfunc_end293:
	.size	_ZL24rocblas_dot_kernel_magsqIlLb1ELi1024ELi32ELb1EfPKDF16_DF16_EviT5_lT_liPT6_PT4_, .Lfunc_end293-_ZL24rocblas_dot_kernel_magsqIlLb1ELi1024ELi32ELb1EfPKDF16_DF16_EviT5_lT_liPT6_PT4_
                                        ; -- End function
	.section	.AMDGPU.csdata,"",@progbits
; Kernel info:
; codeLenInByte = 956
; NumSgprs: 24
; NumVgprs: 10
; NumAgprs: 0
; TotalNumVgprs: 10
; ScratchSize: 0
; MemoryBound: 0
; FloatMode: 240
; IeeeMode: 1
; LDSByteSize: 128 bytes/workgroup (compile time only)
; SGPRBlocks: 2
; VGPRBlocks: 1
; NumSGPRsForWavesPerEU: 24
; NumVGPRsForWavesPerEU: 10
; AccumOffset: 12
; Occupancy: 8
; WaveLimiterHint : 0
; COMPUTE_PGM_RSRC2:SCRATCH_EN: 0
; COMPUTE_PGM_RSRC2:USER_SGPR: 6
; COMPUTE_PGM_RSRC2:TRAP_HANDLER: 0
; COMPUTE_PGM_RSRC2:TGID_X_EN: 1
; COMPUTE_PGM_RSRC2:TGID_Y_EN: 0
; COMPUTE_PGM_RSRC2:TGID_Z_EN: 1
; COMPUTE_PGM_RSRC2:TIDIG_COMP_CNT: 0
; COMPUTE_PGM_RSRC3_GFX90A:ACCUM_OFFSET: 2
; COMPUTE_PGM_RSRC3_GFX90A:TG_SPLIT: 0
	.section	.text._ZL38rocblas_dot_kernel_gfx942_float_doubleIlLi1024EfPKDF16_DF16_EviT2_lT_lS2_lS3_lPT3_PT1_,"axG",@progbits,_ZL38rocblas_dot_kernel_gfx942_float_doubleIlLi1024EfPKDF16_DF16_EviT2_lT_lS2_lS3_lPT3_PT1_,comdat
	.globl	_ZL38rocblas_dot_kernel_gfx942_float_doubleIlLi1024EfPKDF16_DF16_EviT2_lT_lS2_lS3_lPT3_PT1_ ; -- Begin function _ZL38rocblas_dot_kernel_gfx942_float_doubleIlLi1024EfPKDF16_DF16_EviT2_lT_lS2_lS3_lPT3_PT1_
	.p2align	8
	.type	_ZL38rocblas_dot_kernel_gfx942_float_doubleIlLi1024EfPKDF16_DF16_EviT2_lT_lS2_lS3_lPT3_PT1_,@function
_ZL38rocblas_dot_kernel_gfx942_float_doubleIlLi1024EfPKDF16_DF16_EviT2_lT_lS2_lS3_lPT3_PT1_: ; @_ZL38rocblas_dot_kernel_gfx942_float_doubleIlLi1024EfPKDF16_DF16_EviT2_lT_lS2_lS3_lPT3_PT1_
; %bb.0:
	s_endpgm
	.section	.rodata,"a",@progbits
	.p2align	6, 0x0
	.amdhsa_kernel _ZL38rocblas_dot_kernel_gfx942_float_doubleIlLi1024EfPKDF16_DF16_EviT2_lT_lS2_lS3_lPT3_PT1_
		.amdhsa_group_segment_fixed_size 0
		.amdhsa_private_segment_fixed_size 0
		.amdhsa_kernarg_size 88
		.amdhsa_user_sgpr_count 6
		.amdhsa_user_sgpr_private_segment_buffer 1
		.amdhsa_user_sgpr_dispatch_ptr 0
		.amdhsa_user_sgpr_queue_ptr 0
		.amdhsa_user_sgpr_kernarg_segment_ptr 1
		.amdhsa_user_sgpr_dispatch_id 0
		.amdhsa_user_sgpr_flat_scratch_init 0
		.amdhsa_user_sgpr_kernarg_preload_length 0
		.amdhsa_user_sgpr_kernarg_preload_offset 0
		.amdhsa_user_sgpr_private_segment_size 0
		.amdhsa_uses_dynamic_stack 0
		.amdhsa_system_sgpr_private_segment_wavefront_offset 0
		.amdhsa_system_sgpr_workgroup_id_x 1
		.amdhsa_system_sgpr_workgroup_id_y 0
		.amdhsa_system_sgpr_workgroup_id_z 0
		.amdhsa_system_sgpr_workgroup_info 0
		.amdhsa_system_vgpr_workitem_id 0
		.amdhsa_next_free_vgpr 1
		.amdhsa_next_free_sgpr 0
		.amdhsa_accum_offset 4
		.amdhsa_reserve_vcc 0
		.amdhsa_reserve_flat_scratch 0
		.amdhsa_float_round_mode_32 0
		.amdhsa_float_round_mode_16_64 0
		.amdhsa_float_denorm_mode_32 3
		.amdhsa_float_denorm_mode_16_64 3
		.amdhsa_dx10_clamp 1
		.amdhsa_ieee_mode 1
		.amdhsa_fp16_overflow 0
		.amdhsa_tg_split 0
		.amdhsa_exception_fp_ieee_invalid_op 0
		.amdhsa_exception_fp_denorm_src 0
		.amdhsa_exception_fp_ieee_div_zero 0
		.amdhsa_exception_fp_ieee_overflow 0
		.amdhsa_exception_fp_ieee_underflow 0
		.amdhsa_exception_fp_ieee_inexact 0
		.amdhsa_exception_int_div_zero 0
	.end_amdhsa_kernel
	.section	.text._ZL38rocblas_dot_kernel_gfx942_float_doubleIlLi1024EfPKDF16_DF16_EviT2_lT_lS2_lS3_lPT3_PT1_,"axG",@progbits,_ZL38rocblas_dot_kernel_gfx942_float_doubleIlLi1024EfPKDF16_DF16_EviT2_lT_lS2_lS3_lPT3_PT1_,comdat
.Lfunc_end294:
	.size	_ZL38rocblas_dot_kernel_gfx942_float_doubleIlLi1024EfPKDF16_DF16_EviT2_lT_lS2_lS3_lPT3_PT1_, .Lfunc_end294-_ZL38rocblas_dot_kernel_gfx942_float_doubleIlLi1024EfPKDF16_DF16_EviT2_lT_lS2_lS3_lPT3_PT1_
                                        ; -- End function
	.section	.AMDGPU.csdata,"",@progbits
; Kernel info:
; codeLenInByte = 4
; NumSgprs: 4
; NumVgprs: 0
; NumAgprs: 0
; TotalNumVgprs: 0
; ScratchSize: 0
; MemoryBound: 0
; FloatMode: 240
; IeeeMode: 1
; LDSByteSize: 0 bytes/workgroup (compile time only)
; SGPRBlocks: 0
; VGPRBlocks: 0
; NumSGPRsForWavesPerEU: 4
; NumVGPRsForWavesPerEU: 1
; AccumOffset: 4
; Occupancy: 8
; WaveLimiterHint : 0
; COMPUTE_PGM_RSRC2:SCRATCH_EN: 0
; COMPUTE_PGM_RSRC2:USER_SGPR: 6
; COMPUTE_PGM_RSRC2:TRAP_HANDLER: 0
; COMPUTE_PGM_RSRC2:TGID_X_EN: 1
; COMPUTE_PGM_RSRC2:TGID_Y_EN: 0
; COMPUTE_PGM_RSRC2:TGID_Z_EN: 0
; COMPUTE_PGM_RSRC2:TIDIG_COMP_CNT: 0
; COMPUTE_PGM_RSRC3_GFX90A:ACCUM_OFFSET: 0
; COMPUTE_PGM_RSRC3_GFX90A:TG_SPLIT: 0
	.section	.text._ZL30rocblas_reduction_kernel_part2ILi1024ELi4E25rocblas_finalize_identityDF16_fEviPT2_PT3_,"axG",@progbits,_ZL30rocblas_reduction_kernel_part2ILi1024ELi4E25rocblas_finalize_identityDF16_fEviPT2_PT3_,comdat
	.globl	_ZL30rocblas_reduction_kernel_part2ILi1024ELi4E25rocblas_finalize_identityDF16_fEviPT2_PT3_ ; -- Begin function _ZL30rocblas_reduction_kernel_part2ILi1024ELi4E25rocblas_finalize_identityDF16_fEviPT2_PT3_
	.p2align	8
	.type	_ZL30rocblas_reduction_kernel_part2ILi1024ELi4E25rocblas_finalize_identityDF16_fEviPT2_PT3_,@function
_ZL30rocblas_reduction_kernel_part2ILi1024ELi4E25rocblas_finalize_identityDF16_fEviPT2_PT3_: ; @_ZL30rocblas_reduction_kernel_part2ILi1024ELi4E25rocblas_finalize_identityDF16_fEviPT2_PT3_
; %bb.0:
	s_load_dword s12, s[4:5], 0x0
	s_load_dwordx4 s[0:3], s[4:5], 0x8
	v_lshlrev_b32_e32 v4, 2, v0
	s_mov_b32 s7, 0
	v_mov_b32_e32 v1, 0
	s_waitcnt lgkmcnt(0)
	s_ashr_i32 s8, s12, 31
	s_mul_i32 s5, s8, s6
	s_lshr_b32 s8, s8, 30
	s_add_i32 s8, s12, s8
	s_mul_hi_u32 s4, s12, s6
	s_and_b32 s13, s8, -4
	s_add_i32 s5, s4, s5
	s_mul_i32 s4, s12, s6
	v_cmp_gt_i32_e32 vcc, s13, v4
	s_and_saveexec_b64 s[8:9], vcc
	s_cbranch_execz .LBB295_4
; %bb.1:
	s_lshl_b64 s[10:11], s[4:5], 1
	s_add_u32 s10, s0, s10
	v_lshlrev_b32_e32 v2, 3, v0
	s_addc_u32 s11, s1, s11
	v_mov_b32_e32 v3, s11
	v_add_co_u32_e32 v2, vcc, s10, v2
	v_addc_co_u32_e32 v3, vcc, 0, v3, vcc
	v_add_co_u32_e32 v2, vcc, 4, v2
	v_mov_b32_e32 v1, 0
	v_addc_co_u32_e32 v3, vcc, 0, v3, vcc
	s_mov_b64 s[10:11], 0
.LBB295_2:                              ; =>This Inner Loop Header: Depth=1
	global_load_dwordx2 v[6:7], v[2:3], off offset:-4
	v_add_co_u32_e32 v2, vcc, 0x2000, v2
	v_add_u32_e32 v4, 0x1000, v4
	v_addc_co_u32_e32 v3, vcc, 0, v3, vcc
	v_cmp_le_i32_e32 vcc, s13, v4
	s_or_b64 s[10:11], vcc, s[10:11]
	s_waitcnt vmcnt(0)
	v_add_f16_e32 v1, v1, v6
	v_add_f16_sdwa v1, v1, v6 dst_sel:DWORD dst_unused:UNUSED_PAD src0_sel:DWORD src1_sel:WORD_1
	v_add_f16_e32 v1, v1, v7
	v_add_f16_sdwa v1, v1, v7 dst_sel:DWORD dst_unused:UNUSED_PAD src0_sel:DWORD src1_sel:WORD_1
	s_andn2_b64 exec, exec, s[10:11]
	s_cbranch_execnz .LBB295_2
; %bb.3:
	s_or_b64 exec, exec, s[10:11]
.LBB295_4:
	s_or_b64 exec, exec, s[8:9]
	s_sub_i32 s8, s12, s13
	v_cmp_gt_u32_e32 vcc, s8, v0
	s_and_saveexec_b64 s[8:9], vcc
	s_cbranch_execz .LBB295_6
; %bb.5:
	s_lshl_b64 s[4:5], s[4:5], 1
	s_add_u32 s0, s0, s4
	v_xad_u32 v2, v0, -1, s12
	v_mov_b32_e32 v3, 0
	s_addc_u32 s1, s1, s5
	v_lshlrev_b64 v[2:3], 1, v[2:3]
	v_mov_b32_e32 v4, s1
	v_add_co_u32_e32 v2, vcc, s0, v2
	v_addc_co_u32_e32 v3, vcc, v4, v3, vcc
	global_load_ushort v2, v[2:3], off
	s_waitcnt vmcnt(0)
	v_add_f16_e32 v1, v1, v2
.LBB295_6:
	s_or_b64 exec, exec, s[8:9]
	v_and_b32_e32 v3, 63, v0
	v_cmp_gt_u32_e32 vcc, 64, v0
	v_lshlrev_b32_e32 v2, 1, v3
	s_and_saveexec_b64 s[0:1], vcc
	s_cbranch_execz .LBB295_8
; %bb.7:
	v_mov_b32_e32 v4, 0
	ds_write_b16 v2, v4
.LBB295_8:
	s_or_b64 exec, exec, s[0:1]
	v_mbcnt_lo_u32_b32 v4, -1, 0
	v_mbcnt_hi_u32_b32 v6, -1, v4
	v_and_b32_e32 v8, 63, v6
	v_cmp_gt_u32_e64 s[0:1], 32, v8
	v_cndmask_b32_e64 v5, 0, 1, s[0:1]
	v_lshlrev_b32_e32 v5, 5, v5
	v_and_b32_e32 v4, 0xffff, v1
	v_add_lshl_u32 v5, v5, v6, 2
	ds_bpermute_b32 v4, v5, v4
	v_cmp_gt_u32_e64 s[0:1], 48, v8
	v_cndmask_b32_e64 v5, 0, 1, s[0:1]
	s_mov_b32 s4, 0xffff0000
	v_lshlrev_b32_e32 v5, 4, v5
	s_waitcnt lgkmcnt(0)
	v_add_f16_e32 v1, v1, v4
	v_and_or_b32 v4, v4, s4, v1
	v_add_lshl_u32 v5, v5, v6, 2
	ds_bpermute_b32 v4, v5, v4
	v_cmp_gt_u32_e64 s[0:1], 56, v8
	s_waitcnt lgkmcnt(0)
	s_barrier
	v_add_f16_e32 v5, v1, v4
	v_cndmask_b32_e64 v1, 0, 1, s[0:1]
	v_lshlrev_b32_e32 v1, 3, v1
	v_and_or_b32 v4, v4, s4, v5
	v_add_lshl_u32 v1, v1, v6, 2
	ds_bpermute_b32 v4, v1, v4
	v_cmp_gt_u32_e64 s[0:1], 60, v8
	s_waitcnt lgkmcnt(0)
	v_add_f16_e32 v5, v5, v4
	v_and_or_b32 v7, v4, s4, v5
	v_cndmask_b32_e64 v4, 0, 1, s[0:1]
	v_lshlrev_b32_e32 v4, 2, v4
	v_add_lshl_u32 v4, v4, v6, 2
	ds_bpermute_b32 v7, v4, v7
	v_cmp_gt_u32_e64 s[0:1], 62, v8
	s_waitcnt lgkmcnt(0)
	v_add_f16_e32 v9, v5, v7
	v_cndmask_b32_e64 v5, 0, 1, s[0:1]
	v_lshlrev_b32_e32 v5, 1, v5
	v_and_or_b32 v7, v7, s4, v9
	v_add_lshl_u32 v5, v5, v6, 2
	ds_bpermute_b32 v10, v5, v7
	v_cmp_ne_u32_e64 s[0:1], 63, v8
	v_addc_co_u32_e64 v6, s[0:1], 0, v6, s[0:1]
	v_lshlrev_b32_e32 v6, 2, v6
	s_waitcnt lgkmcnt(0)
	v_add_f16_e32 v7, v9, v10
	v_and_or_b32 v9, v10, s4, v7
	ds_bpermute_b32 v8, v6, v9
	v_cmp_eq_u32_e64 s[0:1], 0, v3
	s_and_saveexec_b64 s[4:5], s[0:1]
	s_cbranch_execz .LBB295_10
; %bb.9:
	s_waitcnt lgkmcnt(0)
	v_add_f16_e32 v3, v7, v8
	v_lshrrev_b32_e32 v7, 5, v0
	v_and_b32_e32 v7, 30, v7
	ds_write_b16 v7, v3
.LBB295_10:
	s_or_b64 exec, exec, s[4:5]
	v_cmp_gt_u32_e64 s[0:1], 16, v0
	v_mov_b32_e32 v3, 0
	s_waitcnt lgkmcnt(0)
	s_barrier
	s_and_saveexec_b64 s[4:5], s[0:1]
	s_cbranch_execnz .LBB295_14
; %bb.11:
	s_or_b64 exec, exec, s[4:5]
	s_and_saveexec_b64 s[0:1], vcc
	s_cbranch_execnz .LBB295_15
.LBB295_12:
	s_or_b64 exec, exec, s[0:1]
	v_cmp_eq_u32_e32 vcc, 0, v0
	s_and_saveexec_b64 s[0:1], vcc
	s_cbranch_execnz .LBB295_16
.LBB295_13:
	s_endpgm
.LBB295_14:
	ds_read_u16 v3, v2
	s_or_b64 exec, exec, s[4:5]
	s_and_saveexec_b64 s[0:1], vcc
	s_cbranch_execz .LBB295_12
.LBB295_15:
	s_waitcnt lgkmcnt(0)
	v_and_b32_e32 v2, 0xffff, v3
	ds_bpermute_b32 v1, v1, v2
	s_mov_b32 s4, 0xffff0000
	s_waitcnt lgkmcnt(0)
	v_add_f16_e32 v2, v3, v1
	v_and_or_b32 v1, v1, s4, v2
	ds_bpermute_b32 v1, v4, v1
	s_waitcnt lgkmcnt(0)
	v_add_f16_e32 v2, v2, v1
	v_and_or_b32 v1, v1, s4, v2
	ds_bpermute_b32 v1, v5, v1
	;; [unrolled: 4-line block ×3, first 2 shown]
	s_waitcnt lgkmcnt(0)
	v_add_f16_e32 v3, v2, v1
	s_or_b64 exec, exec, s[0:1]
	v_cmp_eq_u32_e32 vcc, 0, v0
	s_and_saveexec_b64 s[0:1], vcc
	s_cbranch_execz .LBB295_13
.LBB295_16:
	s_waitcnt lgkmcnt(0)
	v_cvt_f32_f16_e32 v0, v3
	s_lshl_b64 s[0:1], s[6:7], 2
	s_add_u32 s0, s2, s0
	s_addc_u32 s1, s3, s1
	v_mov_b32_e32 v1, 0
	global_store_dword v1, v0, s[0:1]
	s_endpgm
	.section	.rodata,"a",@progbits
	.p2align	6, 0x0
	.amdhsa_kernel _ZL30rocblas_reduction_kernel_part2ILi1024ELi4E25rocblas_finalize_identityDF16_fEviPT2_PT3_
		.amdhsa_group_segment_fixed_size 128
		.amdhsa_private_segment_fixed_size 0
		.amdhsa_kernarg_size 24
		.amdhsa_user_sgpr_count 6
		.amdhsa_user_sgpr_private_segment_buffer 1
		.amdhsa_user_sgpr_dispatch_ptr 0
		.amdhsa_user_sgpr_queue_ptr 0
		.amdhsa_user_sgpr_kernarg_segment_ptr 1
		.amdhsa_user_sgpr_dispatch_id 0
		.amdhsa_user_sgpr_flat_scratch_init 0
		.amdhsa_user_sgpr_kernarg_preload_length 0
		.amdhsa_user_sgpr_kernarg_preload_offset 0
		.amdhsa_user_sgpr_private_segment_size 0
		.amdhsa_uses_dynamic_stack 0
		.amdhsa_system_sgpr_private_segment_wavefront_offset 0
		.amdhsa_system_sgpr_workgroup_id_x 1
		.amdhsa_system_sgpr_workgroup_id_y 0
		.amdhsa_system_sgpr_workgroup_id_z 0
		.amdhsa_system_sgpr_workgroup_info 0
		.amdhsa_system_vgpr_workitem_id 0
		.amdhsa_next_free_vgpr 11
		.amdhsa_next_free_sgpr 14
		.amdhsa_accum_offset 12
		.amdhsa_reserve_vcc 1
		.amdhsa_reserve_flat_scratch 0
		.amdhsa_float_round_mode_32 0
		.amdhsa_float_round_mode_16_64 0
		.amdhsa_float_denorm_mode_32 3
		.amdhsa_float_denorm_mode_16_64 3
		.amdhsa_dx10_clamp 1
		.amdhsa_ieee_mode 1
		.amdhsa_fp16_overflow 0
		.amdhsa_tg_split 0
		.amdhsa_exception_fp_ieee_invalid_op 0
		.amdhsa_exception_fp_denorm_src 0
		.amdhsa_exception_fp_ieee_div_zero 0
		.amdhsa_exception_fp_ieee_overflow 0
		.amdhsa_exception_fp_ieee_underflow 0
		.amdhsa_exception_fp_ieee_inexact 0
		.amdhsa_exception_int_div_zero 0
	.end_amdhsa_kernel
	.section	.text._ZL30rocblas_reduction_kernel_part2ILi1024ELi4E25rocblas_finalize_identityDF16_fEviPT2_PT3_,"axG",@progbits,_ZL30rocblas_reduction_kernel_part2ILi1024ELi4E25rocblas_finalize_identityDF16_fEviPT2_PT3_,comdat
.Lfunc_end295:
	.size	_ZL30rocblas_reduction_kernel_part2ILi1024ELi4E25rocblas_finalize_identityDF16_fEviPT2_PT3_, .Lfunc_end295-_ZL30rocblas_reduction_kernel_part2ILi1024ELi4E25rocblas_finalize_identityDF16_fEviPT2_PT3_
                                        ; -- End function
	.section	.AMDGPU.csdata,"",@progbits
; Kernel info:
; codeLenInByte = 928
; NumSgprs: 18
; NumVgprs: 11
; NumAgprs: 0
; TotalNumVgprs: 11
; ScratchSize: 0
; MemoryBound: 0
; FloatMode: 240
; IeeeMode: 1
; LDSByteSize: 128 bytes/workgroup (compile time only)
; SGPRBlocks: 2
; VGPRBlocks: 1
; NumSGPRsForWavesPerEU: 18
; NumVGPRsForWavesPerEU: 11
; AccumOffset: 12
; Occupancy: 8
; WaveLimiterHint : 0
; COMPUTE_PGM_RSRC2:SCRATCH_EN: 0
; COMPUTE_PGM_RSRC2:USER_SGPR: 6
; COMPUTE_PGM_RSRC2:TRAP_HANDLER: 0
; COMPUTE_PGM_RSRC2:TGID_X_EN: 1
; COMPUTE_PGM_RSRC2:TGID_Y_EN: 0
; COMPUTE_PGM_RSRC2:TGID_Z_EN: 0
; COMPUTE_PGM_RSRC2:TIDIG_COMP_CNT: 0
; COMPUTE_PGM_RSRC3_GFX90A:ACCUM_OFFSET: 2
; COMPUTE_PGM_RSRC3_GFX90A:TG_SPLIT: 0
	.section	.text._ZL23rocblas_dot_kernel_inc1ILb0ELi512ELi4ELb1EfPKDF16_DF16_EviT4_llS2_lliPT5_PT3_,"axG",@progbits,_ZL23rocblas_dot_kernel_inc1ILb0ELi512ELi4ELb1EfPKDF16_DF16_EviT4_llS2_lliPT5_PT3_,comdat
	.globl	_ZL23rocblas_dot_kernel_inc1ILb0ELi512ELi4ELb1EfPKDF16_DF16_EviT4_llS2_lliPT5_PT3_ ; -- Begin function _ZL23rocblas_dot_kernel_inc1ILb0ELi512ELi4ELb1EfPKDF16_DF16_EviT4_llS2_lliPT5_PT3_
	.p2align	8
	.type	_ZL23rocblas_dot_kernel_inc1ILb0ELi512ELi4ELb1EfPKDF16_DF16_EviT4_llS2_lliPT5_PT3_,@function
_ZL23rocblas_dot_kernel_inc1ILb0ELi512ELi4ELb1EfPKDF16_DF16_EviT4_llS2_lliPT5_PT3_: ; @_ZL23rocblas_dot_kernel_inc1ILb0ELi512ELi4ELb1EfPKDF16_DF16_EviT4_llS2_lliPT5_PT3_
; %bb.0:
	s_mov_b32 s2, s7
	s_load_dword s18, s[4:5], 0x50
	s_load_dword s7, s[4:5], 0x0
	s_load_dwordx4 s[8:11], s[4:5], 0x40
	v_lshl_or_b32 v2, s6, 9, v0
	s_mov_b32 s3, 0
	v_mov_b32_e32 v1, 0
	s_waitcnt lgkmcnt(0)
	v_cmp_gt_i32_e32 vcc, s7, v2
	s_and_saveexec_b64 s[12:13], vcc
	s_cbranch_execz .LBB296_4
; %bb.1:
	s_load_dwordx4 s[20:23], s[4:5], 0x10
	s_load_dwordx2 s[0:1], s[4:5], 0x8
	s_load_dwordx2 s[14:15], s[4:5], 0x20
	s_load_dwordx4 s[24:27], s[4:5], 0x28
	v_ashrrev_i32_e32 v3, 31, v2
	s_waitcnt lgkmcnt(0)
	s_mul_i32 s4, s2, s23
	s_mul_hi_u32 s5, s2, s22
	s_add_i32 s5, s5, s4
	s_mul_i32 s4, s2, s22
	s_lshl_b64 s[4:5], s[4:5], 1
	s_add_u32 s4, s0, s4
	s_addc_u32 s5, s1, s5
	s_lshl_b64 s[0:1], s[20:21], 1
	s_add_u32 s19, s4, s0
	s_addc_u32 s21, s5, s1
	s_mul_i32 s0, s2, s27
	s_mul_hi_u32 s1, s2, s26
	s_add_i32 s1, s1, s0
	s_mul_i32 s0, s2, s26
	s_lshl_b64 s[0:1], s[0:1], 1
	s_add_u32 s4, s14, s0
	s_addc_u32 s5, s15, s1
	s_lshl_b64 s[0:1], s[24:25], 1
	s_add_u32 s20, s4, s0
	s_addc_u32 s0, s5, s1
	s_lshl_b32 s4, s18, 9
	s_ashr_i32 s5, s4, 31
	s_lshl_b64 s[16:17], s[4:5], 1
	v_add_u32_e32 v4, s4, v2
	v_lshlrev_b64 v[2:3], 1, v[2:3]
	s_mov_b64 s[14:15], 0
	v_mov_b32_e32 v1, 0
	v_mov_b32_e32 v5, s0
	;; [unrolled: 1-line block ×4, first 2 shown]
	s_mov_b32 s5, s3
.LBB296_2:                              ; =>This Inner Loop Header: Depth=1
	v_add_co_u32_e32 v8, vcc, s20, v2
	v_addc_co_u32_e32 v9, vcc, v5, v3, vcc
	v_add_co_u32_e32 v10, vcc, s19, v2
	v_addc_co_u32_e32 v11, vcc, v6, v3, vcc
	global_load_ushort v12, v[8:9], off
	global_load_ushort v13, v[10:11], off
	s_add_i32 s17, s5, 1
	v_add_co_u32_e64 v2, s[0:1], s16, v2
	v_addc_co_u32_e64 v3, s[0:1], v3, v7, s[0:1]
	s_cmp_gt_u32 s5, 2
	v_cmp_le_i32_e32 vcc, s7, v4
	s_cselect_b64 s[0:1], -1, 0
	s_or_b64 s[0:1], s[0:1], vcc
	s_and_b64 s[0:1], exec, s[0:1]
	v_add_u32_e32 v4, s4, v4
	s_mov_b32 s5, s17
	s_or_b64 s[14:15], s[0:1], s[14:15]
	s_waitcnt vmcnt(0)
	v_fma_f16 v1, v12, v13, v1
	s_andn2_b64 exec, exec, s[14:15]
	s_cbranch_execnz .LBB296_2
; %bb.3:
	s_or_b64 exec, exec, s[14:15]
.LBB296_4:
	s_or_b64 exec, exec, s[12:13]
	v_and_b32_e32 v3, 63, v0
	v_cmp_gt_u32_e32 vcc, 64, v0
	v_lshlrev_b32_e32 v2, 1, v3
	s_and_saveexec_b64 s[0:1], vcc
	s_cbranch_execz .LBB296_6
; %bb.5:
	v_mov_b32_e32 v4, 0
	ds_write_b16 v2, v4
.LBB296_6:
	s_or_b64 exec, exec, s[0:1]
	v_mbcnt_lo_u32_b32 v4, -1, 0
	v_mbcnt_hi_u32_b32 v6, -1, v4
	v_and_b32_e32 v7, 63, v6
	v_cmp_gt_u32_e64 s[0:1], 32, v7
	v_cndmask_b32_e64 v5, 0, 1, s[0:1]
	v_lshlrev_b32_e32 v5, 5, v5
	v_and_b32_e32 v4, 0xffff, v1
	v_add_lshl_u32 v5, v5, v6, 2
	ds_bpermute_b32 v4, v5, v4
	v_cmp_gt_u32_e64 s[0:1], 48, v7
	v_cndmask_b32_e64 v5, 0, 1, s[0:1]
	s_mov_b32 s4, 0xffff0000
	v_lshlrev_b32_e32 v5, 4, v5
	s_waitcnt lgkmcnt(0)
	v_add_f16_e32 v1, v1, v4
	v_and_or_b32 v4, v4, s4, v1
	v_add_lshl_u32 v5, v5, v6, 2
	ds_bpermute_b32 v4, v5, v4
	v_cmp_gt_u32_e64 s[0:1], 56, v7
	v_cndmask_b32_e64 v5, 0, 1, s[0:1]
	v_lshlrev_b32_e32 v5, 3, v5
	v_add_lshl_u32 v5, v5, v6, 2
	s_waitcnt lgkmcnt(0)
	v_add_f16_e32 v1, v1, v4
	v_and_or_b32 v4, v4, s4, v1
	ds_bpermute_b32 v4, v5, v4
	v_cmp_gt_u32_e64 s[0:1], 60, v7
	s_waitcnt lgkmcnt(0)
	s_barrier
	v_add_f16_e32 v1, v1, v4
	v_and_or_b32 v5, v4, s4, v1
	v_cndmask_b32_e64 v4, 0, 1, s[0:1]
	v_lshlrev_b32_e32 v4, 2, v4
	v_add_lshl_u32 v4, v4, v6, 2
	ds_bpermute_b32 v5, v4, v5
	v_cmp_gt_u32_e64 s[0:1], 62, v7
	s_waitcnt lgkmcnt(0)
	v_add_f16_e32 v1, v1, v5
	v_and_or_b32 v8, v5, s4, v1
	v_cndmask_b32_e64 v5, 0, 1, s[0:1]
	v_lshlrev_b32_e32 v5, 1, v5
	v_add_lshl_u32 v5, v5, v6, 2
	ds_bpermute_b32 v8, v5, v8
	v_cmp_ne_u32_e64 s[0:1], 63, v7
	v_addc_co_u32_e64 v6, s[0:1], 0, v6, s[0:1]
	v_lshlrev_b32_e32 v6, 2, v6
	s_waitcnt lgkmcnt(0)
	v_add_f16_e32 v1, v1, v8
	v_and_or_b32 v8, v8, s4, v1
	ds_bpermute_b32 v7, v6, v8
	v_cmp_eq_u32_e64 s[0:1], 0, v3
	s_and_saveexec_b64 s[4:5], s[0:1]
	s_cbranch_execz .LBB296_8
; %bb.7:
	v_lshrrev_b32_e32 v3, 5, v0
	s_waitcnt lgkmcnt(0)
	v_add_f16_e32 v1, v1, v7
	v_and_b32_e32 v3, 14, v3
	ds_write_b16 v3, v1
.LBB296_8:
	s_or_b64 exec, exec, s[4:5]
	v_cmp_gt_u32_e64 s[0:1], 8, v0
	v_mov_b32_e32 v1, 0
	s_waitcnt lgkmcnt(0)
	s_barrier
	s_and_saveexec_b64 s[4:5], s[0:1]
	s_cbranch_execnz .LBB296_12
; %bb.9:
	s_or_b64 exec, exec, s[4:5]
	s_and_saveexec_b64 s[0:1], vcc
	s_cbranch_execnz .LBB296_13
.LBB296_10:
	s_or_b64 exec, exec, s[0:1]
	v_cmp_eq_u32_e32 vcc, 0, v0
	s_and_saveexec_b64 s[0:1], vcc
	s_cbranch_execnz .LBB296_14
.LBB296_11:
	s_endpgm
.LBB296_12:
	ds_read_u16 v1, v2
	s_or_b64 exec, exec, s[4:5]
	s_and_saveexec_b64 s[0:1], vcc
	s_cbranch_execz .LBB296_10
.LBB296_13:
	s_waitcnt lgkmcnt(0)
	v_and_b32_e32 v2, 0xffff, v1
	ds_bpermute_b32 v2, v4, v2
	s_mov_b32 s4, 0xffff0000
	s_waitcnt lgkmcnt(0)
	v_add_f16_e32 v1, v1, v2
	v_and_or_b32 v2, v2, s4, v1
	ds_bpermute_b32 v2, v5, v2
	s_waitcnt lgkmcnt(0)
	v_add_f16_e32 v1, v1, v2
	v_and_or_b32 v2, v2, s4, v1
	ds_bpermute_b32 v2, v6, v2
	s_waitcnt lgkmcnt(0)
	v_add_f16_e32 v1, v1, v2
	s_or_b64 exec, exec, s[0:1]
	v_cmp_eq_u32_e32 vcc, 0, v0
	s_and_saveexec_b64 s[0:1], vcc
	s_cbranch_execz .LBB296_11
.LBB296_14:
	s_cmp_lg_u32 s18, 1
	s_mov_b64 s[0:1], -1
	s_cbranch_scc0 .LBB296_16
; %bb.15:
	s_mul_hi_u32 s1, s18, s2
	s_mul_i32 s0, s18, s2
	s_lshl_b64 s[0:1], s[0:1], 1
	s_mov_b32 s7, 0
	s_add_u32 s4, s8, s0
	s_addc_u32 s5, s9, s1
	s_lshl_b64 s[0:1], s[6:7], 1
	s_add_u32 s0, s4, s0
	s_addc_u32 s1, s5, s1
	v_mov_b32_e32 v0, 0
	s_waitcnt lgkmcnt(0)
	global_store_short v0, v1, s[0:1]
	s_mov_b64 s[0:1], 0
.LBB296_16:
	s_andn2_b64 vcc, exec, s[0:1]
	s_cbranch_vccnz .LBB296_11
; %bb.17:
	s_waitcnt lgkmcnt(0)
	v_cvt_f32_f16_e32 v0, v1
	s_lshl_b64 s[0:1], s[2:3], 2
	s_add_u32 s0, s10, s0
	s_addc_u32 s1, s11, s1
	v_mov_b32_e32 v1, 0
	global_store_dword v1, v0, s[0:1]
	s_endpgm
	.section	.rodata,"a",@progbits
	.p2align	6, 0x0
	.amdhsa_kernel _ZL23rocblas_dot_kernel_inc1ILb0ELi512ELi4ELb1EfPKDF16_DF16_EviT4_llS2_lliPT5_PT3_
		.amdhsa_group_segment_fixed_size 128
		.amdhsa_private_segment_fixed_size 0
		.amdhsa_kernarg_size 336
		.amdhsa_user_sgpr_count 6
		.amdhsa_user_sgpr_private_segment_buffer 1
		.amdhsa_user_sgpr_dispatch_ptr 0
		.amdhsa_user_sgpr_queue_ptr 0
		.amdhsa_user_sgpr_kernarg_segment_ptr 1
		.amdhsa_user_sgpr_dispatch_id 0
		.amdhsa_user_sgpr_flat_scratch_init 0
		.amdhsa_user_sgpr_kernarg_preload_length 0
		.amdhsa_user_sgpr_kernarg_preload_offset 0
		.amdhsa_user_sgpr_private_segment_size 0
		.amdhsa_uses_dynamic_stack 0
		.amdhsa_system_sgpr_private_segment_wavefront_offset 0
		.amdhsa_system_sgpr_workgroup_id_x 1
		.amdhsa_system_sgpr_workgroup_id_y 0
		.amdhsa_system_sgpr_workgroup_id_z 1
		.amdhsa_system_sgpr_workgroup_info 0
		.amdhsa_system_vgpr_workitem_id 0
		.amdhsa_next_free_vgpr 14
		.amdhsa_next_free_sgpr 28
		.amdhsa_accum_offset 16
		.amdhsa_reserve_vcc 1
		.amdhsa_reserve_flat_scratch 0
		.amdhsa_float_round_mode_32 0
		.amdhsa_float_round_mode_16_64 0
		.amdhsa_float_denorm_mode_32 3
		.amdhsa_float_denorm_mode_16_64 3
		.amdhsa_dx10_clamp 1
		.amdhsa_ieee_mode 1
		.amdhsa_fp16_overflow 0
		.amdhsa_tg_split 0
		.amdhsa_exception_fp_ieee_invalid_op 0
		.amdhsa_exception_fp_denorm_src 0
		.amdhsa_exception_fp_ieee_div_zero 0
		.amdhsa_exception_fp_ieee_overflow 0
		.amdhsa_exception_fp_ieee_underflow 0
		.amdhsa_exception_fp_ieee_inexact 0
		.amdhsa_exception_int_div_zero 0
	.end_amdhsa_kernel
	.section	.text._ZL23rocblas_dot_kernel_inc1ILb0ELi512ELi4ELb1EfPKDF16_DF16_EviT4_llS2_lliPT5_PT3_,"axG",@progbits,_ZL23rocblas_dot_kernel_inc1ILb0ELi512ELi4ELb1EfPKDF16_DF16_EviT4_llS2_lliPT5_PT3_,comdat
.Lfunc_end296:
	.size	_ZL23rocblas_dot_kernel_inc1ILb0ELi512ELi4ELb1EfPKDF16_DF16_EviT4_llS2_lliPT5_PT3_, .Lfunc_end296-_ZL23rocblas_dot_kernel_inc1ILb0ELi512ELi4ELb1EfPKDF16_DF16_EviT4_llS2_lliPT5_PT3_
                                        ; -- End function
	.section	.AMDGPU.csdata,"",@progbits
; Kernel info:
; codeLenInByte = 1040
; NumSgprs: 32
; NumVgprs: 14
; NumAgprs: 0
; TotalNumVgprs: 14
; ScratchSize: 0
; MemoryBound: 0
; FloatMode: 240
; IeeeMode: 1
; LDSByteSize: 128 bytes/workgroup (compile time only)
; SGPRBlocks: 3
; VGPRBlocks: 1
; NumSGPRsForWavesPerEU: 32
; NumVGPRsForWavesPerEU: 14
; AccumOffset: 16
; Occupancy: 8
; WaveLimiterHint : 0
; COMPUTE_PGM_RSRC2:SCRATCH_EN: 0
; COMPUTE_PGM_RSRC2:USER_SGPR: 6
; COMPUTE_PGM_RSRC2:TRAP_HANDLER: 0
; COMPUTE_PGM_RSRC2:TGID_X_EN: 1
; COMPUTE_PGM_RSRC2:TGID_Y_EN: 0
; COMPUTE_PGM_RSRC2:TGID_Z_EN: 1
; COMPUTE_PGM_RSRC2:TIDIG_COMP_CNT: 0
; COMPUTE_PGM_RSRC3_GFX90A:ACCUM_OFFSET: 3
; COMPUTE_PGM_RSRC3_GFX90A:TG_SPLIT: 0
	.section	.text._ZL18rocblas_dot_kernelIlLb0ELi512ELi4ELb1EfPKDF16_DF16_EviT5_lT_lS2_lS3_liPT6_PT4_,"axG",@progbits,_ZL18rocblas_dot_kernelIlLb0ELi512ELi4ELb1EfPKDF16_DF16_EviT5_lT_lS2_lS3_liPT6_PT4_,comdat
	.globl	_ZL18rocblas_dot_kernelIlLb0ELi512ELi4ELb1EfPKDF16_DF16_EviT5_lT_lS2_lS3_liPT6_PT4_ ; -- Begin function _ZL18rocblas_dot_kernelIlLb0ELi512ELi4ELb1EfPKDF16_DF16_EviT5_lT_lS2_lS3_liPT6_PT4_
	.p2align	8
	.type	_ZL18rocblas_dot_kernelIlLb0ELi512ELi4ELb1EfPKDF16_DF16_EviT5_lT_lS2_lS3_liPT6_PT4_,@function
_ZL18rocblas_dot_kernelIlLb0ELi512ELi4ELb1EfPKDF16_DF16_EviT5_lT_lS2_lS3_liPT6_PT4_: ; @_ZL18rocblas_dot_kernelIlLb0ELi512ELi4ELb1EfPKDF16_DF16_EviT5_lT_lS2_lS3_liPT6_PT4_
; %bb.0:
	s_mov_b32 s2, s7
	s_load_dword s22, s[4:5], 0x60
	s_load_dword s7, s[4:5], 0x0
	s_load_dwordx4 s[16:19], s[4:5], 0x50
	v_lshl_or_b32 v4, s6, 9, v0
	s_mov_b32 s3, 0
	v_mov_b32_e32 v6, 0
	s_waitcnt lgkmcnt(0)
	v_cmp_gt_i32_e32 vcc, s7, v4
	s_and_saveexec_b64 s[20:21], vcc
	s_cbranch_execz .LBB297_4
; %bb.1:
	s_load_dwordx8 s[8:15], s[4:5], 0x20
	s_load_dwordx2 s[0:1], s[4:5], 0x8
	s_load_dwordx4 s[24:27], s[4:5], 0x10
	s_load_dwordx2 s[28:29], s[4:5], 0x40
	s_lshl_b32 s23, s22, 9
	v_ashrrev_i32_e32 v5, 31, v4
	v_add_u32_e32 v1, s23, v4
	s_waitcnt lgkmcnt(0)
	v_mad_u64_u32 v[2:3], s[4:5], s26, v4, 0
	s_mul_i32 s4, s9, s2
	s_mul_hi_u32 s5, s8, s2
	s_add_i32 s5, s5, s4
	s_mul_i32 s4, s8, s2
	s_lshl_b64 s[4:5], s[4:5], 1
	s_lshl_b64 s[8:9], s[24:25], 1
	s_add_u32 s0, s0, s8
	v_mul_lo_u32 v6, s27, v4
	v_mul_lo_u32 v7, s26, v5
	s_addc_u32 s1, s1, s9
	v_add3_u32 v3, v3, v7, v6
	s_add_u32 s0, s0, s4
	v_lshlrev_b64 v[2:3], 1, v[2:3]
	s_addc_u32 s1, s1, s5
	s_ashr_i32 s24, s23, 31
	v_mov_b32_e32 v6, s1
	v_add_co_u32_e32 v2, vcc, s0, v2
	s_mul_i32 s0, s26, s24
	s_mul_hi_u32 s1, s26, s23
	s_add_i32 s0, s1, s0
	s_mul_i32 s1, s27, s23
	s_add_i32 s1, s0, s1
	s_mul_i32 s0, s26, s23
	v_addc_co_u32_e32 v3, vcc, v6, v3, vcc
	s_lshl_b64 s[4:5], s[0:1], 1
	v_mul_lo_u32 v6, s15, v4
	v_mul_lo_u32 v7, s14, v5
	v_mad_u64_u32 v[4:5], s[0:1], s14, v4, 0
	s_mul_i32 s0, s29, s2
	s_mul_hi_u32 s1, s28, s2
	s_add_i32 s1, s1, s0
	s_mul_i32 s0, s28, s2
	s_lshl_b64 s[0:1], s[0:1], 1
	s_lshl_b64 s[8:9], s[12:13], 1
	s_add_u32 s8, s10, s8
	s_addc_u32 s9, s11, s9
	v_add3_u32 v5, v5, v7, v6
	s_add_u32 s0, s8, s0
	v_lshlrev_b64 v[4:5], 1, v[4:5]
	s_addc_u32 s1, s9, s1
	v_mov_b32_e32 v6, s1
	v_add_co_u32_e32 v4, vcc, s0, v4
	s_mul_i32 s0, s14, s24
	s_mul_hi_u32 s1, s14, s23
	s_add_i32 s0, s1, s0
	s_mul_i32 s1, s15, s23
	s_add_i32 s1, s0, s1
	s_mul_i32 s0, s14, s23
	s_lshl_b64 s[10:11], s[0:1], 1
	v_addc_co_u32_e32 v5, vcc, v6, v5, vcc
	s_mov_b64 s[8:9], 0
	v_mov_b32_e32 v6, 0
	v_mov_b32_e32 v7, s5
	;; [unrolled: 1-line block ×3, first 2 shown]
	s_mov_b32 s5, s3
.LBB297_2:                              ; =>This Inner Loop Header: Depth=1
	global_load_ushort v9, v[4:5], off
	global_load_ushort v10, v[2:3], off
	v_add_co_u32_e64 v2, s[0:1], s4, v2
	v_addc_co_u32_e64 v3, s[0:1], v3, v7, s[0:1]
	s_add_i32 s11, s5, 1
	v_add_co_u32_e64 v4, s[0:1], s10, v4
	v_addc_co_u32_e64 v5, s[0:1], v5, v8, s[0:1]
	s_cmp_gt_u32 s5, 2
	v_cmp_le_i32_e32 vcc, s7, v1
	s_cselect_b64 s[0:1], -1, 0
	s_or_b64 s[0:1], s[0:1], vcc
	s_and_b64 s[0:1], exec, s[0:1]
	v_add_u32_e32 v1, s23, v1
	s_mov_b32 s5, s11
	s_or_b64 s[8:9], s[0:1], s[8:9]
	s_waitcnt vmcnt(0)
	v_fma_f16 v6, v9, v10, v6
	s_andn2_b64 exec, exec, s[8:9]
	s_cbranch_execnz .LBB297_2
; %bb.3:
	s_or_b64 exec, exec, s[8:9]
.LBB297_4:
	s_or_b64 exec, exec, s[20:21]
	v_and_b32_e32 v2, 63, v0
	v_cmp_gt_u32_e32 vcc, 64, v0
	v_lshlrev_b32_e32 v1, 1, v2
	s_and_saveexec_b64 s[0:1], vcc
	s_cbranch_execz .LBB297_6
; %bb.5:
	v_mov_b32_e32 v3, 0
	ds_write_b16 v1, v3
.LBB297_6:
	s_or_b64 exec, exec, s[0:1]
	v_mbcnt_lo_u32_b32 v3, -1, 0
	v_mbcnt_hi_u32_b32 v5, -1, v3
	v_and_b32_e32 v7, 63, v5
	v_cmp_gt_u32_e64 s[0:1], 32, v7
	v_cndmask_b32_e64 v4, 0, 1, s[0:1]
	v_lshlrev_b32_e32 v4, 5, v4
	v_and_b32_e32 v3, 0xffff, v6
	v_add_lshl_u32 v4, v4, v5, 2
	ds_bpermute_b32 v3, v4, v3
	v_cmp_gt_u32_e64 s[0:1], 48, v7
	s_mov_b32 s4, 0xffff0000
	s_waitcnt lgkmcnt(0)
	s_barrier
	v_add_f16_e32 v4, v6, v3
	v_cndmask_b32_e64 v6, 0, 1, s[0:1]
	v_lshlrev_b32_e32 v6, 4, v6
	v_and_or_b32 v3, v3, s4, v4
	v_add_lshl_u32 v6, v6, v5, 2
	ds_bpermute_b32 v3, v6, v3
	v_cmp_gt_u32_e64 s[0:1], 56, v7
	v_cndmask_b32_e64 v6, 0, 1, s[0:1]
	v_lshlrev_b32_e32 v6, 3, v6
	v_add_lshl_u32 v6, v6, v5, 2
	s_waitcnt lgkmcnt(0)
	v_add_f16_e32 v4, v4, v3
	v_and_or_b32 v3, v3, s4, v4
	ds_bpermute_b32 v3, v6, v3
	v_cmp_gt_u32_e64 s[0:1], 60, v7
	s_waitcnt lgkmcnt(0)
	v_add_f16_e32 v4, v4, v3
	v_and_or_b32 v6, v3, s4, v4
	v_cndmask_b32_e64 v3, 0, 1, s[0:1]
	v_lshlrev_b32_e32 v3, 2, v3
	v_add_lshl_u32 v3, v3, v5, 2
	ds_bpermute_b32 v6, v3, v6
	v_cmp_gt_u32_e64 s[0:1], 62, v7
	s_waitcnt lgkmcnt(0)
	v_add_f16_e32 v8, v4, v6
	v_cndmask_b32_e64 v4, 0, 1, s[0:1]
	v_lshlrev_b32_e32 v4, 1, v4
	v_and_or_b32 v6, v6, s4, v8
	v_add_lshl_u32 v4, v4, v5, 2
	ds_bpermute_b32 v9, v4, v6
	v_cmp_ne_u32_e64 s[0:1], 63, v7
	v_addc_co_u32_e64 v5, s[0:1], 0, v5, s[0:1]
	v_lshlrev_b32_e32 v5, 2, v5
	s_waitcnt lgkmcnt(0)
	v_add_f16_e32 v6, v8, v9
	v_and_or_b32 v8, v9, s4, v6
	ds_bpermute_b32 v7, v5, v8
	v_cmp_eq_u32_e64 s[0:1], 0, v2
	s_and_saveexec_b64 s[4:5], s[0:1]
	s_cbranch_execz .LBB297_8
; %bb.7:
	s_waitcnt lgkmcnt(0)
	v_add_f16_e32 v2, v6, v7
	v_lshrrev_b32_e32 v6, 5, v0
	v_and_b32_e32 v6, 14, v6
	ds_write_b16 v6, v2
.LBB297_8:
	s_or_b64 exec, exec, s[4:5]
	v_cmp_gt_u32_e64 s[0:1], 8, v0
	v_mov_b32_e32 v2, 0
	s_waitcnt lgkmcnt(0)
	s_barrier
	s_and_saveexec_b64 s[4:5], s[0:1]
	s_cbranch_execnz .LBB297_12
; %bb.9:
	s_or_b64 exec, exec, s[4:5]
	s_and_saveexec_b64 s[0:1], vcc
	s_cbranch_execnz .LBB297_13
.LBB297_10:
	s_or_b64 exec, exec, s[0:1]
	v_cmp_eq_u32_e32 vcc, 0, v0
	s_and_saveexec_b64 s[0:1], vcc
	s_cbranch_execnz .LBB297_14
.LBB297_11:
	s_endpgm
.LBB297_12:
	ds_read_u16 v2, v1
	s_or_b64 exec, exec, s[4:5]
	s_and_saveexec_b64 s[0:1], vcc
	s_cbranch_execz .LBB297_10
.LBB297_13:
	s_waitcnt lgkmcnt(0)
	v_and_b32_e32 v1, 0xffff, v2
	ds_bpermute_b32 v1, v3, v1
	s_mov_b32 s4, 0xffff0000
	s_waitcnt lgkmcnt(0)
	v_add_f16_e32 v2, v2, v1
	v_and_or_b32 v1, v1, s4, v2
	ds_bpermute_b32 v1, v4, v1
	s_waitcnt lgkmcnt(0)
	v_add_f16_e32 v2, v2, v1
	v_and_or_b32 v1, v1, s4, v2
	ds_bpermute_b32 v1, v5, v1
	s_waitcnt lgkmcnt(0)
	v_add_f16_e32 v2, v2, v1
	s_or_b64 exec, exec, s[0:1]
	v_cmp_eq_u32_e32 vcc, 0, v0
	s_and_saveexec_b64 s[0:1], vcc
	s_cbranch_execz .LBB297_11
.LBB297_14:
	s_cmp_lg_u32 s22, 1
	s_mov_b64 s[0:1], -1
	s_cbranch_scc0 .LBB297_16
; %bb.15:
	s_mul_hi_u32 s1, s22, s2
	s_mul_i32 s0, s22, s2
	s_lshl_b64 s[0:1], s[0:1], 1
	s_mov_b32 s7, 0
	s_add_u32 s4, s16, s0
	s_addc_u32 s5, s17, s1
	s_lshl_b64 s[0:1], s[6:7], 1
	s_add_u32 s0, s4, s0
	s_addc_u32 s1, s5, s1
	v_mov_b32_e32 v0, 0
	s_waitcnt lgkmcnt(0)
	global_store_short v0, v2, s[0:1]
	s_mov_b64 s[0:1], 0
.LBB297_16:
	s_andn2_b64 vcc, exec, s[0:1]
	s_cbranch_vccnz .LBB297_11
; %bb.17:
	s_waitcnt lgkmcnt(0)
	v_cvt_f32_f16_e32 v0, v2
	s_lshl_b64 s[0:1], s[2:3], 2
	s_add_u32 s0, s18, s0
	s_addc_u32 s1, s19, s1
	v_mov_b32_e32 v1, 0
	global_store_dword v1, v0, s[0:1]
	s_endpgm
	.section	.rodata,"a",@progbits
	.p2align	6, 0x0
	.amdhsa_kernel _ZL18rocblas_dot_kernelIlLb0ELi512ELi4ELb1EfPKDF16_DF16_EviT5_lT_lS2_lS3_liPT6_PT4_
		.amdhsa_group_segment_fixed_size 128
		.amdhsa_private_segment_fixed_size 0
		.amdhsa_kernarg_size 352
		.amdhsa_user_sgpr_count 6
		.amdhsa_user_sgpr_private_segment_buffer 1
		.amdhsa_user_sgpr_dispatch_ptr 0
		.amdhsa_user_sgpr_queue_ptr 0
		.amdhsa_user_sgpr_kernarg_segment_ptr 1
		.amdhsa_user_sgpr_dispatch_id 0
		.amdhsa_user_sgpr_flat_scratch_init 0
		.amdhsa_user_sgpr_kernarg_preload_length 0
		.amdhsa_user_sgpr_kernarg_preload_offset 0
		.amdhsa_user_sgpr_private_segment_size 0
		.amdhsa_uses_dynamic_stack 0
		.amdhsa_system_sgpr_private_segment_wavefront_offset 0
		.amdhsa_system_sgpr_workgroup_id_x 1
		.amdhsa_system_sgpr_workgroup_id_y 0
		.amdhsa_system_sgpr_workgroup_id_z 1
		.amdhsa_system_sgpr_workgroup_info 0
		.amdhsa_system_vgpr_workitem_id 0
		.amdhsa_next_free_vgpr 11
		.amdhsa_next_free_sgpr 30
		.amdhsa_accum_offset 12
		.amdhsa_reserve_vcc 1
		.amdhsa_reserve_flat_scratch 0
		.amdhsa_float_round_mode_32 0
		.amdhsa_float_round_mode_16_64 0
		.amdhsa_float_denorm_mode_32 3
		.amdhsa_float_denorm_mode_16_64 3
		.amdhsa_dx10_clamp 1
		.amdhsa_ieee_mode 1
		.amdhsa_fp16_overflow 0
		.amdhsa_tg_split 0
		.amdhsa_exception_fp_ieee_invalid_op 0
		.amdhsa_exception_fp_denorm_src 0
		.amdhsa_exception_fp_ieee_div_zero 0
		.amdhsa_exception_fp_ieee_overflow 0
		.amdhsa_exception_fp_ieee_underflow 0
		.amdhsa_exception_fp_ieee_inexact 0
		.amdhsa_exception_int_div_zero 0
	.end_amdhsa_kernel
	.section	.text._ZL18rocblas_dot_kernelIlLb0ELi512ELi4ELb1EfPKDF16_DF16_EviT5_lT_lS2_lS3_liPT6_PT4_,"axG",@progbits,_ZL18rocblas_dot_kernelIlLb0ELi512ELi4ELb1EfPKDF16_DF16_EviT5_lT_lS2_lS3_liPT6_PT4_,comdat
.Lfunc_end297:
	.size	_ZL18rocblas_dot_kernelIlLb0ELi512ELi4ELb1EfPKDF16_DF16_EviT5_lT_lS2_lS3_liPT6_PT4_, .Lfunc_end297-_ZL18rocblas_dot_kernelIlLb0ELi512ELi4ELb1EfPKDF16_DF16_EviT5_lT_lS2_lS3_liPT6_PT4_
                                        ; -- End function
	.section	.AMDGPU.csdata,"",@progbits
; Kernel info:
; codeLenInByte = 1184
; NumSgprs: 34
; NumVgprs: 11
; NumAgprs: 0
; TotalNumVgprs: 11
; ScratchSize: 0
; MemoryBound: 0
; FloatMode: 240
; IeeeMode: 1
; LDSByteSize: 128 bytes/workgroup (compile time only)
; SGPRBlocks: 4
; VGPRBlocks: 1
; NumSGPRsForWavesPerEU: 34
; NumVGPRsForWavesPerEU: 11
; AccumOffset: 12
; Occupancy: 8
; WaveLimiterHint : 0
; COMPUTE_PGM_RSRC2:SCRATCH_EN: 0
; COMPUTE_PGM_RSRC2:USER_SGPR: 6
; COMPUTE_PGM_RSRC2:TRAP_HANDLER: 0
; COMPUTE_PGM_RSRC2:TGID_X_EN: 1
; COMPUTE_PGM_RSRC2:TGID_Y_EN: 0
; COMPUTE_PGM_RSRC2:TGID_Z_EN: 1
; COMPUTE_PGM_RSRC2:TIDIG_COMP_CNT: 0
; COMPUTE_PGM_RSRC3_GFX90A:ACCUM_OFFSET: 2
; COMPUTE_PGM_RSRC3_GFX90A:TG_SPLIT: 0
	.section	.text._ZL24rocblas_dot_kernel_magsqIlLb0ELi512ELi4ELb1EfPKDF16_DF16_EviT5_lT_liPT6_PT4_,"axG",@progbits,_ZL24rocblas_dot_kernel_magsqIlLb0ELi512ELi4ELb1EfPKDF16_DF16_EviT5_lT_liPT6_PT4_,comdat
	.globl	_ZL24rocblas_dot_kernel_magsqIlLb0ELi512ELi4ELb1EfPKDF16_DF16_EviT5_lT_liPT6_PT4_ ; -- Begin function _ZL24rocblas_dot_kernel_magsqIlLb0ELi512ELi4ELb1EfPKDF16_DF16_EviT5_lT_liPT6_PT4_
	.p2align	8
	.type	_ZL24rocblas_dot_kernel_magsqIlLb0ELi512ELi4ELb1EfPKDF16_DF16_EviT5_lT_liPT6_PT4_,@function
_ZL24rocblas_dot_kernel_magsqIlLb0ELi512ELi4ELb1EfPKDF16_DF16_EviT5_lT_liPT6_PT4_: ; @_ZL24rocblas_dot_kernel_magsqIlLb0ELi512ELi4ELb1EfPKDF16_DF16_EviT5_lT_liPT6_PT4_
; %bb.0:
	s_mov_b32 s2, s7
	s_load_dword s7, s[4:5], 0x0
	s_load_dwordx4 s[8:11], s[4:5], 0x30
	s_load_dword s16, s[4:5], 0x40
	v_lshl_or_b32 v2, s6, 9, v0
	s_mov_b32 s3, 0
	s_waitcnt lgkmcnt(0)
	v_cmp_gt_i32_e32 vcc, s7, v2
	v_mov_b32_e32 v4, 0
	s_and_saveexec_b64 s[12:13], vcc
	s_cbranch_execz .LBB298_4
; %bb.1:
	s_load_dwordx2 s[0:1], s[4:5], 0x8
	s_load_dwordx4 s[20:23], s[4:5], 0x10
	s_load_dwordx2 s[14:15], s[4:5], 0x20
	s_lshl_b32 s17, s16, 9
	v_ashrrev_i32_e32 v3, 31, v2
	v_add_u32_e32 v1, s17, v2
	s_waitcnt lgkmcnt(0)
	v_mul_lo_u32 v4, s23, v2
	v_mul_lo_u32 v5, s22, v3
	v_mad_u64_u32 v[2:3], s[4:5], s22, v2, 0
	s_mul_i32 s4, s15, s2
	s_mul_hi_u32 s5, s14, s2
	s_add_i32 s5, s5, s4
	s_mul_i32 s4, s14, s2
	s_lshl_b64 s[4:5], s[4:5], 1
	s_lshl_b64 s[14:15], s[20:21], 1
	s_add_u32 s0, s0, s14
	v_add3_u32 v3, v3, v5, v4
	s_addc_u32 s1, s1, s15
	v_lshlrev_b64 v[2:3], 1, v[2:3]
	s_add_u32 s0, s0, s4
	s_addc_u32 s1, s1, s5
	v_add_co_u32_e32 v2, vcc, s0, v2
	s_ashr_i32 s0, s17, 31
	v_mov_b32_e32 v4, s1
	s_mul_i32 s0, s22, s0
	s_mul_hi_u32 s1, s22, s17
	s_add_i32 s0, s1, s0
	s_mul_i32 s1, s23, s17
	s_add_i32 s1, s0, s1
	s_mul_i32 s0, s22, s17
	s_lshl_b64 s[14:15], s[0:1], 1
	v_addc_co_u32_e32 v3, vcc, v4, v3, vcc
	s_mov_b64 s[4:5], 0
	v_mov_b32_e32 v4, 0
	v_mov_b32_e32 v5, s15
	s_mov_b32 s15, s3
.LBB298_2:                              ; =>This Inner Loop Header: Depth=1
	global_load_ushort v6, v[2:3], off
	s_add_i32 s18, s15, 1
	v_add_co_u32_e64 v2, s[0:1], s14, v2
	v_addc_co_u32_e64 v3, s[0:1], v3, v5, s[0:1]
	s_cmp_gt_u32 s15, 2
	v_cmp_le_i32_e32 vcc, s7, v1
	s_cselect_b64 s[0:1], -1, 0
	s_or_b64 s[0:1], s[0:1], vcc
	s_and_b64 s[0:1], exec, s[0:1]
	v_add_u32_e32 v1, s17, v1
	s_mov_b32 s15, s18
	s_or_b64 s[4:5], s[0:1], s[4:5]
	s_waitcnt vmcnt(0)
	v_fma_f16 v4, v6, v6, v4
	s_andn2_b64 exec, exec, s[4:5]
	s_cbranch_execnz .LBB298_2
; %bb.3:
	s_or_b64 exec, exec, s[4:5]
.LBB298_4:
	s_or_b64 exec, exec, s[12:13]
	v_and_b32_e32 v2, 63, v0
	v_cmp_gt_u32_e32 vcc, 64, v0
	v_lshlrev_b32_e32 v1, 1, v2
	s_and_saveexec_b64 s[0:1], vcc
	s_cbranch_execz .LBB298_6
; %bb.5:
	v_mov_b32_e32 v3, 0
	ds_write_b16 v1, v3
.LBB298_6:
	s_or_b64 exec, exec, s[0:1]
	v_mbcnt_lo_u32_b32 v3, -1, 0
	v_mbcnt_hi_u32_b32 v5, -1, v3
	v_and_b32_e32 v7, 63, v5
	v_cmp_gt_u32_e64 s[0:1], 32, v7
	v_cndmask_b32_e64 v6, 0, 1, s[0:1]
	v_lshlrev_b32_e32 v6, 5, v6
	v_and_b32_e32 v3, 0xffff, v4
	v_add_lshl_u32 v6, v6, v5, 2
	ds_bpermute_b32 v3, v6, v3
	v_cmp_gt_u32_e64 s[0:1], 48, v7
	v_cndmask_b32_e64 v6, 0, 1, s[0:1]
	s_mov_b32 s4, 0xffff0000
	v_lshlrev_b32_e32 v6, 4, v6
	s_waitcnt lgkmcnt(0)
	v_add_f16_e32 v4, v4, v3
	v_and_or_b32 v3, v3, s4, v4
	v_add_lshl_u32 v6, v6, v5, 2
	ds_bpermute_b32 v3, v6, v3
	v_cmp_gt_u32_e64 s[0:1], 56, v7
	v_cndmask_b32_e64 v6, 0, 1, s[0:1]
	v_lshlrev_b32_e32 v6, 3, v6
	v_add_lshl_u32 v6, v6, v5, 2
	s_waitcnt lgkmcnt(0)
	v_add_f16_e32 v4, v4, v3
	v_and_or_b32 v3, v3, s4, v4
	ds_bpermute_b32 v3, v6, v3
	v_cmp_gt_u32_e64 s[0:1], 60, v7
	s_waitcnt lgkmcnt(0)
	s_barrier
	v_add_f16_e32 v4, v4, v3
	v_and_or_b32 v6, v3, s4, v4
	v_cndmask_b32_e64 v3, 0, 1, s[0:1]
	v_lshlrev_b32_e32 v3, 2, v3
	v_add_lshl_u32 v3, v3, v5, 2
	ds_bpermute_b32 v6, v3, v6
	v_cmp_gt_u32_e64 s[0:1], 62, v7
	s_waitcnt lgkmcnt(0)
	v_add_f16_e32 v8, v4, v6
	v_cndmask_b32_e64 v4, 0, 1, s[0:1]
	v_lshlrev_b32_e32 v4, 1, v4
	v_and_or_b32 v6, v6, s4, v8
	v_add_lshl_u32 v4, v4, v5, 2
	ds_bpermute_b32 v9, v4, v6
	v_cmp_ne_u32_e64 s[0:1], 63, v7
	v_addc_co_u32_e64 v5, s[0:1], 0, v5, s[0:1]
	v_lshlrev_b32_e32 v5, 2, v5
	s_waitcnt lgkmcnt(0)
	v_add_f16_e32 v6, v8, v9
	v_and_or_b32 v8, v9, s4, v6
	ds_bpermute_b32 v7, v5, v8
	v_cmp_eq_u32_e64 s[0:1], 0, v2
	s_and_saveexec_b64 s[4:5], s[0:1]
	s_cbranch_execz .LBB298_8
; %bb.7:
	s_waitcnt lgkmcnt(0)
	v_add_f16_e32 v2, v6, v7
	v_lshrrev_b32_e32 v6, 5, v0
	v_and_b32_e32 v6, 14, v6
	ds_write_b16 v6, v2
.LBB298_8:
	s_or_b64 exec, exec, s[4:5]
	v_cmp_gt_u32_e64 s[0:1], 8, v0
	v_mov_b32_e32 v2, 0
	s_waitcnt lgkmcnt(0)
	s_barrier
	s_and_saveexec_b64 s[4:5], s[0:1]
	s_cbranch_execnz .LBB298_12
; %bb.9:
	s_or_b64 exec, exec, s[4:5]
	s_and_saveexec_b64 s[0:1], vcc
	s_cbranch_execnz .LBB298_13
.LBB298_10:
	s_or_b64 exec, exec, s[0:1]
	v_cmp_eq_u32_e32 vcc, 0, v0
	s_and_saveexec_b64 s[0:1], vcc
	s_cbranch_execnz .LBB298_14
.LBB298_11:
	s_endpgm
.LBB298_12:
	ds_read_u16 v2, v1
	s_or_b64 exec, exec, s[4:5]
	s_and_saveexec_b64 s[0:1], vcc
	s_cbranch_execz .LBB298_10
.LBB298_13:
	s_waitcnt lgkmcnt(0)
	v_and_b32_e32 v1, 0xffff, v2
	ds_bpermute_b32 v1, v3, v1
	s_mov_b32 s4, 0xffff0000
	s_waitcnt lgkmcnt(0)
	v_add_f16_e32 v2, v2, v1
	v_and_or_b32 v1, v1, s4, v2
	ds_bpermute_b32 v1, v4, v1
	s_waitcnt lgkmcnt(0)
	v_add_f16_e32 v2, v2, v1
	v_and_or_b32 v1, v1, s4, v2
	ds_bpermute_b32 v1, v5, v1
	s_waitcnt lgkmcnt(0)
	v_add_f16_e32 v2, v2, v1
	s_or_b64 exec, exec, s[0:1]
	v_cmp_eq_u32_e32 vcc, 0, v0
	s_and_saveexec_b64 s[0:1], vcc
	s_cbranch_execz .LBB298_11
.LBB298_14:
	s_cmp_lg_u32 s16, 1
	s_mov_b64 s[0:1], -1
	s_cbranch_scc0 .LBB298_16
; %bb.15:
	s_mul_hi_u32 s1, s16, s2
	s_mul_i32 s0, s16, s2
	s_lshl_b64 s[0:1], s[0:1], 1
	s_mov_b32 s7, 0
	s_add_u32 s4, s8, s0
	s_addc_u32 s5, s9, s1
	s_lshl_b64 s[0:1], s[6:7], 1
	s_add_u32 s0, s4, s0
	s_addc_u32 s1, s5, s1
	v_mov_b32_e32 v0, 0
	s_waitcnt lgkmcnt(0)
	global_store_short v0, v2, s[0:1]
	s_mov_b64 s[0:1], 0
.LBB298_16:
	s_andn2_b64 vcc, exec, s[0:1]
	s_cbranch_vccnz .LBB298_11
; %bb.17:
	s_waitcnt lgkmcnt(0)
	v_cvt_f32_f16_e32 v0, v2
	s_lshl_b64 s[0:1], s[2:3], 2
	s_add_u32 s0, s10, s0
	s_addc_u32 s1, s11, s1
	v_mov_b32_e32 v1, 0
	global_store_dword v1, v0, s[0:1]
	s_endpgm
	.section	.rodata,"a",@progbits
	.p2align	6, 0x0
	.amdhsa_kernel _ZL24rocblas_dot_kernel_magsqIlLb0ELi512ELi4ELb1EfPKDF16_DF16_EviT5_lT_liPT6_PT4_
		.amdhsa_group_segment_fixed_size 128
		.amdhsa_private_segment_fixed_size 0
		.amdhsa_kernarg_size 320
		.amdhsa_user_sgpr_count 6
		.amdhsa_user_sgpr_private_segment_buffer 1
		.amdhsa_user_sgpr_dispatch_ptr 0
		.amdhsa_user_sgpr_queue_ptr 0
		.amdhsa_user_sgpr_kernarg_segment_ptr 1
		.amdhsa_user_sgpr_dispatch_id 0
		.amdhsa_user_sgpr_flat_scratch_init 0
		.amdhsa_user_sgpr_kernarg_preload_length 0
		.amdhsa_user_sgpr_kernarg_preload_offset 0
		.amdhsa_user_sgpr_private_segment_size 0
		.amdhsa_uses_dynamic_stack 0
		.amdhsa_system_sgpr_private_segment_wavefront_offset 0
		.amdhsa_system_sgpr_workgroup_id_x 1
		.amdhsa_system_sgpr_workgroup_id_y 0
		.amdhsa_system_sgpr_workgroup_id_z 1
		.amdhsa_system_sgpr_workgroup_info 0
		.amdhsa_system_vgpr_workitem_id 0
		.amdhsa_next_free_vgpr 10
		.amdhsa_next_free_sgpr 24
		.amdhsa_accum_offset 12
		.amdhsa_reserve_vcc 1
		.amdhsa_reserve_flat_scratch 0
		.amdhsa_float_round_mode_32 0
		.amdhsa_float_round_mode_16_64 0
		.amdhsa_float_denorm_mode_32 3
		.amdhsa_float_denorm_mode_16_64 3
		.amdhsa_dx10_clamp 1
		.amdhsa_ieee_mode 1
		.amdhsa_fp16_overflow 0
		.amdhsa_tg_split 0
		.amdhsa_exception_fp_ieee_invalid_op 0
		.amdhsa_exception_fp_denorm_src 0
		.amdhsa_exception_fp_ieee_div_zero 0
		.amdhsa_exception_fp_ieee_overflow 0
		.amdhsa_exception_fp_ieee_underflow 0
		.amdhsa_exception_fp_ieee_inexact 0
		.amdhsa_exception_int_div_zero 0
	.end_amdhsa_kernel
	.section	.text._ZL24rocblas_dot_kernel_magsqIlLb0ELi512ELi4ELb1EfPKDF16_DF16_EviT5_lT_liPT6_PT4_,"axG",@progbits,_ZL24rocblas_dot_kernel_magsqIlLb0ELi512ELi4ELb1EfPKDF16_DF16_EviT5_lT_liPT6_PT4_,comdat
.Lfunc_end298:
	.size	_ZL24rocblas_dot_kernel_magsqIlLb0ELi512ELi4ELb1EfPKDF16_DF16_EviT5_lT_liPT6_PT4_, .Lfunc_end298-_ZL24rocblas_dot_kernel_magsqIlLb0ELi512ELi4ELb1EfPKDF16_DF16_EviT5_lT_liPT6_PT4_
                                        ; -- End function
	.section	.AMDGPU.csdata,"",@progbits
; Kernel info:
; codeLenInByte = 1028
; NumSgprs: 28
; NumVgprs: 10
; NumAgprs: 0
; TotalNumVgprs: 10
; ScratchSize: 0
; MemoryBound: 0
; FloatMode: 240
; IeeeMode: 1
; LDSByteSize: 128 bytes/workgroup (compile time only)
; SGPRBlocks: 3
; VGPRBlocks: 1
; NumSGPRsForWavesPerEU: 28
; NumVGPRsForWavesPerEU: 10
; AccumOffset: 12
; Occupancy: 8
; WaveLimiterHint : 0
; COMPUTE_PGM_RSRC2:SCRATCH_EN: 0
; COMPUTE_PGM_RSRC2:USER_SGPR: 6
; COMPUTE_PGM_RSRC2:TRAP_HANDLER: 0
; COMPUTE_PGM_RSRC2:TGID_X_EN: 1
; COMPUTE_PGM_RSRC2:TGID_Y_EN: 0
; COMPUTE_PGM_RSRC2:TGID_Z_EN: 1
; COMPUTE_PGM_RSRC2:TIDIG_COMP_CNT: 0
; COMPUTE_PGM_RSRC3_GFX90A:ACCUM_OFFSET: 2
; COMPUTE_PGM_RSRC3_GFX90A:TG_SPLIT: 0
	.section	.text._ZL30rocblas_reduction_kernel_part2ILi512ELi4E25rocblas_finalize_identityDF16_fEviPT2_PT3_,"axG",@progbits,_ZL30rocblas_reduction_kernel_part2ILi512ELi4E25rocblas_finalize_identityDF16_fEviPT2_PT3_,comdat
	.globl	_ZL30rocblas_reduction_kernel_part2ILi512ELi4E25rocblas_finalize_identityDF16_fEviPT2_PT3_ ; -- Begin function _ZL30rocblas_reduction_kernel_part2ILi512ELi4E25rocblas_finalize_identityDF16_fEviPT2_PT3_
	.p2align	8
	.type	_ZL30rocblas_reduction_kernel_part2ILi512ELi4E25rocblas_finalize_identityDF16_fEviPT2_PT3_,@function
_ZL30rocblas_reduction_kernel_part2ILi512ELi4E25rocblas_finalize_identityDF16_fEviPT2_PT3_: ; @_ZL30rocblas_reduction_kernel_part2ILi512ELi4E25rocblas_finalize_identityDF16_fEviPT2_PT3_
; %bb.0:
	s_load_dword s12, s[4:5], 0x0
	s_load_dwordx4 s[0:3], s[4:5], 0x8
	v_lshlrev_b32_e32 v4, 2, v0
	s_mov_b32 s7, 0
	v_mov_b32_e32 v1, 0
	s_waitcnt lgkmcnt(0)
	s_ashr_i32 s8, s12, 31
	s_mul_i32 s5, s8, s6
	s_lshr_b32 s8, s8, 30
	s_add_i32 s8, s12, s8
	s_mul_hi_u32 s4, s12, s6
	s_and_b32 s13, s8, -4
	s_add_i32 s5, s4, s5
	s_mul_i32 s4, s12, s6
	v_cmp_gt_i32_e32 vcc, s13, v4
	s_and_saveexec_b64 s[8:9], vcc
	s_cbranch_execz .LBB299_4
; %bb.1:
	s_lshl_b64 s[10:11], s[4:5], 1
	s_add_u32 s10, s0, s10
	v_lshlrev_b32_e32 v2, 3, v0
	s_addc_u32 s11, s1, s11
	v_mov_b32_e32 v3, s11
	v_add_co_u32_e32 v2, vcc, s10, v2
	v_addc_co_u32_e32 v3, vcc, 0, v3, vcc
	v_add_co_u32_e32 v2, vcc, 4, v2
	v_mov_b32_e32 v1, 0
	v_addc_co_u32_e32 v3, vcc, 0, v3, vcc
	s_mov_b64 s[10:11], 0
.LBB299_2:                              ; =>This Inner Loop Header: Depth=1
	global_load_dwordx2 v[6:7], v[2:3], off offset:-4
	v_add_co_u32_e32 v2, vcc, 0x1000, v2
	v_add_u32_e32 v4, 0x800, v4
	v_addc_co_u32_e32 v3, vcc, 0, v3, vcc
	v_cmp_le_i32_e32 vcc, s13, v4
	s_or_b64 s[10:11], vcc, s[10:11]
	s_waitcnt vmcnt(0)
	v_add_f16_e32 v1, v1, v6
	v_add_f16_sdwa v1, v1, v6 dst_sel:DWORD dst_unused:UNUSED_PAD src0_sel:DWORD src1_sel:WORD_1
	v_add_f16_e32 v1, v1, v7
	v_add_f16_sdwa v1, v1, v7 dst_sel:DWORD dst_unused:UNUSED_PAD src0_sel:DWORD src1_sel:WORD_1
	s_andn2_b64 exec, exec, s[10:11]
	s_cbranch_execnz .LBB299_2
; %bb.3:
	s_or_b64 exec, exec, s[10:11]
.LBB299_4:
	s_or_b64 exec, exec, s[8:9]
	s_sub_i32 s8, s12, s13
	v_cmp_gt_u32_e32 vcc, s8, v0
	s_and_saveexec_b64 s[8:9], vcc
	s_cbranch_execz .LBB299_6
; %bb.5:
	s_lshl_b64 s[4:5], s[4:5], 1
	s_add_u32 s0, s0, s4
	v_xad_u32 v2, v0, -1, s12
	v_mov_b32_e32 v3, 0
	s_addc_u32 s1, s1, s5
	v_lshlrev_b64 v[2:3], 1, v[2:3]
	v_mov_b32_e32 v4, s1
	v_add_co_u32_e32 v2, vcc, s0, v2
	v_addc_co_u32_e32 v3, vcc, v4, v3, vcc
	global_load_ushort v2, v[2:3], off
	s_waitcnt vmcnt(0)
	v_add_f16_e32 v1, v1, v2
.LBB299_6:
	s_or_b64 exec, exec, s[8:9]
	v_and_b32_e32 v3, 63, v0
	v_cmp_gt_u32_e32 vcc, 64, v0
	v_lshlrev_b32_e32 v2, 1, v3
	s_and_saveexec_b64 s[0:1], vcc
	s_cbranch_execz .LBB299_8
; %bb.7:
	v_mov_b32_e32 v4, 0
	ds_write_b16 v2, v4
.LBB299_8:
	s_or_b64 exec, exec, s[0:1]
	v_mbcnt_lo_u32_b32 v4, -1, 0
	v_mbcnt_hi_u32_b32 v5, -1, v4
	v_and_b32_e32 v7, 63, v5
	v_cmp_gt_u32_e64 s[0:1], 32, v7
	v_cndmask_b32_e64 v6, 0, 1, s[0:1]
	v_lshlrev_b32_e32 v6, 5, v6
	v_and_b32_e32 v4, 0xffff, v1
	v_add_lshl_u32 v6, v6, v5, 2
	ds_bpermute_b32 v4, v6, v4
	v_cmp_gt_u32_e64 s[0:1], 48, v7
	v_cndmask_b32_e64 v6, 0, 1, s[0:1]
	s_mov_b32 s4, 0xffff0000
	v_lshlrev_b32_e32 v6, 4, v6
	s_waitcnt lgkmcnt(0)
	v_add_f16_e32 v1, v1, v4
	v_and_or_b32 v4, v4, s4, v1
	v_add_lshl_u32 v6, v6, v5, 2
	ds_bpermute_b32 v4, v6, v4
	v_cmp_gt_u32_e64 s[0:1], 56, v7
	v_cndmask_b32_e64 v6, 0, 1, s[0:1]
	v_lshlrev_b32_e32 v6, 3, v6
	v_add_lshl_u32 v6, v6, v5, 2
	s_waitcnt lgkmcnt(0)
	v_add_f16_e32 v1, v1, v4
	v_and_or_b32 v4, v4, s4, v1
	ds_bpermute_b32 v4, v6, v4
	v_cmp_gt_u32_e64 s[0:1], 60, v7
	s_waitcnt lgkmcnt(0)
	s_barrier
	v_add_f16_e32 v6, v1, v4
	v_cndmask_b32_e64 v1, 0, 1, s[0:1]
	v_lshlrev_b32_e32 v1, 2, v1
	v_and_or_b32 v4, v4, s4, v6
	v_add_lshl_u32 v1, v1, v5, 2
	ds_bpermute_b32 v4, v1, v4
	v_cmp_gt_u32_e64 s[0:1], 62, v7
	s_waitcnt lgkmcnt(0)
	v_add_f16_e32 v6, v6, v4
	v_and_or_b32 v8, v4, s4, v6
	v_cndmask_b32_e64 v4, 0, 1, s[0:1]
	v_lshlrev_b32_e32 v4, 1, v4
	v_add_lshl_u32 v4, v4, v5, 2
	ds_bpermute_b32 v8, v4, v8
	v_cmp_ne_u32_e64 s[0:1], 63, v7
	v_addc_co_u32_e64 v5, s[0:1], 0, v5, s[0:1]
	v_lshlrev_b32_e32 v5, 2, v5
	s_waitcnt lgkmcnt(0)
	v_add_f16_e32 v6, v6, v8
	v_and_or_b32 v8, v8, s4, v6
	ds_bpermute_b32 v7, v5, v8
	v_cmp_eq_u32_e64 s[0:1], 0, v3
	s_and_saveexec_b64 s[4:5], s[0:1]
	s_cbranch_execz .LBB299_10
; %bb.9:
	s_waitcnt lgkmcnt(0)
	v_add_f16_e32 v3, v6, v7
	v_lshrrev_b32_e32 v6, 5, v0
	v_and_b32_e32 v6, 14, v6
	ds_write_b16 v6, v3
.LBB299_10:
	s_or_b64 exec, exec, s[4:5]
	v_cmp_gt_u32_e64 s[0:1], 8, v0
	v_mov_b32_e32 v3, 0
	s_waitcnt lgkmcnt(0)
	s_barrier
	s_and_saveexec_b64 s[4:5], s[0:1]
	s_cbranch_execnz .LBB299_14
; %bb.11:
	s_or_b64 exec, exec, s[4:5]
	s_and_saveexec_b64 s[0:1], vcc
	s_cbranch_execnz .LBB299_15
.LBB299_12:
	s_or_b64 exec, exec, s[0:1]
	v_cmp_eq_u32_e32 vcc, 0, v0
	s_and_saveexec_b64 s[0:1], vcc
	s_cbranch_execnz .LBB299_16
.LBB299_13:
	s_endpgm
.LBB299_14:
	ds_read_u16 v3, v2
	s_or_b64 exec, exec, s[4:5]
	s_and_saveexec_b64 s[0:1], vcc
	s_cbranch_execz .LBB299_12
.LBB299_15:
	s_waitcnt lgkmcnt(0)
	v_and_b32_e32 v2, 0xffff, v3
	ds_bpermute_b32 v1, v1, v2
	s_mov_b32 s4, 0xffff0000
	s_waitcnt lgkmcnt(0)
	v_add_f16_e32 v2, v3, v1
	v_and_or_b32 v1, v1, s4, v2
	ds_bpermute_b32 v1, v4, v1
	s_waitcnt lgkmcnt(0)
	v_add_f16_e32 v2, v2, v1
	v_and_or_b32 v1, v1, s4, v2
	ds_bpermute_b32 v1, v5, v1
	s_waitcnt lgkmcnt(0)
	v_add_f16_e32 v3, v2, v1
	s_or_b64 exec, exec, s[0:1]
	v_cmp_eq_u32_e32 vcc, 0, v0
	s_and_saveexec_b64 s[0:1], vcc
	s_cbranch_execz .LBB299_13
.LBB299_16:
	s_waitcnt lgkmcnt(0)
	v_cvt_f32_f16_e32 v0, v3
	s_lshl_b64 s[0:1], s[6:7], 2
	s_add_u32 s0, s2, s0
	s_addc_u32 s1, s3, s1
	v_mov_b32_e32 v1, 0
	global_store_dword v1, v0, s[0:1]
	s_endpgm
	.section	.rodata,"a",@progbits
	.p2align	6, 0x0
	.amdhsa_kernel _ZL30rocblas_reduction_kernel_part2ILi512ELi4E25rocblas_finalize_identityDF16_fEviPT2_PT3_
		.amdhsa_group_segment_fixed_size 128
		.amdhsa_private_segment_fixed_size 0
		.amdhsa_kernarg_size 24
		.amdhsa_user_sgpr_count 6
		.amdhsa_user_sgpr_private_segment_buffer 1
		.amdhsa_user_sgpr_dispatch_ptr 0
		.amdhsa_user_sgpr_queue_ptr 0
		.amdhsa_user_sgpr_kernarg_segment_ptr 1
		.amdhsa_user_sgpr_dispatch_id 0
		.amdhsa_user_sgpr_flat_scratch_init 0
		.amdhsa_user_sgpr_kernarg_preload_length 0
		.amdhsa_user_sgpr_kernarg_preload_offset 0
		.amdhsa_user_sgpr_private_segment_size 0
		.amdhsa_uses_dynamic_stack 0
		.amdhsa_system_sgpr_private_segment_wavefront_offset 0
		.amdhsa_system_sgpr_workgroup_id_x 1
		.amdhsa_system_sgpr_workgroup_id_y 0
		.amdhsa_system_sgpr_workgroup_id_z 0
		.amdhsa_system_sgpr_workgroup_info 0
		.amdhsa_system_vgpr_workitem_id 0
		.amdhsa_next_free_vgpr 9
		.amdhsa_next_free_sgpr 14
		.amdhsa_accum_offset 12
		.amdhsa_reserve_vcc 1
		.amdhsa_reserve_flat_scratch 0
		.amdhsa_float_round_mode_32 0
		.amdhsa_float_round_mode_16_64 0
		.amdhsa_float_denorm_mode_32 3
		.amdhsa_float_denorm_mode_16_64 3
		.amdhsa_dx10_clamp 1
		.amdhsa_ieee_mode 1
		.amdhsa_fp16_overflow 0
		.amdhsa_tg_split 0
		.amdhsa_exception_fp_ieee_invalid_op 0
		.amdhsa_exception_fp_denorm_src 0
		.amdhsa_exception_fp_ieee_div_zero 0
		.amdhsa_exception_fp_ieee_overflow 0
		.amdhsa_exception_fp_ieee_underflow 0
		.amdhsa_exception_fp_ieee_inexact 0
		.amdhsa_exception_int_div_zero 0
	.end_amdhsa_kernel
	.section	.text._ZL30rocblas_reduction_kernel_part2ILi512ELi4E25rocblas_finalize_identityDF16_fEviPT2_PT3_,"axG",@progbits,_ZL30rocblas_reduction_kernel_part2ILi512ELi4E25rocblas_finalize_identityDF16_fEviPT2_PT3_,comdat
.Lfunc_end299:
	.size	_ZL30rocblas_reduction_kernel_part2ILi512ELi4E25rocblas_finalize_identityDF16_fEviPT2_PT3_, .Lfunc_end299-_ZL30rocblas_reduction_kernel_part2ILi512ELi4E25rocblas_finalize_identityDF16_fEviPT2_PT3_
                                        ; -- End function
	.section	.AMDGPU.csdata,"",@progbits
; Kernel info:
; codeLenInByte = 904
; NumSgprs: 18
; NumVgprs: 9
; NumAgprs: 0
; TotalNumVgprs: 9
; ScratchSize: 0
; MemoryBound: 0
; FloatMode: 240
; IeeeMode: 1
; LDSByteSize: 128 bytes/workgroup (compile time only)
; SGPRBlocks: 2
; VGPRBlocks: 1
; NumSGPRsForWavesPerEU: 18
; NumVGPRsForWavesPerEU: 9
; AccumOffset: 12
; Occupancy: 8
; WaveLimiterHint : 0
; COMPUTE_PGM_RSRC2:SCRATCH_EN: 0
; COMPUTE_PGM_RSRC2:USER_SGPR: 6
; COMPUTE_PGM_RSRC2:TRAP_HANDLER: 0
; COMPUTE_PGM_RSRC2:TGID_X_EN: 1
; COMPUTE_PGM_RSRC2:TGID_Y_EN: 0
; COMPUTE_PGM_RSRC2:TGID_Z_EN: 0
; COMPUTE_PGM_RSRC2:TIDIG_COMP_CNT: 0
; COMPUTE_PGM_RSRC3_GFX90A:ACCUM_OFFSET: 2
; COMPUTE_PGM_RSRC3_GFX90A:TG_SPLIT: 0
	.section	.text._ZL28rocblas_dot_batched_4_kernelIlLi32ELi4ELb1EDF16_fPKPKDF16_EviT5_lT_lS4_lS5_liPT4_,"axG",@progbits,_ZL28rocblas_dot_batched_4_kernelIlLi32ELi4ELb1EDF16_fPKPKDF16_EviT5_lT_lS4_lS5_liPT4_,comdat
	.globl	_ZL28rocblas_dot_batched_4_kernelIlLi32ELi4ELb1EDF16_fPKPKDF16_EviT5_lT_lS4_lS5_liPT4_ ; -- Begin function _ZL28rocblas_dot_batched_4_kernelIlLi32ELi4ELb1EDF16_fPKPKDF16_EviT5_lT_lS4_lS5_liPT4_
	.p2align	8
	.type	_ZL28rocblas_dot_batched_4_kernelIlLi32ELi4ELb1EDF16_fPKPKDF16_EviT5_lT_lS4_lS5_liPT4_,@function
_ZL28rocblas_dot_batched_4_kernelIlLi32ELi4ELb1EDF16_fPKPKDF16_EviT5_lT_lS4_lS5_liPT4_: ; @_ZL28rocblas_dot_batched_4_kernelIlLi32ELi4ELb1EDF16_fPKPKDF16_EviT5_lT_lS4_lS5_liPT4_
; %bb.0:
	s_load_dword s0, s[4:5], 0x48
	v_bfe_u32 v1, v0, 10, 10
	v_lshl_add_u32 v2, s6, 2, v1
	s_waitcnt lgkmcnt(0)
	v_cmp_gt_u32_e32 vcc, s0, v2
	s_and_saveexec_b64 s[0:1], vcc
	s_cbranch_execz .LBB300_7
; %bb.1:
	s_load_dword s14, s[4:5], 0x0
	s_load_dwordx2 s[8:9], s[4:5], 0x50
	v_mov_b32_e32 v3, 0
	v_and_b32_e32 v6, 0x3ff, v0
	v_mov_b32_e32 v7, v3
	s_waitcnt lgkmcnt(0)
	v_cmp_gt_i32_e32 vcc, s14, v6
	s_and_saveexec_b64 s[10:11], vcc
	s_cbranch_execz .LBB300_5
; %bb.2:
	s_load_dwordx2 s[6:7], s[4:5], 0x8
	s_load_dwordx2 s[12:13], s[4:5], 0x28
	v_lshlrev_b64 v[0:1], 3, v[2:3]
	s_load_dwordx4 s[0:3], s[4:5], 0x10
	s_waitcnt lgkmcnt(0)
	v_mov_b32_e32 v5, s7
	v_add_co_u32_e32 v4, vcc, s6, v0
	v_addc_co_u32_e32 v5, vcc, v5, v1, vcc
	global_load_dwordx2 v[4:5], v[4:5], off
	v_mov_b32_e32 v7, s13
	v_add_co_u32_e32 v0, vcc, s12, v0
	v_addc_co_u32_e32 v1, vcc, v7, v1, vcc
	global_load_dwordx2 v[10:11], v[0:1], off
	s_load_dwordx4 s[4:7], s[4:5], 0x30
	v_mad_u64_u32 v[0:1], s[16:17], s2, v6, 0
	v_mov_b32_e32 v14, v1
	s_lshl_b64 s[16:17], s[0:1], 1
	s_lshl_b64 s[0:1], s[2:3], 6
	s_waitcnt lgkmcnt(0)
	v_mad_u64_u32 v[12:13], s[18:19], s6, v6, 0
	v_mad_u64_u32 v[14:15], s[2:3], s3, v6, v[14:15]
	v_mov_b32_e32 v16, v13
	v_mov_b32_e32 v1, v14
	v_mad_u64_u32 v[16:17], s[2:3], s7, v6, v[16:17]
	v_lshlrev_b64 v[0:1], 1, v[0:1]
	v_mov_b32_e32 v18, s17
	v_mov_b32_e32 v13, v16
	v_add_co_u32_e32 v0, vcc, s16, v0
	s_lshl_b64 s[18:19], s[4:5], 1
	v_lshlrev_b64 v[12:13], 1, v[12:13]
	v_addc_co_u32_e32 v1, vcc, v1, v18, vcc
	v_mov_b32_e32 v19, s19
	v_add_co_u32_e32 v12, vcc, s18, v12
	v_addc_co_u32_e32 v13, vcc, v13, v19, vcc
	s_lshl_b64 s[4:5], s[6:7], 6
	s_mov_b64 s[12:13], 0
	v_mov_b32_e32 v7, 0
	v_mov_b32_e32 v8, s1
	v_mov_b32_e32 v9, s5
	s_waitcnt vmcnt(1)
	v_add_co_u32_e32 v0, vcc, v4, v0
	v_addc_co_u32_e32 v1, vcc, v5, v1, vcc
	s_waitcnt vmcnt(0)
	v_add_co_u32_e32 v4, vcc, v10, v12
	v_addc_co_u32_e32 v5, vcc, v11, v13, vcc
	v_mov_b32_e32 v10, v6
.LBB300_3:                              ; =>This Inner Loop Header: Depth=1
	global_load_ushort v11, v[0:1], off
	global_load_ushort v12, v[4:5], off
	v_add_co_u32_e32 v0, vcc, s0, v0
	v_addc_co_u32_e32 v1, vcc, v1, v8, vcc
	v_add_co_u32_e32 v4, vcc, s4, v4
	v_add_u32_e32 v10, 32, v10
	v_addc_co_u32_e32 v5, vcc, v5, v9, vcc
	v_cmp_le_i32_e32 vcc, s14, v10
	s_or_b64 s[12:13], vcc, s[12:13]
	s_waitcnt vmcnt(0)
	v_fma_f16 v7, v11, v12, v7
	s_andn2_b64 exec, exec, s[12:13]
	s_cbranch_execnz .LBB300_3
; %bb.4:
	s_or_b64 exec, exec, s[12:13]
.LBB300_5:
	s_or_b64 exec, exec, s[10:11]
	v_mbcnt_lo_u32_b32 v0, -1, 0
	v_mbcnt_hi_u32_b32 v1, -1, v0
	v_and_b32_e32 v4, 63, v1
	v_cmp_gt_u32_e32 vcc, 48, v4
	v_cndmask_b32_e64 v5, 0, 1, vcc
	v_lshlrev_b32_e32 v5, 4, v5
	v_and_b32_e32 v0, 0xffff, v7
	v_add_lshl_u32 v5, v5, v1, 2
	ds_bpermute_b32 v0, v5, v0
	v_cmp_gt_u32_e32 vcc, 56, v4
	s_mov_b32 s0, 0xffff0000
	s_waitcnt lgkmcnt(0)
	s_barrier
	v_add_f16_e32 v5, v7, v0
	v_cndmask_b32_e64 v7, 0, 1, vcc
	v_lshlrev_b32_e32 v7, 3, v7
	v_and_or_b32 v0, v0, s0, v5
	v_add_lshl_u32 v7, v7, v1, 2
	ds_bpermute_b32 v0, v7, v0
	v_cmp_gt_u32_e32 vcc, 60, v4
	v_cndmask_b32_e64 v7, 0, 1, vcc
	v_lshlrev_b32_e32 v7, 2, v7
	v_add_lshl_u32 v7, v7, v1, 2
	s_waitcnt lgkmcnt(0)
	v_add_f16_e32 v5, v5, v0
	v_and_or_b32 v0, v0, s0, v5
	ds_bpermute_b32 v0, v7, v0
	v_cmp_gt_u32_e32 vcc, 62, v4
	v_cndmask_b32_e64 v7, 0, 1, vcc
	v_lshlrev_b32_e32 v7, 1, v7
	v_add_lshl_u32 v7, v7, v1, 2
	s_waitcnt lgkmcnt(0)
	v_add_f16_e32 v5, v5, v0
	v_and_or_b32 v0, v0, s0, v5
	ds_bpermute_b32 v7, v7, v0
	v_cmp_ne_u32_e32 vcc, 63, v4
	v_addc_co_u32_e32 v1, vcc, 0, v1, vcc
	v_lshlrev_b32_e32 v1, 2, v1
	s_waitcnt lgkmcnt(0)
	v_add_f16_e32 v0, v5, v7
	v_and_or_b32 v5, v7, s0, v0
	ds_bpermute_b32 v1, v1, v5
	v_cmp_eq_u32_e32 vcc, 0, v6
	s_waitcnt lgkmcnt(0)
	s_and_b64 exec, exec, vcc
	s_cbranch_execz .LBB300_7
; %bb.6:
	v_add_f16_e32 v0, v0, v1
	v_cvt_f32_f16_e32 v5, v0
	v_lshlrev_b64 v[2:3], 2, v[2:3]
	v_mov_b32_e32 v4, s9
	v_add_co_u32_e32 v0, vcc, s8, v2
	v_addc_co_u32_e32 v1, vcc, v4, v3, vcc
	global_store_dword v[0:1], v5, off
.LBB300_7:
	s_endpgm
	.section	.rodata,"a",@progbits
	.p2align	6, 0x0
	.amdhsa_kernel _ZL28rocblas_dot_batched_4_kernelIlLi32ELi4ELb1EDF16_fPKPKDF16_EviT5_lT_lS4_lS5_liPT4_
		.amdhsa_group_segment_fixed_size 0
		.amdhsa_private_segment_fixed_size 0
		.amdhsa_kernarg_size 88
		.amdhsa_user_sgpr_count 6
		.amdhsa_user_sgpr_private_segment_buffer 1
		.amdhsa_user_sgpr_dispatch_ptr 0
		.amdhsa_user_sgpr_queue_ptr 0
		.amdhsa_user_sgpr_kernarg_segment_ptr 1
		.amdhsa_user_sgpr_dispatch_id 0
		.amdhsa_user_sgpr_flat_scratch_init 0
		.amdhsa_user_sgpr_kernarg_preload_length 0
		.amdhsa_user_sgpr_kernarg_preload_offset 0
		.amdhsa_user_sgpr_private_segment_size 0
		.amdhsa_uses_dynamic_stack 0
		.amdhsa_system_sgpr_private_segment_wavefront_offset 0
		.amdhsa_system_sgpr_workgroup_id_x 1
		.amdhsa_system_sgpr_workgroup_id_y 0
		.amdhsa_system_sgpr_workgroup_id_z 0
		.amdhsa_system_sgpr_workgroup_info 0
		.amdhsa_system_vgpr_workitem_id 1
		.amdhsa_next_free_vgpr 20
		.amdhsa_next_free_sgpr 20
		.amdhsa_accum_offset 20
		.amdhsa_reserve_vcc 1
		.amdhsa_reserve_flat_scratch 0
		.amdhsa_float_round_mode_32 0
		.amdhsa_float_round_mode_16_64 0
		.amdhsa_float_denorm_mode_32 3
		.amdhsa_float_denorm_mode_16_64 3
		.amdhsa_dx10_clamp 1
		.amdhsa_ieee_mode 1
		.amdhsa_fp16_overflow 0
		.amdhsa_tg_split 0
		.amdhsa_exception_fp_ieee_invalid_op 0
		.amdhsa_exception_fp_denorm_src 0
		.amdhsa_exception_fp_ieee_div_zero 0
		.amdhsa_exception_fp_ieee_overflow 0
		.amdhsa_exception_fp_ieee_underflow 0
		.amdhsa_exception_fp_ieee_inexact 0
		.amdhsa_exception_int_div_zero 0
	.end_amdhsa_kernel
	.section	.text._ZL28rocblas_dot_batched_4_kernelIlLi32ELi4ELb1EDF16_fPKPKDF16_EviT5_lT_lS4_lS5_liPT4_,"axG",@progbits,_ZL28rocblas_dot_batched_4_kernelIlLi32ELi4ELb1EDF16_fPKPKDF16_EviT5_lT_lS4_lS5_liPT4_,comdat
.Lfunc_end300:
	.size	_ZL28rocblas_dot_batched_4_kernelIlLi32ELi4ELb1EDF16_fPKPKDF16_EviT5_lT_lS4_lS5_liPT4_, .Lfunc_end300-_ZL28rocblas_dot_batched_4_kernelIlLi32ELi4ELb1EDF16_fPKPKDF16_EviT5_lT_lS4_lS5_liPT4_
                                        ; -- End function
	.section	.AMDGPU.csdata,"",@progbits
; Kernel info:
; codeLenInByte = 704
; NumSgprs: 24
; NumVgprs: 20
; NumAgprs: 0
; TotalNumVgprs: 20
; ScratchSize: 0
; MemoryBound: 0
; FloatMode: 240
; IeeeMode: 1
; LDSByteSize: 0 bytes/workgroup (compile time only)
; SGPRBlocks: 2
; VGPRBlocks: 2
; NumSGPRsForWavesPerEU: 24
; NumVGPRsForWavesPerEU: 20
; AccumOffset: 20
; Occupancy: 8
; WaveLimiterHint : 0
; COMPUTE_PGM_RSRC2:SCRATCH_EN: 0
; COMPUTE_PGM_RSRC2:USER_SGPR: 6
; COMPUTE_PGM_RSRC2:TRAP_HANDLER: 0
; COMPUTE_PGM_RSRC2:TGID_X_EN: 1
; COMPUTE_PGM_RSRC2:TGID_Y_EN: 0
; COMPUTE_PGM_RSRC2:TGID_Z_EN: 0
; COMPUTE_PGM_RSRC2:TIDIG_COMP_CNT: 1
; COMPUTE_PGM_RSRC3_GFX90A:ACCUM_OFFSET: 4
; COMPUTE_PGM_RSRC3_GFX90A:TG_SPLIT: 0
	.section	.text._ZL28rocblas_dot_batched_4_kernelIlLi64ELi4ELb1EDF16_fPKPKDF16_EviT5_lT_lS4_lS5_liPT4_,"axG",@progbits,_ZL28rocblas_dot_batched_4_kernelIlLi64ELi4ELb1EDF16_fPKPKDF16_EviT5_lT_lS4_lS5_liPT4_,comdat
	.globl	_ZL28rocblas_dot_batched_4_kernelIlLi64ELi4ELb1EDF16_fPKPKDF16_EviT5_lT_lS4_lS5_liPT4_ ; -- Begin function _ZL28rocblas_dot_batched_4_kernelIlLi64ELi4ELb1EDF16_fPKPKDF16_EviT5_lT_lS4_lS5_liPT4_
	.p2align	8
	.type	_ZL28rocblas_dot_batched_4_kernelIlLi64ELi4ELb1EDF16_fPKPKDF16_EviT5_lT_lS4_lS5_liPT4_,@function
_ZL28rocblas_dot_batched_4_kernelIlLi64ELi4ELb1EDF16_fPKPKDF16_EviT5_lT_lS4_lS5_liPT4_: ; @_ZL28rocblas_dot_batched_4_kernelIlLi64ELi4ELb1EDF16_fPKPKDF16_EviT5_lT_lS4_lS5_liPT4_
; %bb.0:
	s_load_dword s0, s[4:5], 0x48
	v_bfe_u32 v1, v0, 10, 10
	v_lshl_add_u32 v2, s6, 2, v1
	s_waitcnt lgkmcnt(0)
	v_cmp_gt_u32_e32 vcc, s0, v2
	s_and_saveexec_b64 s[0:1], vcc
	s_cbranch_execz .LBB301_7
; %bb.1:
	s_load_dword s14, s[4:5], 0x0
	s_load_dwordx2 s[8:9], s[4:5], 0x50
	v_mov_b32_e32 v3, 0
	v_and_b32_e32 v6, 0x3ff, v0
	v_mov_b32_e32 v7, v3
	s_waitcnt lgkmcnt(0)
	v_cmp_gt_i32_e32 vcc, s14, v6
	s_and_saveexec_b64 s[10:11], vcc
	s_cbranch_execz .LBB301_5
; %bb.2:
	s_load_dwordx2 s[6:7], s[4:5], 0x8
	s_load_dwordx2 s[12:13], s[4:5], 0x28
	v_lshlrev_b64 v[0:1], 3, v[2:3]
	s_load_dwordx4 s[0:3], s[4:5], 0x10
	s_waitcnt lgkmcnt(0)
	v_mov_b32_e32 v5, s7
	v_add_co_u32_e32 v4, vcc, s6, v0
	v_addc_co_u32_e32 v5, vcc, v5, v1, vcc
	global_load_dwordx2 v[4:5], v[4:5], off
	v_mov_b32_e32 v7, s13
	v_add_co_u32_e32 v0, vcc, s12, v0
	v_addc_co_u32_e32 v1, vcc, v7, v1, vcc
	global_load_dwordx2 v[10:11], v[0:1], off
	s_load_dwordx4 s[4:7], s[4:5], 0x30
	v_mad_u64_u32 v[0:1], s[16:17], s2, v6, 0
	v_mov_b32_e32 v14, v1
	s_lshl_b64 s[16:17], s[0:1], 1
	s_lshl_b64 s[0:1], s[2:3], 7
	s_waitcnt lgkmcnt(0)
	v_mad_u64_u32 v[12:13], s[18:19], s6, v6, 0
	v_mad_u64_u32 v[14:15], s[2:3], s3, v6, v[14:15]
	v_mov_b32_e32 v16, v13
	v_mov_b32_e32 v1, v14
	v_mad_u64_u32 v[16:17], s[2:3], s7, v6, v[16:17]
	v_lshlrev_b64 v[0:1], 1, v[0:1]
	v_mov_b32_e32 v18, s17
	v_mov_b32_e32 v13, v16
	v_add_co_u32_e32 v0, vcc, s16, v0
	s_lshl_b64 s[18:19], s[4:5], 1
	v_lshlrev_b64 v[12:13], 1, v[12:13]
	v_addc_co_u32_e32 v1, vcc, v1, v18, vcc
	v_mov_b32_e32 v19, s19
	v_add_co_u32_e32 v12, vcc, s18, v12
	v_addc_co_u32_e32 v13, vcc, v13, v19, vcc
	s_lshl_b64 s[4:5], s[6:7], 7
	s_mov_b64 s[12:13], 0
	v_mov_b32_e32 v7, 0
	v_mov_b32_e32 v8, s1
	;; [unrolled: 1-line block ×3, first 2 shown]
	s_waitcnt vmcnt(1)
	v_add_co_u32_e32 v0, vcc, v4, v0
	v_addc_co_u32_e32 v1, vcc, v5, v1, vcc
	s_waitcnt vmcnt(0)
	v_add_co_u32_e32 v4, vcc, v10, v12
	v_addc_co_u32_e32 v5, vcc, v11, v13, vcc
	v_mov_b32_e32 v10, v6
.LBB301_3:                              ; =>This Inner Loop Header: Depth=1
	global_load_ushort v11, v[0:1], off
	global_load_ushort v12, v[4:5], off
	v_add_co_u32_e32 v0, vcc, s0, v0
	v_addc_co_u32_e32 v1, vcc, v1, v8, vcc
	v_add_co_u32_e32 v4, vcc, s4, v4
	v_add_u32_e32 v10, 64, v10
	v_addc_co_u32_e32 v5, vcc, v5, v9, vcc
	v_cmp_le_i32_e32 vcc, s14, v10
	s_or_b64 s[12:13], vcc, s[12:13]
	s_waitcnt vmcnt(0)
	v_fma_f16 v7, v11, v12, v7
	s_andn2_b64 exec, exec, s[12:13]
	s_cbranch_execnz .LBB301_3
; %bb.4:
	s_or_b64 exec, exec, s[12:13]
.LBB301_5:
	s_or_b64 exec, exec, s[10:11]
	v_mbcnt_lo_u32_b32 v0, -1, 0
	v_mbcnt_hi_u32_b32 v1, -1, v0
	v_and_b32_e32 v4, 63, v1
	v_cmp_gt_u32_e32 vcc, 32, v4
	v_cndmask_b32_e64 v5, 0, 1, vcc
	v_lshlrev_b32_e32 v5, 5, v5
	v_and_b32_e32 v0, 0xffff, v7
	v_add_lshl_u32 v5, v5, v1, 2
	ds_bpermute_b32 v0, v5, v0
	v_cmp_gt_u32_e32 vcc, 48, v4
	s_mov_b32 s0, 0xffff0000
	s_waitcnt lgkmcnt(0)
	s_barrier
	v_add_f16_e32 v5, v7, v0
	v_cndmask_b32_e64 v7, 0, 1, vcc
	v_lshlrev_b32_e32 v7, 4, v7
	v_and_or_b32 v0, v0, s0, v5
	v_add_lshl_u32 v7, v7, v1, 2
	ds_bpermute_b32 v0, v7, v0
	v_cmp_gt_u32_e32 vcc, 56, v4
	v_cndmask_b32_e64 v7, 0, 1, vcc
	v_lshlrev_b32_e32 v7, 3, v7
	v_add_lshl_u32 v7, v7, v1, 2
	s_waitcnt lgkmcnt(0)
	v_add_f16_e32 v5, v5, v0
	v_and_or_b32 v0, v0, s0, v5
	ds_bpermute_b32 v0, v7, v0
	v_cmp_gt_u32_e32 vcc, 60, v4
	v_cndmask_b32_e64 v7, 0, 1, vcc
	v_lshlrev_b32_e32 v7, 2, v7
	v_add_lshl_u32 v7, v7, v1, 2
	s_waitcnt lgkmcnt(0)
	v_add_f16_e32 v5, v5, v0
	v_and_or_b32 v0, v0, s0, v5
	;; [unrolled: 8-line block ×3, first 2 shown]
	ds_bpermute_b32 v7, v7, v0
	v_cmp_ne_u32_e32 vcc, 63, v4
	v_addc_co_u32_e32 v1, vcc, 0, v1, vcc
	v_lshlrev_b32_e32 v1, 2, v1
	s_waitcnt lgkmcnt(0)
	v_add_f16_e32 v0, v5, v7
	v_and_or_b32 v5, v7, s0, v0
	ds_bpermute_b32 v1, v1, v5
	v_cmp_eq_u32_e32 vcc, 0, v6
	s_waitcnt lgkmcnt(0)
	s_and_b64 exec, exec, vcc
	s_cbranch_execz .LBB301_7
; %bb.6:
	v_add_f16_e32 v0, v0, v1
	v_cvt_f32_f16_e32 v5, v0
	v_lshlrev_b64 v[2:3], 2, v[2:3]
	v_mov_b32_e32 v4, s9
	v_add_co_u32_e32 v0, vcc, s8, v2
	v_addc_co_u32_e32 v1, vcc, v4, v3, vcc
	global_store_dword v[0:1], v5, off
.LBB301_7:
	s_endpgm
	.section	.rodata,"a",@progbits
	.p2align	6, 0x0
	.amdhsa_kernel _ZL28rocblas_dot_batched_4_kernelIlLi64ELi4ELb1EDF16_fPKPKDF16_EviT5_lT_lS4_lS5_liPT4_
		.amdhsa_group_segment_fixed_size 0
		.amdhsa_private_segment_fixed_size 0
		.amdhsa_kernarg_size 88
		.amdhsa_user_sgpr_count 6
		.amdhsa_user_sgpr_private_segment_buffer 1
		.amdhsa_user_sgpr_dispatch_ptr 0
		.amdhsa_user_sgpr_queue_ptr 0
		.amdhsa_user_sgpr_kernarg_segment_ptr 1
		.amdhsa_user_sgpr_dispatch_id 0
		.amdhsa_user_sgpr_flat_scratch_init 0
		.amdhsa_user_sgpr_kernarg_preload_length 0
		.amdhsa_user_sgpr_kernarg_preload_offset 0
		.amdhsa_user_sgpr_private_segment_size 0
		.amdhsa_uses_dynamic_stack 0
		.amdhsa_system_sgpr_private_segment_wavefront_offset 0
		.amdhsa_system_sgpr_workgroup_id_x 1
		.amdhsa_system_sgpr_workgroup_id_y 0
		.amdhsa_system_sgpr_workgroup_id_z 0
		.amdhsa_system_sgpr_workgroup_info 0
		.amdhsa_system_vgpr_workitem_id 1
		.amdhsa_next_free_vgpr 20
		.amdhsa_next_free_sgpr 20
		.amdhsa_accum_offset 20
		.amdhsa_reserve_vcc 1
		.amdhsa_reserve_flat_scratch 0
		.amdhsa_float_round_mode_32 0
		.amdhsa_float_round_mode_16_64 0
		.amdhsa_float_denorm_mode_32 3
		.amdhsa_float_denorm_mode_16_64 3
		.amdhsa_dx10_clamp 1
		.amdhsa_ieee_mode 1
		.amdhsa_fp16_overflow 0
		.amdhsa_tg_split 0
		.amdhsa_exception_fp_ieee_invalid_op 0
		.amdhsa_exception_fp_denorm_src 0
		.amdhsa_exception_fp_ieee_div_zero 0
		.amdhsa_exception_fp_ieee_overflow 0
		.amdhsa_exception_fp_ieee_underflow 0
		.amdhsa_exception_fp_ieee_inexact 0
		.amdhsa_exception_int_div_zero 0
	.end_amdhsa_kernel
	.section	.text._ZL28rocblas_dot_batched_4_kernelIlLi64ELi4ELb1EDF16_fPKPKDF16_EviT5_lT_lS4_lS5_liPT4_,"axG",@progbits,_ZL28rocblas_dot_batched_4_kernelIlLi64ELi4ELb1EDF16_fPKPKDF16_EviT5_lT_lS4_lS5_liPT4_,comdat
.Lfunc_end301:
	.size	_ZL28rocblas_dot_batched_4_kernelIlLi64ELi4ELb1EDF16_fPKPKDF16_EviT5_lT_lS4_lS5_liPT4_, .Lfunc_end301-_ZL28rocblas_dot_batched_4_kernelIlLi64ELi4ELb1EDF16_fPKPKDF16_EviT5_lT_lS4_lS5_liPT4_
                                        ; -- End function
	.section	.AMDGPU.csdata,"",@progbits
; Kernel info:
; codeLenInByte = 752
; NumSgprs: 24
; NumVgprs: 20
; NumAgprs: 0
; TotalNumVgprs: 20
; ScratchSize: 0
; MemoryBound: 0
; FloatMode: 240
; IeeeMode: 1
; LDSByteSize: 0 bytes/workgroup (compile time only)
; SGPRBlocks: 2
; VGPRBlocks: 2
; NumSGPRsForWavesPerEU: 24
; NumVGPRsForWavesPerEU: 20
; AccumOffset: 20
; Occupancy: 8
; WaveLimiterHint : 0
; COMPUTE_PGM_RSRC2:SCRATCH_EN: 0
; COMPUTE_PGM_RSRC2:USER_SGPR: 6
; COMPUTE_PGM_RSRC2:TRAP_HANDLER: 0
; COMPUTE_PGM_RSRC2:TGID_X_EN: 1
; COMPUTE_PGM_RSRC2:TGID_Y_EN: 0
; COMPUTE_PGM_RSRC2:TGID_Z_EN: 0
; COMPUTE_PGM_RSRC2:TIDIG_COMP_CNT: 1
; COMPUTE_PGM_RSRC3_GFX90A:ACCUM_OFFSET: 4
; COMPUTE_PGM_RSRC3_GFX90A:TG_SPLIT: 0
	.section	.text._ZL26rocblas_dot_kernel_inc1by2ILb1ELi1024ELi32ELb1EfPKPKDF16_DF16_EviT4_llS4_lliPT5_PT3_,"axG",@progbits,_ZL26rocblas_dot_kernel_inc1by2ILb1ELi1024ELi32ELb1EfPKPKDF16_DF16_EviT4_llS4_lliPT5_PT3_,comdat
	.globl	_ZL26rocblas_dot_kernel_inc1by2ILb1ELi1024ELi32ELb1EfPKPKDF16_DF16_EviT4_llS4_lliPT5_PT3_ ; -- Begin function _ZL26rocblas_dot_kernel_inc1by2ILb1ELi1024ELi32ELb1EfPKPKDF16_DF16_EviT4_llS4_lliPT5_PT3_
	.p2align	8
	.type	_ZL26rocblas_dot_kernel_inc1by2ILb1ELi1024ELi32ELb1EfPKPKDF16_DF16_EviT4_llS4_lliPT5_PT3_,@function
_ZL26rocblas_dot_kernel_inc1by2ILb1ELi1024ELi32ELb1EfPKPKDF16_DF16_EviT4_llS4_lliPT5_PT3_: ; @_ZL26rocblas_dot_kernel_inc1by2ILb1ELi1024ELi32ELb1EfPKPKDF16_DF16_EviT4_llS4_lliPT5_PT3_
; %bb.0:
	s_load_dword s20, s[4:5], 0x0
	s_load_dwordx4 s[0:3], s[4:5], 0x8
	s_load_dwordx2 s[12:13], s[4:5], 0x48
	s_load_dwordx4 s[8:11], s[4:5], 0x20
	s_mov_b32 s6, s7
	s_mov_b32 s7, 0
	s_lshl_b64 s[14:15], s[6:7], 3
	s_waitcnt lgkmcnt(0)
	s_add_u32 s0, s0, s14
	s_addc_u32 s1, s1, s15
	s_load_dwordx2 s[4:5], s[0:1], 0x0
	s_add_u32 s0, s8, s14
	s_addc_u32 s1, s9, s15
	s_load_dwordx2 s[14:15], s[0:1], 0x0
	v_lshlrev_b32_e32 v6, 1, v0
	s_add_i32 s8, s20, -1
	v_cmp_gt_i32_e32 vcc, s8, v6
	v_mov_b32_e32 v1, 0
	s_and_saveexec_b64 s[16:17], vcc
	s_cbranch_execz .LBB302_4
; %bb.1:
	s_lshl_b64 s[0:1], s[10:11], 1
	s_waitcnt lgkmcnt(0)
	s_add_u32 s0, s14, s0
	v_lshlrev_b32_e32 v4, 2, v0
	s_addc_u32 s1, s15, s1
	v_mov_b32_e32 v3, s1
	v_add_co_u32_e32 v2, vcc, s0, v4
	s_lshl_b64 s[0:1], s[2:3], 1
	s_add_u32 s0, s4, s0
	v_addc_co_u32_e32 v3, vcc, 0, v3, vcc
	s_addc_u32 s1, s5, s1
	v_mov_b32_e32 v5, s1
	v_add_co_u32_e32 v4, vcc, s0, v4
	v_mov_b32_e32 v1, 0
	v_addc_co_u32_e32 v5, vcc, 0, v5, vcc
	s_mov_b64 s[18:19], 0
	s_mov_b32 s9, s7
.LBB302_2:                              ; =>This Inner Loop Header: Depth=1
	global_load_dword v7, v[2:3], off
	global_load_dword v8, v[4:5], off
	s_add_i32 s21, s9, 1
	v_add_u32_e32 v6, 0x800, v6
	s_cmp_gt_u32 s9, 30
	v_add_co_u32_e32 v2, vcc, 0x1000, v2
	v_cmp_le_i32_e64 s[0:1], s8, v6
	s_cselect_b64 s[22:23], -1, 0
	v_addc_co_u32_e32 v3, vcc, 0, v3, vcc
	s_or_b64 s[0:1], s[22:23], s[0:1]
	v_add_co_u32_e32 v4, vcc, 0x1000, v4
	s_and_b64 s[0:1], exec, s[0:1]
	s_mov_b32 s9, s21
	v_addc_co_u32_e32 v5, vcc, 0, v5, vcc
	s_or_b64 s[18:19], s[0:1], s[18:19]
	s_waitcnt vmcnt(0)
	v_pk_mul_f16 v7, v7, v8
	v_add_f16_e32 v1, v1, v7
	v_add_f16_sdwa v1, v1, v7 dst_sel:DWORD dst_unused:UNUSED_PAD src0_sel:DWORD src1_sel:WORD_1
	s_andn2_b64 exec, exec, s[18:19]
	s_cbranch_execnz .LBB302_2
; %bb.3:
	s_or_b64 exec, exec, s[18:19]
.LBB302_4:
	s_or_b64 exec, exec, s[16:17]
	s_bitcmp1_b32 s20, 0
	s_cselect_b64 s[0:1], -1, 0
	v_cmp_eq_u32_e32 vcc, s8, v6
	s_and_b64 s[16:17], s[0:1], vcc
	s_and_saveexec_b64 s[0:1], s[16:17]
	s_cbranch_execz .LBB302_6
; %bb.5:
	s_lshl_b64 s[2:3], s[2:3], 1
	s_waitcnt lgkmcnt(0)
	s_add_u32 s4, s4, s2
	s_addc_u32 s5, s5, s3
	s_lshl_b64 s[2:3], s[10:11], 1
	s_add_u32 s10, s14, s2
	s_mov_b32 s9, 0
	s_addc_u32 s11, s15, s3
	s_lshl_b64 s[2:3], s[8:9], 1
	s_add_u32 s4, s4, s2
	s_addc_u32 s5, s5, s3
	s_add_u32 s2, s10, s2
	v_mov_b32_e32 v2, 0
	s_addc_u32 s3, s11, s3
	global_load_ushort v3, v2, s[2:3]
	global_load_ushort v4, v2, s[4:5]
	s_waitcnt vmcnt(0)
	v_fma_f16 v1, v3, v4, v1
.LBB302_6:
	s_or_b64 exec, exec, s[0:1]
	v_and_b32_e32 v3, 63, v0
	v_cmp_gt_u32_e32 vcc, 64, v0
	v_lshlrev_b32_e32 v2, 1, v3
	s_and_saveexec_b64 s[0:1], vcc
	s_cbranch_execz .LBB302_8
; %bb.7:
	v_mov_b32_e32 v4, 0
	ds_write_b16 v2, v4
.LBB302_8:
	s_or_b64 exec, exec, s[0:1]
	v_mbcnt_lo_u32_b32 v4, -1, 0
	v_mbcnt_hi_u32_b32 v6, -1, v4
	v_and_b32_e32 v8, 63, v6
	v_cmp_gt_u32_e64 s[0:1], 32, v8
	v_cndmask_b32_e64 v5, 0, 1, s[0:1]
	v_lshlrev_b32_e32 v5, 5, v5
	v_and_b32_e32 v4, 0xffff, v1
	v_add_lshl_u32 v5, v5, v6, 2
	ds_bpermute_b32 v4, v5, v4
	v_cmp_gt_u32_e64 s[0:1], 48, v8
	v_cndmask_b32_e64 v5, 0, 1, s[0:1]
	s_mov_b32 s2, 0xffff0000
	v_lshlrev_b32_e32 v5, 4, v5
	s_waitcnt lgkmcnt(0)
	v_add_f16_e32 v1, v1, v4
	v_and_or_b32 v4, v4, s2, v1
	v_add_lshl_u32 v5, v5, v6, 2
	ds_bpermute_b32 v4, v5, v4
	v_cmp_gt_u32_e64 s[0:1], 56, v8
	s_waitcnt lgkmcnt(0)
	s_barrier
	v_add_f16_e32 v5, v1, v4
	v_cndmask_b32_e64 v1, 0, 1, s[0:1]
	v_lshlrev_b32_e32 v1, 3, v1
	v_and_or_b32 v4, v4, s2, v5
	v_add_lshl_u32 v1, v1, v6, 2
	ds_bpermute_b32 v4, v1, v4
	v_cmp_gt_u32_e64 s[0:1], 60, v8
	s_waitcnt lgkmcnt(0)
	v_add_f16_e32 v5, v5, v4
	v_and_or_b32 v7, v4, s2, v5
	v_cndmask_b32_e64 v4, 0, 1, s[0:1]
	v_lshlrev_b32_e32 v4, 2, v4
	v_add_lshl_u32 v4, v4, v6, 2
	ds_bpermute_b32 v7, v4, v7
	v_cmp_gt_u32_e64 s[0:1], 62, v8
	s_waitcnt lgkmcnt(0)
	v_add_f16_e32 v9, v5, v7
	v_cndmask_b32_e64 v5, 0, 1, s[0:1]
	v_lshlrev_b32_e32 v5, 1, v5
	v_and_or_b32 v7, v7, s2, v9
	v_add_lshl_u32 v5, v5, v6, 2
	ds_bpermute_b32 v10, v5, v7
	v_cmp_ne_u32_e64 s[0:1], 63, v8
	v_addc_co_u32_e64 v6, s[0:1], 0, v6, s[0:1]
	v_lshlrev_b32_e32 v6, 2, v6
	s_waitcnt lgkmcnt(0)
	v_add_f16_e32 v7, v9, v10
	v_and_or_b32 v9, v10, s2, v7
	ds_bpermute_b32 v8, v6, v9
	v_cmp_eq_u32_e64 s[0:1], 0, v3
	s_and_saveexec_b64 s[2:3], s[0:1]
	s_cbranch_execz .LBB302_10
; %bb.9:
	s_waitcnt lgkmcnt(0)
	v_add_f16_e32 v3, v7, v8
	v_lshrrev_b32_e32 v7, 5, v0
	v_and_b32_e32 v7, 30, v7
	ds_write_b16 v7, v3
.LBB302_10:
	s_or_b64 exec, exec, s[2:3]
	v_cmp_gt_u32_e64 s[0:1], 16, v0
	v_mov_b32_e32 v3, 0
	s_waitcnt lgkmcnt(0)
	s_barrier
	s_and_saveexec_b64 s[2:3], s[0:1]
	s_cbranch_execnz .LBB302_14
; %bb.11:
	s_or_b64 exec, exec, s[2:3]
	s_and_saveexec_b64 s[0:1], vcc
	s_cbranch_execnz .LBB302_15
.LBB302_12:
	s_or_b64 exec, exec, s[0:1]
	v_cmp_eq_u32_e32 vcc, 0, v0
	s_and_saveexec_b64 s[0:1], vcc
	s_cbranch_execnz .LBB302_16
.LBB302_13:
	s_endpgm
.LBB302_14:
	ds_read_u16 v3, v2
	s_or_b64 exec, exec, s[2:3]
	s_and_saveexec_b64 s[0:1], vcc
	s_cbranch_execz .LBB302_12
.LBB302_15:
	s_waitcnt lgkmcnt(0)
	v_and_b32_e32 v2, 0xffff, v3
	ds_bpermute_b32 v1, v1, v2
	s_mov_b32 s2, 0xffff0000
	s_waitcnt lgkmcnt(0)
	v_add_f16_e32 v2, v3, v1
	v_and_or_b32 v1, v1, s2, v2
	ds_bpermute_b32 v1, v4, v1
	s_waitcnt lgkmcnt(0)
	v_add_f16_e32 v2, v2, v1
	v_and_or_b32 v1, v1, s2, v2
	ds_bpermute_b32 v1, v5, v1
	;; [unrolled: 4-line block ×3, first 2 shown]
	s_waitcnt lgkmcnt(0)
	v_add_f16_e32 v3, v2, v1
	s_or_b64 exec, exec, s[0:1]
	v_cmp_eq_u32_e32 vcc, 0, v0
	s_and_saveexec_b64 s[0:1], vcc
	s_cbranch_execz .LBB302_13
.LBB302_16:
	s_waitcnt lgkmcnt(0)
	v_cvt_f32_f16_e32 v0, v3
	s_lshl_b64 s[0:1], s[6:7], 2
	s_add_u32 s0, s12, s0
	s_addc_u32 s1, s13, s1
	v_mov_b32_e32 v1, 0
	global_store_dword v1, v0, s[0:1]
	s_endpgm
	.section	.rodata,"a",@progbits
	.p2align	6, 0x0
	.amdhsa_kernel _ZL26rocblas_dot_kernel_inc1by2ILb1ELi1024ELi32ELb1EfPKPKDF16_DF16_EviT4_llS4_lliPT5_PT3_
		.amdhsa_group_segment_fixed_size 128
		.amdhsa_private_segment_fixed_size 0
		.amdhsa_kernarg_size 80
		.amdhsa_user_sgpr_count 6
		.amdhsa_user_sgpr_private_segment_buffer 1
		.amdhsa_user_sgpr_dispatch_ptr 0
		.amdhsa_user_sgpr_queue_ptr 0
		.amdhsa_user_sgpr_kernarg_segment_ptr 1
		.amdhsa_user_sgpr_dispatch_id 0
		.amdhsa_user_sgpr_flat_scratch_init 0
		.amdhsa_user_sgpr_kernarg_preload_length 0
		.amdhsa_user_sgpr_kernarg_preload_offset 0
		.amdhsa_user_sgpr_private_segment_size 0
		.amdhsa_uses_dynamic_stack 0
		.amdhsa_system_sgpr_private_segment_wavefront_offset 0
		.amdhsa_system_sgpr_workgroup_id_x 1
		.amdhsa_system_sgpr_workgroup_id_y 0
		.amdhsa_system_sgpr_workgroup_id_z 1
		.amdhsa_system_sgpr_workgroup_info 0
		.amdhsa_system_vgpr_workitem_id 0
		.amdhsa_next_free_vgpr 11
		.amdhsa_next_free_sgpr 24
		.amdhsa_accum_offset 12
		.amdhsa_reserve_vcc 1
		.amdhsa_reserve_flat_scratch 0
		.amdhsa_float_round_mode_32 0
		.amdhsa_float_round_mode_16_64 0
		.amdhsa_float_denorm_mode_32 3
		.amdhsa_float_denorm_mode_16_64 3
		.amdhsa_dx10_clamp 1
		.amdhsa_ieee_mode 1
		.amdhsa_fp16_overflow 0
		.amdhsa_tg_split 0
		.amdhsa_exception_fp_ieee_invalid_op 0
		.amdhsa_exception_fp_denorm_src 0
		.amdhsa_exception_fp_ieee_div_zero 0
		.amdhsa_exception_fp_ieee_overflow 0
		.amdhsa_exception_fp_ieee_underflow 0
		.amdhsa_exception_fp_ieee_inexact 0
		.amdhsa_exception_int_div_zero 0
	.end_amdhsa_kernel
	.section	.text._ZL26rocblas_dot_kernel_inc1by2ILb1ELi1024ELi32ELb1EfPKPKDF16_DF16_EviT4_llS4_lliPT5_PT3_,"axG",@progbits,_ZL26rocblas_dot_kernel_inc1by2ILb1ELi1024ELi32ELb1EfPKPKDF16_DF16_EviT4_llS4_lliPT5_PT3_,comdat
.Lfunc_end302:
	.size	_ZL26rocblas_dot_kernel_inc1by2ILb1ELi1024ELi32ELb1EfPKPKDF16_DF16_EviT4_llS4_lliPT5_PT3_, .Lfunc_end302-_ZL26rocblas_dot_kernel_inc1by2ILb1ELi1024ELi32ELb1EfPKPKDF16_DF16_EviT4_llS4_lliPT5_PT3_
                                        ; -- End function
	.section	.AMDGPU.csdata,"",@progbits
; Kernel info:
; codeLenInByte = 1056
; NumSgprs: 28
; NumVgprs: 11
; NumAgprs: 0
; TotalNumVgprs: 11
; ScratchSize: 0
; MemoryBound: 0
; FloatMode: 240
; IeeeMode: 1
; LDSByteSize: 128 bytes/workgroup (compile time only)
; SGPRBlocks: 3
; VGPRBlocks: 1
; NumSGPRsForWavesPerEU: 28
; NumVGPRsForWavesPerEU: 11
; AccumOffset: 12
; Occupancy: 8
; WaveLimiterHint : 1
; COMPUTE_PGM_RSRC2:SCRATCH_EN: 0
; COMPUTE_PGM_RSRC2:USER_SGPR: 6
; COMPUTE_PGM_RSRC2:TRAP_HANDLER: 0
; COMPUTE_PGM_RSRC2:TGID_X_EN: 1
; COMPUTE_PGM_RSRC2:TGID_Y_EN: 0
; COMPUTE_PGM_RSRC2:TGID_Z_EN: 1
; COMPUTE_PGM_RSRC2:TIDIG_COMP_CNT: 0
; COMPUTE_PGM_RSRC3_GFX90A:ACCUM_OFFSET: 2
; COMPUTE_PGM_RSRC3_GFX90A:TG_SPLIT: 0
	.section	.text._ZL18rocblas_dot_kernelIlLb1ELi1024ELi32ELb1EfPKPKDF16_DF16_EviT5_lT_lS4_lS5_liPT6_PT4_,"axG",@progbits,_ZL18rocblas_dot_kernelIlLb1ELi1024ELi32ELb1EfPKPKDF16_DF16_EviT5_lT_lS4_lS5_liPT6_PT4_,comdat
	.globl	_ZL18rocblas_dot_kernelIlLb1ELi1024ELi32ELb1EfPKPKDF16_DF16_EviT5_lT_lS4_lS5_liPT6_PT4_ ; -- Begin function _ZL18rocblas_dot_kernelIlLb1ELi1024ELi32ELb1EfPKPKDF16_DF16_EviT5_lT_lS4_lS5_liPT6_PT4_
	.p2align	8
	.type	_ZL18rocblas_dot_kernelIlLb1ELi1024ELi32ELb1EfPKPKDF16_DF16_EviT5_lT_lS4_lS5_liPT6_PT4_,@function
_ZL18rocblas_dot_kernelIlLb1ELi1024ELi32ELb1EfPKPKDF16_DF16_EviT5_lT_lS4_lS5_liPT6_PT4_: ; @_ZL18rocblas_dot_kernelIlLb1ELi1024ELi32ELb1EfPKPKDF16_DF16_EviT5_lT_lS4_lS5_liPT6_PT4_
; %bb.0:
	s_load_dword s16, s[4:5], 0x0
	s_load_dwordx2 s[12:13], s[4:5], 0x58
	s_mov_b32 s6, s7
	s_mov_b32 s7, 0
	v_mov_b32_e32 v6, 0
	s_waitcnt lgkmcnt(0)
	v_cmp_gt_i32_e32 vcc, s16, v0
	s_and_saveexec_b64 s[14:15], vcc
	s_cbranch_execz .LBB303_4
; %bb.1:
	s_load_dwordx2 s[18:19], s[4:5], 0x8
	s_load_dwordx4 s[8:11], s[4:5], 0x10
	s_load_dwordx2 s[20:21], s[4:5], 0x28
	s_load_dwordx4 s[0:3], s[4:5], 0x30
	s_lshl_b64 s[22:23], s[6:7], 3
	s_waitcnt lgkmcnt(0)
	s_add_u32 s18, s18, s22
	s_addc_u32 s19, s19, s23
	s_load_dword s17, s[4:5], 0x60
	s_load_dwordx2 s[24:25], s[18:19], 0x0
	s_add_u32 s4, s20, s22
	s_addc_u32 s5, s21, s23
	s_load_dwordx2 s[18:19], s[4:5], 0x0
	v_mad_u64_u32 v[2:3], s[4:5], s10, v0, 0
	v_mov_b32_e32 v4, v3
	v_mad_u64_u32 v[4:5], s[4:5], s11, v0, v[4:5]
	s_waitcnt lgkmcnt(0)
	s_lshl_b32 s17, s17, 10
	s_lshl_b64 s[4:5], s[8:9], 1
	v_mov_b32_e32 v3, v4
	s_add_u32 s4, s24, s4
	v_lshlrev_b64 v[2:3], 1, v[2:3]
	s_addc_u32 s5, s25, s5
	s_ashr_i32 s20, s17, 31
	v_mov_b32_e32 v4, s5
	v_add_co_u32_e32 v2, vcc, s4, v2
	s_mul_i32 s4, s10, s20
	s_mul_hi_u32 s5, s10, s17
	v_addc_co_u32_e32 v3, vcc, v4, v3, vcc
	s_add_i32 s4, s5, s4
	s_mul_i32 s5, s11, s17
	v_mad_u64_u32 v[4:5], s[8:9], s2, v0, 0
	s_add_i32 s5, s4, s5
	s_mul_i32 s4, s10, s17
	v_mov_b32_e32 v6, v5
	s_lshl_b64 s[4:5], s[4:5], 1
	v_mad_u64_u32 v[6:7], s[8:9], s3, v0, v[6:7]
	s_lshl_b64 s[0:1], s[0:1], 1
	v_mov_b32_e32 v5, v6
	s_add_u32 s0, s18, s0
	v_lshlrev_b64 v[4:5], 1, v[4:5]
	s_addc_u32 s1, s19, s1
	v_mov_b32_e32 v6, s1
	v_add_co_u32_e32 v4, vcc, s0, v4
	s_mul_i32 s0, s2, s20
	s_mul_hi_u32 s1, s2, s17
	s_add_i32 s0, s1, s0
	s_mul_i32 s1, s3, s17
	s_add_i32 s1, s0, s1
	s_mul_i32 s0, s2, s17
	s_lshl_b64 s[8:9], s[0:1], 1
	v_or_b32_e32 v1, s17, v0
	v_addc_co_u32_e32 v5, vcc, v6, v5, vcc
	s_mov_b64 s[2:3], 0
	v_mov_b32_e32 v6, 0
	v_mov_b32_e32 v7, s5
	;; [unrolled: 1-line block ×3, first 2 shown]
	s_mov_b32 s5, s7
.LBB303_2:                              ; =>This Inner Loop Header: Depth=1
	global_load_ushort v9, v[4:5], off
	global_load_ushort v10, v[2:3], off
	v_add_co_u32_e64 v2, s[0:1], s4, v2
	v_addc_co_u32_e64 v3, s[0:1], v3, v7, s[0:1]
	s_add_i32 s9, s5, 1
	v_add_co_u32_e64 v4, s[0:1], s8, v4
	v_addc_co_u32_e64 v5, s[0:1], v5, v8, s[0:1]
	s_cmp_gt_u32 s5, 30
	v_cmp_le_i32_e32 vcc, s16, v1
	s_cselect_b64 s[0:1], -1, 0
	s_or_b64 s[0:1], s[0:1], vcc
	s_and_b64 s[0:1], exec, s[0:1]
	v_add_u32_e32 v1, s17, v1
	s_mov_b32 s5, s9
	s_or_b64 s[2:3], s[0:1], s[2:3]
	s_waitcnt vmcnt(0)
	v_fma_f16 v6, v9, v10, v6
	s_andn2_b64 exec, exec, s[2:3]
	s_cbranch_execnz .LBB303_2
; %bb.3:
	s_or_b64 exec, exec, s[2:3]
.LBB303_4:
	s_or_b64 exec, exec, s[14:15]
	v_and_b32_e32 v2, 63, v0
	v_cmp_gt_u32_e32 vcc, 64, v0
	v_lshlrev_b32_e32 v1, 1, v2
	s_and_saveexec_b64 s[0:1], vcc
	s_cbranch_execz .LBB303_6
; %bb.5:
	v_mov_b32_e32 v3, 0
	ds_write_b16 v1, v3
.LBB303_6:
	s_or_b64 exec, exec, s[0:1]
	v_mbcnt_lo_u32_b32 v3, -1, 0
	v_mbcnt_hi_u32_b32 v8, -1, v3
	v_and_b32_e32 v9, 63, v8
	v_cmp_gt_u32_e64 s[0:1], 32, v9
	v_cndmask_b32_e64 v4, 0, 1, s[0:1]
	v_lshlrev_b32_e32 v4, 5, v4
	v_and_b32_e32 v3, 0xffff, v6
	v_add_lshl_u32 v4, v4, v8, 2
	ds_bpermute_b32 v3, v4, v3
	v_cmp_gt_u32_e64 s[0:1], 48, v9
	v_cndmask_b32_e64 v5, 0, 1, s[0:1]
	s_mov_b32 s2, 0xffff0000
	v_lshlrev_b32_e32 v5, 4, v5
	s_waitcnt lgkmcnt(0)
	v_add_f16_e32 v4, v6, v3
	v_and_or_b32 v3, v3, s2, v4
	v_add_lshl_u32 v5, v5, v8, 2
	ds_bpermute_b32 v3, v5, v3
	v_cmp_gt_u32_e64 s[0:1], 56, v9
	s_waitcnt lgkmcnt(0)
	s_barrier
	v_add_f16_e32 v4, v4, v3
	v_and_or_b32 v5, v3, s2, v4
	v_cndmask_b32_e64 v3, 0, 1, s[0:1]
	v_lshlrev_b32_e32 v3, 3, v3
	v_add_lshl_u32 v3, v3, v8, 2
	ds_bpermute_b32 v5, v3, v5
	v_cmp_gt_u32_e64 s[0:1], 60, v9
	s_waitcnt lgkmcnt(0)
	v_add_f16_e32 v6, v4, v5
	v_cndmask_b32_e64 v4, 0, 1, s[0:1]
	v_lshlrev_b32_e32 v4, 2, v4
	v_and_or_b32 v5, v5, s2, v6
	v_add_lshl_u32 v4, v4, v8, 2
	ds_bpermute_b32 v5, v4, v5
	v_cmp_gt_u32_e64 s[0:1], 62, v9
	s_waitcnt lgkmcnt(0)
	v_add_f16_e32 v6, v6, v5
	v_and_or_b32 v7, v5, s2, v6
	v_cndmask_b32_e64 v5, 0, 1, s[0:1]
	v_lshlrev_b32_e32 v5, 1, v5
	v_add_lshl_u32 v5, v5, v8, 2
	ds_bpermute_b32 v10, v5, v7
	v_cmp_ne_u32_e64 s[0:1], 63, v9
	s_waitcnt lgkmcnt(0)
	v_add_f16_e32 v7, v6, v10
	v_addc_co_u32_e64 v6, s[0:1], 0, v8, s[0:1]
	v_and_or_b32 v10, v10, s2, v7
	v_lshlrev_b32_e32 v6, 2, v6
	ds_bpermute_b32 v8, v6, v10
	v_cmp_eq_u32_e64 s[0:1], 0, v2
	s_and_saveexec_b64 s[2:3], s[0:1]
	s_cbranch_execz .LBB303_8
; %bb.7:
	s_waitcnt lgkmcnt(0)
	v_add_f16_e32 v2, v7, v8
	v_lshrrev_b32_e32 v7, 5, v0
	v_and_b32_e32 v7, 30, v7
	ds_write_b16 v7, v2
.LBB303_8:
	s_or_b64 exec, exec, s[2:3]
	v_cmp_gt_u32_e64 s[0:1], 16, v0
	v_mov_b32_e32 v2, 0
	s_waitcnt lgkmcnt(0)
	s_barrier
	s_and_saveexec_b64 s[2:3], s[0:1]
	s_cbranch_execnz .LBB303_12
; %bb.9:
	s_or_b64 exec, exec, s[2:3]
	s_and_saveexec_b64 s[0:1], vcc
	s_cbranch_execnz .LBB303_13
.LBB303_10:
	s_or_b64 exec, exec, s[0:1]
	v_cmp_eq_u32_e32 vcc, 0, v0
	s_and_saveexec_b64 s[0:1], vcc
	s_cbranch_execnz .LBB303_14
.LBB303_11:
	s_endpgm
.LBB303_12:
	ds_read_u16 v2, v1
	s_or_b64 exec, exec, s[2:3]
	s_and_saveexec_b64 s[0:1], vcc
	s_cbranch_execz .LBB303_10
.LBB303_13:
	s_waitcnt lgkmcnt(0)
	v_and_b32_e32 v1, 0xffff, v2
	ds_bpermute_b32 v1, v3, v1
	s_mov_b32 s2, 0xffff0000
	s_waitcnt lgkmcnt(0)
	v_add_f16_e32 v2, v2, v1
	v_and_or_b32 v1, v1, s2, v2
	ds_bpermute_b32 v1, v4, v1
	s_waitcnt lgkmcnt(0)
	v_add_f16_e32 v2, v2, v1
	v_and_or_b32 v1, v1, s2, v2
	ds_bpermute_b32 v1, v5, v1
	;; [unrolled: 4-line block ×3, first 2 shown]
	s_waitcnt lgkmcnt(0)
	v_add_f16_e32 v2, v2, v1
	s_or_b64 exec, exec, s[0:1]
	v_cmp_eq_u32_e32 vcc, 0, v0
	s_and_saveexec_b64 s[0:1], vcc
	s_cbranch_execz .LBB303_11
.LBB303_14:
	s_waitcnt lgkmcnt(0)
	v_cvt_f32_f16_e32 v0, v2
	s_lshl_b64 s[0:1], s[6:7], 2
	s_add_u32 s0, s12, s0
	s_addc_u32 s1, s13, s1
	v_mov_b32_e32 v1, 0
	global_store_dword v1, v0, s[0:1]
	s_endpgm
	.section	.rodata,"a",@progbits
	.p2align	6, 0x0
	.amdhsa_kernel _ZL18rocblas_dot_kernelIlLb1ELi1024ELi32ELb1EfPKPKDF16_DF16_EviT5_lT_lS4_lS5_liPT6_PT4_
		.amdhsa_group_segment_fixed_size 128
		.amdhsa_private_segment_fixed_size 0
		.amdhsa_kernarg_size 352
		.amdhsa_user_sgpr_count 6
		.amdhsa_user_sgpr_private_segment_buffer 1
		.amdhsa_user_sgpr_dispatch_ptr 0
		.amdhsa_user_sgpr_queue_ptr 0
		.amdhsa_user_sgpr_kernarg_segment_ptr 1
		.amdhsa_user_sgpr_dispatch_id 0
		.amdhsa_user_sgpr_flat_scratch_init 0
		.amdhsa_user_sgpr_kernarg_preload_length 0
		.amdhsa_user_sgpr_kernarg_preload_offset 0
		.amdhsa_user_sgpr_private_segment_size 0
		.amdhsa_uses_dynamic_stack 0
		.amdhsa_system_sgpr_private_segment_wavefront_offset 0
		.amdhsa_system_sgpr_workgroup_id_x 1
		.amdhsa_system_sgpr_workgroup_id_y 0
		.amdhsa_system_sgpr_workgroup_id_z 1
		.amdhsa_system_sgpr_workgroup_info 0
		.amdhsa_system_vgpr_workitem_id 0
		.amdhsa_next_free_vgpr 11
		.amdhsa_next_free_sgpr 26
		.amdhsa_accum_offset 12
		.amdhsa_reserve_vcc 1
		.amdhsa_reserve_flat_scratch 0
		.amdhsa_float_round_mode_32 0
		.amdhsa_float_round_mode_16_64 0
		.amdhsa_float_denorm_mode_32 3
		.amdhsa_float_denorm_mode_16_64 3
		.amdhsa_dx10_clamp 1
		.amdhsa_ieee_mode 1
		.amdhsa_fp16_overflow 0
		.amdhsa_tg_split 0
		.amdhsa_exception_fp_ieee_invalid_op 0
		.amdhsa_exception_fp_denorm_src 0
		.amdhsa_exception_fp_ieee_div_zero 0
		.amdhsa_exception_fp_ieee_overflow 0
		.amdhsa_exception_fp_ieee_underflow 0
		.amdhsa_exception_fp_ieee_inexact 0
		.amdhsa_exception_int_div_zero 0
	.end_amdhsa_kernel
	.section	.text._ZL18rocblas_dot_kernelIlLb1ELi1024ELi32ELb1EfPKPKDF16_DF16_EviT5_lT_lS4_lS5_liPT6_PT4_,"axG",@progbits,_ZL18rocblas_dot_kernelIlLb1ELi1024ELi32ELb1EfPKPKDF16_DF16_EviT5_lT_lS4_lS5_liPT6_PT4_,comdat
.Lfunc_end303:
	.size	_ZL18rocblas_dot_kernelIlLb1ELi1024ELi32ELb1EfPKPKDF16_DF16_EviT5_lT_lS4_lS5_liPT6_PT4_, .Lfunc_end303-_ZL18rocblas_dot_kernelIlLb1ELi1024ELi32ELb1EfPKPKDF16_DF16_EviT5_lT_lS4_lS5_liPT6_PT4_
                                        ; -- End function
	.section	.AMDGPU.csdata,"",@progbits
; Kernel info:
; codeLenInByte = 1088
; NumSgprs: 30
; NumVgprs: 11
; NumAgprs: 0
; TotalNumVgprs: 11
; ScratchSize: 0
; MemoryBound: 0
; FloatMode: 240
; IeeeMode: 1
; LDSByteSize: 128 bytes/workgroup (compile time only)
; SGPRBlocks: 3
; VGPRBlocks: 1
; NumSGPRsForWavesPerEU: 30
; NumVGPRsForWavesPerEU: 11
; AccumOffset: 12
; Occupancy: 8
; WaveLimiterHint : 0
; COMPUTE_PGM_RSRC2:SCRATCH_EN: 0
; COMPUTE_PGM_RSRC2:USER_SGPR: 6
; COMPUTE_PGM_RSRC2:TRAP_HANDLER: 0
; COMPUTE_PGM_RSRC2:TGID_X_EN: 1
; COMPUTE_PGM_RSRC2:TGID_Y_EN: 0
; COMPUTE_PGM_RSRC2:TGID_Z_EN: 1
; COMPUTE_PGM_RSRC2:TIDIG_COMP_CNT: 0
; COMPUTE_PGM_RSRC3_GFX90A:ACCUM_OFFSET: 2
; COMPUTE_PGM_RSRC3_GFX90A:TG_SPLIT: 0
	.section	.text._ZL24rocblas_dot_kernel_magsqIlLb1ELi1024ELi32ELb1EfPKPKDF16_DF16_EviT5_lT_liPT6_PT4_,"axG",@progbits,_ZL24rocblas_dot_kernel_magsqIlLb1ELi1024ELi32ELb1EfPKPKDF16_DF16_EviT5_lT_liPT6_PT4_,comdat
	.globl	_ZL24rocblas_dot_kernel_magsqIlLb1ELi1024ELi32ELb1EfPKPKDF16_DF16_EviT5_lT_liPT6_PT4_ ; -- Begin function _ZL24rocblas_dot_kernel_magsqIlLb1ELi1024ELi32ELb1EfPKPKDF16_DF16_EviT5_lT_liPT6_PT4_
	.p2align	8
	.type	_ZL24rocblas_dot_kernel_magsqIlLb1ELi1024ELi32ELb1EfPKPKDF16_DF16_EviT5_lT_liPT6_PT4_,@function
_ZL24rocblas_dot_kernel_magsqIlLb1ELi1024ELi32ELb1EfPKPKDF16_DF16_EviT5_lT_liPT6_PT4_: ; @_ZL24rocblas_dot_kernel_magsqIlLb1ELi1024ELi32ELb1EfPKPKDF16_DF16_EviT5_lT_liPT6_PT4_
; %bb.0:
	s_mov_b32 s2, s7
	s_load_dword s12, s[4:5], 0x0
	s_load_dwordx2 s[6:7], s[4:5], 0x38
	s_mov_b32 s3, 0
	v_mov_b32_e32 v4, 0
	s_waitcnt lgkmcnt(0)
	v_cmp_gt_i32_e32 vcc, s12, v0
	s_and_saveexec_b64 s[8:9], vcc
	s_cbranch_execz .LBB304_4
; %bb.1:
	s_load_dwordx2 s[0:1], s[4:5], 0x8
	s_load_dword s10, s[4:5], 0x40
	s_load_dwordx4 s[16:19], s[4:5], 0x10
	s_lshl_b64 s[4:5], s[2:3], 3
	s_waitcnt lgkmcnt(0)
	s_add_u32 s0, s0, s4
	s_addc_u32 s1, s1, s5
	s_load_dwordx2 s[0:1], s[0:1], 0x0
	v_mad_u64_u32 v[2:3], s[4:5], s18, v0, 0
	v_mov_b32_e32 v4, v3
	v_mad_u64_u32 v[4:5], s[4:5], s19, v0, v[4:5]
	s_lshl_b32 s13, s10, 10
	v_mov_b32_e32 v3, v4
	s_lshl_b64 s[4:5], s[16:17], 1
	v_lshlrev_b64 v[2:3], 1, v[2:3]
	s_waitcnt lgkmcnt(0)
	s_add_u32 s0, s0, s4
	s_addc_u32 s1, s1, s5
	v_add_co_u32_e32 v2, vcc, s0, v2
	s_ashr_i32 s0, s13, 31
	v_mov_b32_e32 v4, s1
	s_mul_i32 s0, s18, s0
	s_mul_hi_u32 s1, s18, s13
	s_add_i32 s0, s1, s0
	s_mul_i32 s1, s19, s13
	s_add_i32 s1, s0, s1
	s_mul_i32 s0, s18, s13
	s_lshl_b64 s[10:11], s[0:1], 1
	v_or_b32_e32 v1, s13, v0
	v_addc_co_u32_e32 v3, vcc, v4, v3, vcc
	s_mov_b64 s[4:5], 0
	v_mov_b32_e32 v4, 0
	v_mov_b32_e32 v5, s11
	s_mov_b32 s11, s3
.LBB304_2:                              ; =>This Inner Loop Header: Depth=1
	global_load_ushort v6, v[2:3], off
	s_add_i32 s14, s11, 1
	v_add_co_u32_e64 v2, s[0:1], s10, v2
	v_addc_co_u32_e64 v3, s[0:1], v3, v5, s[0:1]
	s_cmp_gt_u32 s11, 30
	v_cmp_le_i32_e32 vcc, s12, v1
	s_cselect_b64 s[0:1], -1, 0
	s_or_b64 s[0:1], s[0:1], vcc
	s_and_b64 s[0:1], exec, s[0:1]
	v_add_u32_e32 v1, s13, v1
	s_mov_b32 s11, s14
	s_or_b64 s[4:5], s[0:1], s[4:5]
	s_waitcnt vmcnt(0)
	v_fma_f16 v4, v6, v6, v4
	s_andn2_b64 exec, exec, s[4:5]
	s_cbranch_execnz .LBB304_2
; %bb.3:
	s_or_b64 exec, exec, s[4:5]
.LBB304_4:
	s_or_b64 exec, exec, s[8:9]
	v_and_b32_e32 v2, 63, v0
	v_cmp_gt_u32_e32 vcc, 64, v0
	v_lshlrev_b32_e32 v1, 1, v2
	s_and_saveexec_b64 s[0:1], vcc
	s_cbranch_execz .LBB304_6
; %bb.5:
	v_mov_b32_e32 v3, 0
	ds_write_b16 v1, v3
.LBB304_6:
	s_or_b64 exec, exec, s[0:1]
	v_mbcnt_lo_u32_b32 v3, -1, 0
	v_mbcnt_hi_u32_b32 v6, -1, v3
	v_and_b32_e32 v8, 63, v6
	v_cmp_gt_u32_e64 s[0:1], 32, v8
	v_cndmask_b32_e64 v5, 0, 1, s[0:1]
	v_lshlrev_b32_e32 v5, 5, v5
	v_and_b32_e32 v3, 0xffff, v4
	v_add_lshl_u32 v5, v5, v6, 2
	ds_bpermute_b32 v3, v5, v3
	v_cmp_gt_u32_e64 s[0:1], 48, v8
	v_cndmask_b32_e64 v5, 0, 1, s[0:1]
	s_mov_b32 s4, 0xffff0000
	v_lshlrev_b32_e32 v5, 4, v5
	s_waitcnt lgkmcnt(0)
	v_add_f16_e32 v4, v4, v3
	v_and_or_b32 v3, v3, s4, v4
	v_add_lshl_u32 v5, v5, v6, 2
	ds_bpermute_b32 v3, v5, v3
	v_cmp_gt_u32_e64 s[0:1], 56, v8
	s_waitcnt lgkmcnt(0)
	s_barrier
	v_add_f16_e32 v4, v4, v3
	v_and_or_b32 v5, v3, s4, v4
	v_cndmask_b32_e64 v3, 0, 1, s[0:1]
	v_lshlrev_b32_e32 v3, 3, v3
	v_add_lshl_u32 v3, v3, v6, 2
	ds_bpermute_b32 v5, v3, v5
	v_cmp_gt_u32_e64 s[0:1], 60, v8
	s_waitcnt lgkmcnt(0)
	v_add_f16_e32 v7, v4, v5
	v_cndmask_b32_e64 v4, 0, 1, s[0:1]
	v_lshlrev_b32_e32 v4, 2, v4
	v_and_or_b32 v5, v5, s4, v7
	v_add_lshl_u32 v4, v4, v6, 2
	ds_bpermute_b32 v5, v4, v5
	v_cmp_gt_u32_e64 s[0:1], 62, v8
	s_waitcnt lgkmcnt(0)
	v_add_f16_e32 v7, v7, v5
	v_and_or_b32 v9, v5, s4, v7
	v_cndmask_b32_e64 v5, 0, 1, s[0:1]
	v_lshlrev_b32_e32 v5, 1, v5
	v_add_lshl_u32 v5, v5, v6, 2
	ds_bpermute_b32 v9, v5, v9
	v_cmp_ne_u32_e64 s[0:1], 63, v8
	v_addc_co_u32_e64 v6, s[0:1], 0, v6, s[0:1]
	v_lshlrev_b32_e32 v6, 2, v6
	s_waitcnt lgkmcnt(0)
	v_add_f16_e32 v7, v7, v9
	v_and_or_b32 v9, v9, s4, v7
	ds_bpermute_b32 v8, v6, v9
	v_cmp_eq_u32_e64 s[0:1], 0, v2
	s_and_saveexec_b64 s[4:5], s[0:1]
	s_cbranch_execz .LBB304_8
; %bb.7:
	s_waitcnt lgkmcnt(0)
	v_add_f16_e32 v2, v7, v8
	v_lshrrev_b32_e32 v7, 5, v0
	v_and_b32_e32 v7, 30, v7
	ds_write_b16 v7, v2
.LBB304_8:
	s_or_b64 exec, exec, s[4:5]
	v_cmp_gt_u32_e64 s[0:1], 16, v0
	v_mov_b32_e32 v2, 0
	s_waitcnt lgkmcnt(0)
	s_barrier
	s_and_saveexec_b64 s[4:5], s[0:1]
	s_cbranch_execnz .LBB304_12
; %bb.9:
	s_or_b64 exec, exec, s[4:5]
	s_and_saveexec_b64 s[0:1], vcc
	s_cbranch_execnz .LBB304_13
.LBB304_10:
	s_or_b64 exec, exec, s[0:1]
	v_cmp_eq_u32_e32 vcc, 0, v0
	s_and_saveexec_b64 s[0:1], vcc
	s_cbranch_execnz .LBB304_14
.LBB304_11:
	s_endpgm
.LBB304_12:
	ds_read_u16 v2, v1
	s_or_b64 exec, exec, s[4:5]
	s_and_saveexec_b64 s[0:1], vcc
	s_cbranch_execz .LBB304_10
.LBB304_13:
	s_waitcnt lgkmcnt(0)
	v_and_b32_e32 v1, 0xffff, v2
	ds_bpermute_b32 v1, v3, v1
	s_mov_b32 s4, 0xffff0000
	s_waitcnt lgkmcnt(0)
	v_add_f16_e32 v2, v2, v1
	v_and_or_b32 v1, v1, s4, v2
	ds_bpermute_b32 v1, v4, v1
	s_waitcnt lgkmcnt(0)
	v_add_f16_e32 v2, v2, v1
	v_and_or_b32 v1, v1, s4, v2
	ds_bpermute_b32 v1, v5, v1
	;; [unrolled: 4-line block ×3, first 2 shown]
	s_waitcnt lgkmcnt(0)
	v_add_f16_e32 v2, v2, v1
	s_or_b64 exec, exec, s[0:1]
	v_cmp_eq_u32_e32 vcc, 0, v0
	s_and_saveexec_b64 s[0:1], vcc
	s_cbranch_execz .LBB304_11
.LBB304_14:
	s_waitcnt lgkmcnt(0)
	v_cvt_f32_f16_e32 v0, v2
	s_lshl_b64 s[0:1], s[2:3], 2
	s_add_u32 s0, s6, s0
	s_addc_u32 s1, s7, s1
	v_mov_b32_e32 v1, 0
	global_store_dword v1, v0, s[0:1]
	s_endpgm
	.section	.rodata,"a",@progbits
	.p2align	6, 0x0
	.amdhsa_kernel _ZL24rocblas_dot_kernel_magsqIlLb1ELi1024ELi32ELb1EfPKPKDF16_DF16_EviT5_lT_liPT6_PT4_
		.amdhsa_group_segment_fixed_size 128
		.amdhsa_private_segment_fixed_size 0
		.amdhsa_kernarg_size 320
		.amdhsa_user_sgpr_count 6
		.amdhsa_user_sgpr_private_segment_buffer 1
		.amdhsa_user_sgpr_dispatch_ptr 0
		.amdhsa_user_sgpr_queue_ptr 0
		.amdhsa_user_sgpr_kernarg_segment_ptr 1
		.amdhsa_user_sgpr_dispatch_id 0
		.amdhsa_user_sgpr_flat_scratch_init 0
		.amdhsa_user_sgpr_kernarg_preload_length 0
		.amdhsa_user_sgpr_kernarg_preload_offset 0
		.amdhsa_user_sgpr_private_segment_size 0
		.amdhsa_uses_dynamic_stack 0
		.amdhsa_system_sgpr_private_segment_wavefront_offset 0
		.amdhsa_system_sgpr_workgroup_id_x 1
		.amdhsa_system_sgpr_workgroup_id_y 0
		.amdhsa_system_sgpr_workgroup_id_z 1
		.amdhsa_system_sgpr_workgroup_info 0
		.amdhsa_system_vgpr_workitem_id 0
		.amdhsa_next_free_vgpr 10
		.amdhsa_next_free_sgpr 20
		.amdhsa_accum_offset 12
		.amdhsa_reserve_vcc 1
		.amdhsa_reserve_flat_scratch 0
		.amdhsa_float_round_mode_32 0
		.amdhsa_float_round_mode_16_64 0
		.amdhsa_float_denorm_mode_32 3
		.amdhsa_float_denorm_mode_16_64 3
		.amdhsa_dx10_clamp 1
		.amdhsa_ieee_mode 1
		.amdhsa_fp16_overflow 0
		.amdhsa_tg_split 0
		.amdhsa_exception_fp_ieee_invalid_op 0
		.amdhsa_exception_fp_denorm_src 0
		.amdhsa_exception_fp_ieee_div_zero 0
		.amdhsa_exception_fp_ieee_overflow 0
		.amdhsa_exception_fp_ieee_underflow 0
		.amdhsa_exception_fp_ieee_inexact 0
		.amdhsa_exception_int_div_zero 0
	.end_amdhsa_kernel
	.section	.text._ZL24rocblas_dot_kernel_magsqIlLb1ELi1024ELi32ELb1EfPKPKDF16_DF16_EviT5_lT_liPT6_PT4_,"axG",@progbits,_ZL24rocblas_dot_kernel_magsqIlLb1ELi1024ELi32ELb1EfPKPKDF16_DF16_EviT5_lT_liPT6_PT4_,comdat
.Lfunc_end304:
	.size	_ZL24rocblas_dot_kernel_magsqIlLb1ELi1024ELi32ELb1EfPKPKDF16_DF16_EviT5_lT_liPT6_PT4_, .Lfunc_end304-_ZL24rocblas_dot_kernel_magsqIlLb1ELi1024ELi32ELb1EfPKPKDF16_DF16_EviT5_lT_liPT6_PT4_
                                        ; -- End function
	.section	.AMDGPU.csdata,"",@progbits
; Kernel info:
; codeLenInByte = 944
; NumSgprs: 24
; NumVgprs: 10
; NumAgprs: 0
; TotalNumVgprs: 10
; ScratchSize: 0
; MemoryBound: 0
; FloatMode: 240
; IeeeMode: 1
; LDSByteSize: 128 bytes/workgroup (compile time only)
; SGPRBlocks: 2
; VGPRBlocks: 1
; NumSGPRsForWavesPerEU: 24
; NumVGPRsForWavesPerEU: 10
; AccumOffset: 12
; Occupancy: 8
; WaveLimiterHint : 0
; COMPUTE_PGM_RSRC2:SCRATCH_EN: 0
; COMPUTE_PGM_RSRC2:USER_SGPR: 6
; COMPUTE_PGM_RSRC2:TRAP_HANDLER: 0
; COMPUTE_PGM_RSRC2:TGID_X_EN: 1
; COMPUTE_PGM_RSRC2:TGID_Y_EN: 0
; COMPUTE_PGM_RSRC2:TGID_Z_EN: 1
; COMPUTE_PGM_RSRC2:TIDIG_COMP_CNT: 0
; COMPUTE_PGM_RSRC3_GFX90A:ACCUM_OFFSET: 2
; COMPUTE_PGM_RSRC3_GFX90A:TG_SPLIT: 0
	.section	.text._ZL38rocblas_dot_kernel_gfx942_float_doubleIlLi1024EfPKPKDF16_DF16_EviT2_lT_lS4_lS5_lPT3_PT1_,"axG",@progbits,_ZL38rocblas_dot_kernel_gfx942_float_doubleIlLi1024EfPKPKDF16_DF16_EviT2_lT_lS4_lS5_lPT3_PT1_,comdat
	.globl	_ZL38rocblas_dot_kernel_gfx942_float_doubleIlLi1024EfPKPKDF16_DF16_EviT2_lT_lS4_lS5_lPT3_PT1_ ; -- Begin function _ZL38rocblas_dot_kernel_gfx942_float_doubleIlLi1024EfPKPKDF16_DF16_EviT2_lT_lS4_lS5_lPT3_PT1_
	.p2align	8
	.type	_ZL38rocblas_dot_kernel_gfx942_float_doubleIlLi1024EfPKPKDF16_DF16_EviT2_lT_lS4_lS5_lPT3_PT1_,@function
_ZL38rocblas_dot_kernel_gfx942_float_doubleIlLi1024EfPKPKDF16_DF16_EviT2_lT_lS4_lS5_lPT3_PT1_: ; @_ZL38rocblas_dot_kernel_gfx942_float_doubleIlLi1024EfPKPKDF16_DF16_EviT2_lT_lS4_lS5_lPT3_PT1_
; %bb.0:
	s_endpgm
	.section	.rodata,"a",@progbits
	.p2align	6, 0x0
	.amdhsa_kernel _ZL38rocblas_dot_kernel_gfx942_float_doubleIlLi1024EfPKPKDF16_DF16_EviT2_lT_lS4_lS5_lPT3_PT1_
		.amdhsa_group_segment_fixed_size 0
		.amdhsa_private_segment_fixed_size 0
		.amdhsa_kernarg_size 88
		.amdhsa_user_sgpr_count 6
		.amdhsa_user_sgpr_private_segment_buffer 1
		.amdhsa_user_sgpr_dispatch_ptr 0
		.amdhsa_user_sgpr_queue_ptr 0
		.amdhsa_user_sgpr_kernarg_segment_ptr 1
		.amdhsa_user_sgpr_dispatch_id 0
		.amdhsa_user_sgpr_flat_scratch_init 0
		.amdhsa_user_sgpr_kernarg_preload_length 0
		.amdhsa_user_sgpr_kernarg_preload_offset 0
		.amdhsa_user_sgpr_private_segment_size 0
		.amdhsa_uses_dynamic_stack 0
		.amdhsa_system_sgpr_private_segment_wavefront_offset 0
		.amdhsa_system_sgpr_workgroup_id_x 1
		.amdhsa_system_sgpr_workgroup_id_y 0
		.amdhsa_system_sgpr_workgroup_id_z 0
		.amdhsa_system_sgpr_workgroup_info 0
		.amdhsa_system_vgpr_workitem_id 0
		.amdhsa_next_free_vgpr 1
		.amdhsa_next_free_sgpr 0
		.amdhsa_accum_offset 4
		.amdhsa_reserve_vcc 0
		.amdhsa_reserve_flat_scratch 0
		.amdhsa_float_round_mode_32 0
		.amdhsa_float_round_mode_16_64 0
		.amdhsa_float_denorm_mode_32 3
		.amdhsa_float_denorm_mode_16_64 3
		.amdhsa_dx10_clamp 1
		.amdhsa_ieee_mode 1
		.amdhsa_fp16_overflow 0
		.amdhsa_tg_split 0
		.amdhsa_exception_fp_ieee_invalid_op 0
		.amdhsa_exception_fp_denorm_src 0
		.amdhsa_exception_fp_ieee_div_zero 0
		.amdhsa_exception_fp_ieee_overflow 0
		.amdhsa_exception_fp_ieee_underflow 0
		.amdhsa_exception_fp_ieee_inexact 0
		.amdhsa_exception_int_div_zero 0
	.end_amdhsa_kernel
	.section	.text._ZL38rocblas_dot_kernel_gfx942_float_doubleIlLi1024EfPKPKDF16_DF16_EviT2_lT_lS4_lS5_lPT3_PT1_,"axG",@progbits,_ZL38rocblas_dot_kernel_gfx942_float_doubleIlLi1024EfPKPKDF16_DF16_EviT2_lT_lS4_lS5_lPT3_PT1_,comdat
.Lfunc_end305:
	.size	_ZL38rocblas_dot_kernel_gfx942_float_doubleIlLi1024EfPKPKDF16_DF16_EviT2_lT_lS4_lS5_lPT3_PT1_, .Lfunc_end305-_ZL38rocblas_dot_kernel_gfx942_float_doubleIlLi1024EfPKPKDF16_DF16_EviT2_lT_lS4_lS5_lPT3_PT1_
                                        ; -- End function
	.section	.AMDGPU.csdata,"",@progbits
; Kernel info:
; codeLenInByte = 4
; NumSgprs: 4
; NumVgprs: 0
; NumAgprs: 0
; TotalNumVgprs: 0
; ScratchSize: 0
; MemoryBound: 0
; FloatMode: 240
; IeeeMode: 1
; LDSByteSize: 0 bytes/workgroup (compile time only)
; SGPRBlocks: 0
; VGPRBlocks: 0
; NumSGPRsForWavesPerEU: 4
; NumVGPRsForWavesPerEU: 1
; AccumOffset: 4
; Occupancy: 8
; WaveLimiterHint : 0
; COMPUTE_PGM_RSRC2:SCRATCH_EN: 0
; COMPUTE_PGM_RSRC2:USER_SGPR: 6
; COMPUTE_PGM_RSRC2:TRAP_HANDLER: 0
; COMPUTE_PGM_RSRC2:TGID_X_EN: 1
; COMPUTE_PGM_RSRC2:TGID_Y_EN: 0
; COMPUTE_PGM_RSRC2:TGID_Z_EN: 0
; COMPUTE_PGM_RSRC2:TIDIG_COMP_CNT: 0
; COMPUTE_PGM_RSRC3_GFX90A:ACCUM_OFFSET: 0
; COMPUTE_PGM_RSRC3_GFX90A:TG_SPLIT: 0
	.section	.text._ZL23rocblas_dot_kernel_inc1ILb0ELi512ELi4ELb1EfPKPKDF16_DF16_EviT4_llS4_lliPT5_PT3_,"axG",@progbits,_ZL23rocblas_dot_kernel_inc1ILb0ELi512ELi4ELb1EfPKPKDF16_DF16_EviT4_llS4_lliPT5_PT3_,comdat
	.globl	_ZL23rocblas_dot_kernel_inc1ILb0ELi512ELi4ELb1EfPKPKDF16_DF16_EviT4_llS4_lliPT5_PT3_ ; -- Begin function _ZL23rocblas_dot_kernel_inc1ILb0ELi512ELi4ELb1EfPKPKDF16_DF16_EviT4_llS4_lliPT5_PT3_
	.p2align	8
	.type	_ZL23rocblas_dot_kernel_inc1ILb0ELi512ELi4ELb1EfPKPKDF16_DF16_EviT4_llS4_lliPT5_PT3_,@function
_ZL23rocblas_dot_kernel_inc1ILb0ELi512ELi4ELb1EfPKPKDF16_DF16_EviT4_llS4_lliPT5_PT3_: ; @_ZL23rocblas_dot_kernel_inc1ILb0ELi512ELi4ELb1EfPKPKDF16_DF16_EviT4_llS4_lliPT5_PT3_
; %bb.0:
	s_mov_b32 s2, s7
	s_load_dword s18, s[4:5], 0x50
	s_load_dword s7, s[4:5], 0x0
	s_load_dwordx4 s[8:11], s[4:5], 0x40
	v_lshl_or_b32 v4, s6, 9, v0
	s_mov_b32 s3, 0
	v_mov_b32_e32 v1, 0
	s_waitcnt lgkmcnt(0)
	v_cmp_gt_i32_e32 vcc, s7, v4
	s_and_saveexec_b64 s[12:13], vcc
	s_cbranch_execz .LBB306_4
; %bb.1:
	s_load_dwordx4 s[20:23], s[4:5], 0x8
	s_load_dwordx4 s[24:27], s[4:5], 0x20
	s_lshl_b64 s[0:1], s[2:3], 3
	v_ashrrev_i32_e32 v5, 31, v4
	v_lshlrev_b64 v[2:3], 1, v[4:5]
	s_waitcnt lgkmcnt(0)
	s_add_u32 s4, s20, s0
	s_addc_u32 s5, s21, s1
	s_load_dwordx2 s[14:15], s[4:5], 0x0
	s_lshl_b64 s[16:17], s[22:23], 1
	s_mov_b64 s[4:5], 0
	v_mov_b32_e32 v1, 0
	s_waitcnt lgkmcnt(0)
	s_add_u32 s19, s14, s16
	s_addc_u32 s14, s15, s17
	s_add_u32 s0, s24, s0
	s_addc_u32 s1, s25, s1
	s_load_dwordx2 s[0:1], s[0:1], 0x0
	v_mov_b32_e32 v5, s14
	s_lshl_b64 s[14:15], s[26:27], 1
	s_waitcnt lgkmcnt(0)
	s_add_u32 s20, s0, s14
	s_addc_u32 s0, s1, s15
	s_lshl_b32 s14, s18, 9
	s_ashr_i32 s15, s14, 31
	s_lshl_b64 s[16:17], s[14:15], 1
	v_add_u32_e32 v4, s14, v4
	v_mov_b32_e32 v6, s0
	v_mov_b32_e32 v7, s17
	s_mov_b32 s15, s3
.LBB306_2:                              ; =>This Inner Loop Header: Depth=1
	v_add_co_u32_e32 v8, vcc, s20, v2
	v_addc_co_u32_e32 v9, vcc, v6, v3, vcc
	v_add_co_u32_e32 v10, vcc, s19, v2
	v_addc_co_u32_e32 v11, vcc, v5, v3, vcc
	global_load_ushort v12, v[8:9], off
	global_load_ushort v13, v[10:11], off
	s_add_i32 s17, s15, 1
	v_add_co_u32_e64 v2, s[0:1], s16, v2
	v_addc_co_u32_e64 v3, s[0:1], v3, v7, s[0:1]
	s_cmp_gt_u32 s15, 2
	v_cmp_le_i32_e32 vcc, s7, v4
	s_cselect_b64 s[0:1], -1, 0
	s_or_b64 s[0:1], s[0:1], vcc
	s_and_b64 s[0:1], exec, s[0:1]
	v_add_u32_e32 v4, s14, v4
	s_mov_b32 s15, s17
	s_or_b64 s[4:5], s[0:1], s[4:5]
	s_waitcnt vmcnt(0)
	v_fma_f16 v1, v12, v13, v1
	s_andn2_b64 exec, exec, s[4:5]
	s_cbranch_execnz .LBB306_2
; %bb.3:
	s_or_b64 exec, exec, s[4:5]
.LBB306_4:
	s_or_b64 exec, exec, s[12:13]
	v_and_b32_e32 v3, 63, v0
	v_cmp_gt_u32_e32 vcc, 64, v0
	v_lshlrev_b32_e32 v2, 1, v3
	s_and_saveexec_b64 s[0:1], vcc
	s_cbranch_execz .LBB306_6
; %bb.5:
	v_mov_b32_e32 v4, 0
	ds_write_b16 v2, v4
.LBB306_6:
	s_or_b64 exec, exec, s[0:1]
	v_mbcnt_lo_u32_b32 v4, -1, 0
	v_mbcnt_hi_u32_b32 v6, -1, v4
	v_and_b32_e32 v7, 63, v6
	v_cmp_gt_u32_e64 s[0:1], 32, v7
	v_cndmask_b32_e64 v5, 0, 1, s[0:1]
	v_lshlrev_b32_e32 v5, 5, v5
	v_and_b32_e32 v4, 0xffff, v1
	v_add_lshl_u32 v5, v5, v6, 2
	ds_bpermute_b32 v4, v5, v4
	v_cmp_gt_u32_e64 s[0:1], 48, v7
	v_cndmask_b32_e64 v5, 0, 1, s[0:1]
	s_mov_b32 s4, 0xffff0000
	v_lshlrev_b32_e32 v5, 4, v5
	s_waitcnt lgkmcnt(0)
	v_add_f16_e32 v1, v1, v4
	v_and_or_b32 v4, v4, s4, v1
	v_add_lshl_u32 v5, v5, v6, 2
	ds_bpermute_b32 v4, v5, v4
	v_cmp_gt_u32_e64 s[0:1], 56, v7
	v_cndmask_b32_e64 v5, 0, 1, s[0:1]
	v_lshlrev_b32_e32 v5, 3, v5
	v_add_lshl_u32 v5, v5, v6, 2
	s_waitcnt lgkmcnt(0)
	v_add_f16_e32 v1, v1, v4
	v_and_or_b32 v4, v4, s4, v1
	ds_bpermute_b32 v4, v5, v4
	v_cmp_gt_u32_e64 s[0:1], 60, v7
	s_waitcnt lgkmcnt(0)
	s_barrier
	v_add_f16_e32 v1, v1, v4
	v_and_or_b32 v5, v4, s4, v1
	v_cndmask_b32_e64 v4, 0, 1, s[0:1]
	v_lshlrev_b32_e32 v4, 2, v4
	v_add_lshl_u32 v4, v4, v6, 2
	ds_bpermute_b32 v5, v4, v5
	v_cmp_gt_u32_e64 s[0:1], 62, v7
	s_waitcnt lgkmcnt(0)
	v_add_f16_e32 v1, v1, v5
	v_and_or_b32 v8, v5, s4, v1
	v_cndmask_b32_e64 v5, 0, 1, s[0:1]
	v_lshlrev_b32_e32 v5, 1, v5
	v_add_lshl_u32 v5, v5, v6, 2
	ds_bpermute_b32 v8, v5, v8
	v_cmp_ne_u32_e64 s[0:1], 63, v7
	v_addc_co_u32_e64 v6, s[0:1], 0, v6, s[0:1]
	v_lshlrev_b32_e32 v6, 2, v6
	s_waitcnt lgkmcnt(0)
	v_add_f16_e32 v1, v1, v8
	v_and_or_b32 v8, v8, s4, v1
	ds_bpermute_b32 v7, v6, v8
	v_cmp_eq_u32_e64 s[0:1], 0, v3
	s_and_saveexec_b64 s[4:5], s[0:1]
	s_cbranch_execz .LBB306_8
; %bb.7:
	v_lshrrev_b32_e32 v3, 5, v0
	s_waitcnt lgkmcnt(0)
	v_add_f16_e32 v1, v1, v7
	v_and_b32_e32 v3, 14, v3
	ds_write_b16 v3, v1
.LBB306_8:
	s_or_b64 exec, exec, s[4:5]
	v_cmp_gt_u32_e64 s[0:1], 8, v0
	v_mov_b32_e32 v1, 0
	s_waitcnt lgkmcnt(0)
	s_barrier
	s_and_saveexec_b64 s[4:5], s[0:1]
	s_cbranch_execnz .LBB306_12
; %bb.9:
	s_or_b64 exec, exec, s[4:5]
	s_and_saveexec_b64 s[0:1], vcc
	s_cbranch_execnz .LBB306_13
.LBB306_10:
	s_or_b64 exec, exec, s[0:1]
	v_cmp_eq_u32_e32 vcc, 0, v0
	s_and_saveexec_b64 s[0:1], vcc
	s_cbranch_execnz .LBB306_14
.LBB306_11:
	s_endpgm
.LBB306_12:
	ds_read_u16 v1, v2
	s_or_b64 exec, exec, s[4:5]
	s_and_saveexec_b64 s[0:1], vcc
	s_cbranch_execz .LBB306_10
.LBB306_13:
	s_waitcnt lgkmcnt(0)
	v_and_b32_e32 v2, 0xffff, v1
	ds_bpermute_b32 v2, v4, v2
	s_mov_b32 s4, 0xffff0000
	s_waitcnt lgkmcnt(0)
	v_add_f16_e32 v1, v1, v2
	v_and_or_b32 v2, v2, s4, v1
	ds_bpermute_b32 v2, v5, v2
	s_waitcnt lgkmcnt(0)
	v_add_f16_e32 v1, v1, v2
	v_and_or_b32 v2, v2, s4, v1
	ds_bpermute_b32 v2, v6, v2
	s_waitcnt lgkmcnt(0)
	v_add_f16_e32 v1, v1, v2
	s_or_b64 exec, exec, s[0:1]
	v_cmp_eq_u32_e32 vcc, 0, v0
	s_and_saveexec_b64 s[0:1], vcc
	s_cbranch_execz .LBB306_11
.LBB306_14:
	s_cmp_lg_u32 s18, 1
	s_mov_b64 s[0:1], -1
	s_cbranch_scc0 .LBB306_16
; %bb.15:
	s_mul_hi_u32 s1, s18, s2
	s_mul_i32 s0, s18, s2
	s_lshl_b64 s[0:1], s[0:1], 1
	s_mov_b32 s7, 0
	s_add_u32 s4, s8, s0
	s_addc_u32 s5, s9, s1
	s_lshl_b64 s[0:1], s[6:7], 1
	s_add_u32 s0, s4, s0
	s_addc_u32 s1, s5, s1
	v_mov_b32_e32 v0, 0
	s_waitcnt lgkmcnt(0)
	global_store_short v0, v1, s[0:1]
	s_mov_b64 s[0:1], 0
.LBB306_16:
	s_andn2_b64 vcc, exec, s[0:1]
	s_cbranch_vccnz .LBB306_11
; %bb.17:
	s_waitcnt lgkmcnt(0)
	v_cvt_f32_f16_e32 v0, v1
	s_lshl_b64 s[0:1], s[2:3], 2
	s_add_u32 s0, s10, s0
	s_addc_u32 s1, s11, s1
	v_mov_b32_e32 v1, 0
	global_store_dword v1, v0, s[0:1]
	s_endpgm
	.section	.rodata,"a",@progbits
	.p2align	6, 0x0
	.amdhsa_kernel _ZL23rocblas_dot_kernel_inc1ILb0ELi512ELi4ELb1EfPKPKDF16_DF16_EviT4_llS4_lliPT5_PT3_
		.amdhsa_group_segment_fixed_size 128
		.amdhsa_private_segment_fixed_size 0
		.amdhsa_kernarg_size 336
		.amdhsa_user_sgpr_count 6
		.amdhsa_user_sgpr_private_segment_buffer 1
		.amdhsa_user_sgpr_dispatch_ptr 0
		.amdhsa_user_sgpr_queue_ptr 0
		.amdhsa_user_sgpr_kernarg_segment_ptr 1
		.amdhsa_user_sgpr_dispatch_id 0
		.amdhsa_user_sgpr_flat_scratch_init 0
		.amdhsa_user_sgpr_kernarg_preload_length 0
		.amdhsa_user_sgpr_kernarg_preload_offset 0
		.amdhsa_user_sgpr_private_segment_size 0
		.amdhsa_uses_dynamic_stack 0
		.amdhsa_system_sgpr_private_segment_wavefront_offset 0
		.amdhsa_system_sgpr_workgroup_id_x 1
		.amdhsa_system_sgpr_workgroup_id_y 0
		.amdhsa_system_sgpr_workgroup_id_z 1
		.amdhsa_system_sgpr_workgroup_info 0
		.amdhsa_system_vgpr_workitem_id 0
		.amdhsa_next_free_vgpr 14
		.amdhsa_next_free_sgpr 28
		.amdhsa_accum_offset 16
		.amdhsa_reserve_vcc 1
		.amdhsa_reserve_flat_scratch 0
		.amdhsa_float_round_mode_32 0
		.amdhsa_float_round_mode_16_64 0
		.amdhsa_float_denorm_mode_32 3
		.amdhsa_float_denorm_mode_16_64 3
		.amdhsa_dx10_clamp 1
		.amdhsa_ieee_mode 1
		.amdhsa_fp16_overflow 0
		.amdhsa_tg_split 0
		.amdhsa_exception_fp_ieee_invalid_op 0
		.amdhsa_exception_fp_denorm_src 0
		.amdhsa_exception_fp_ieee_div_zero 0
		.amdhsa_exception_fp_ieee_overflow 0
		.amdhsa_exception_fp_ieee_underflow 0
		.amdhsa_exception_fp_ieee_inexact 0
		.amdhsa_exception_int_div_zero 0
	.end_amdhsa_kernel
	.section	.text._ZL23rocblas_dot_kernel_inc1ILb0ELi512ELi4ELb1EfPKPKDF16_DF16_EviT4_llS4_lliPT5_PT3_,"axG",@progbits,_ZL23rocblas_dot_kernel_inc1ILb0ELi512ELi4ELb1EfPKPKDF16_DF16_EviT4_llS4_lliPT5_PT3_,comdat
.Lfunc_end306:
	.size	_ZL23rocblas_dot_kernel_inc1ILb0ELi512ELi4ELb1EfPKPKDF16_DF16_EviT4_llS4_lliPT5_PT3_, .Lfunc_end306-_ZL23rocblas_dot_kernel_inc1ILb0ELi512ELi4ELb1EfPKPKDF16_DF16_EviT4_llS4_lliPT5_PT3_
                                        ; -- End function
	.section	.AMDGPU.csdata,"",@progbits
; Kernel info:
; codeLenInByte = 1012
; NumSgprs: 32
; NumVgprs: 14
; NumAgprs: 0
; TotalNumVgprs: 14
; ScratchSize: 0
; MemoryBound: 0
; FloatMode: 240
; IeeeMode: 1
; LDSByteSize: 128 bytes/workgroup (compile time only)
; SGPRBlocks: 3
; VGPRBlocks: 1
; NumSGPRsForWavesPerEU: 32
; NumVGPRsForWavesPerEU: 14
; AccumOffset: 16
; Occupancy: 8
; WaveLimiterHint : 1
; COMPUTE_PGM_RSRC2:SCRATCH_EN: 0
; COMPUTE_PGM_RSRC2:USER_SGPR: 6
; COMPUTE_PGM_RSRC2:TRAP_HANDLER: 0
; COMPUTE_PGM_RSRC2:TGID_X_EN: 1
; COMPUTE_PGM_RSRC2:TGID_Y_EN: 0
; COMPUTE_PGM_RSRC2:TGID_Z_EN: 1
; COMPUTE_PGM_RSRC2:TIDIG_COMP_CNT: 0
; COMPUTE_PGM_RSRC3_GFX90A:ACCUM_OFFSET: 3
; COMPUTE_PGM_RSRC3_GFX90A:TG_SPLIT: 0
	.section	.text._ZL18rocblas_dot_kernelIlLb0ELi512ELi4ELb1EfPKPKDF16_DF16_EviT5_lT_lS4_lS5_liPT6_PT4_,"axG",@progbits,_ZL18rocblas_dot_kernelIlLb0ELi512ELi4ELb1EfPKPKDF16_DF16_EviT5_lT_lS4_lS5_liPT6_PT4_,comdat
	.globl	_ZL18rocblas_dot_kernelIlLb0ELi512ELi4ELb1EfPKPKDF16_DF16_EviT5_lT_lS4_lS5_liPT6_PT4_ ; -- Begin function _ZL18rocblas_dot_kernelIlLb0ELi512ELi4ELb1EfPKPKDF16_DF16_EviT5_lT_lS4_lS5_liPT6_PT4_
	.p2align	8
	.type	_ZL18rocblas_dot_kernelIlLb0ELi512ELi4ELb1EfPKPKDF16_DF16_EviT5_lT_lS4_lS5_liPT6_PT4_,@function
_ZL18rocblas_dot_kernelIlLb0ELi512ELi4ELb1EfPKPKDF16_DF16_EviT5_lT_lS4_lS5_liPT6_PT4_: ; @_ZL18rocblas_dot_kernelIlLb0ELi512ELi4ELb1EfPKPKDF16_DF16_EviT5_lT_lS4_lS5_liPT6_PT4_
; %bb.0:
	s_mov_b32 s16, s7
	s_load_dword s20, s[4:5], 0x60
	s_load_dword s7, s[4:5], 0x0
	s_load_dwordx4 s[8:11], s[4:5], 0x50
	v_lshl_or_b32 v4, s6, 9, v0
	s_mov_b32 s17, 0
	v_mov_b32_e32 v6, 0
	s_waitcnt lgkmcnt(0)
	v_cmp_gt_i32_e32 vcc, s7, v4
	s_and_saveexec_b64 s[18:19], vcc
	s_cbranch_execz .LBB307_4
; %bb.1:
	s_load_dwordx2 s[22:23], s[4:5], 0x8
	s_load_dwordx4 s[12:15], s[4:5], 0x10
	s_load_dwordx2 s[24:25], s[4:5], 0x28
	s_load_dwordx4 s[0:3], s[4:5], 0x30
	s_lshl_b64 s[4:5], s[16:17], 3
	s_waitcnt lgkmcnt(0)
	s_add_u32 s22, s22, s4
	s_addc_u32 s23, s23, s5
	s_load_dwordx2 s[22:23], s[22:23], 0x0
	s_add_u32 s4, s24, s4
	s_addc_u32 s5, s25, s5
	s_load_dwordx2 s[24:25], s[4:5], 0x0
	v_ashrrev_i32_e32 v5, 31, v4
	v_mad_u64_u32 v[2:3], s[4:5], s14, v4, 0
	s_lshl_b32 s21, s20, 9
	v_mul_lo_u32 v6, s15, v4
	v_mul_lo_u32 v7, s14, v5
	s_lshl_b64 s[4:5], s[12:13], 1
	v_add3_u32 v3, v3, v7, v6
	s_waitcnt lgkmcnt(0)
	s_add_u32 s4, s22, s4
	v_lshlrev_b64 v[2:3], 1, v[2:3]
	s_addc_u32 s5, s23, s5
	s_ashr_i32 s22, s21, 31
	v_mov_b32_e32 v6, s5
	v_add_co_u32_e32 v2, vcc, s4, v2
	s_mul_i32 s4, s14, s22
	s_mul_hi_u32 s5, s14, s21
	s_add_i32 s4, s5, s4
	s_mul_i32 s5, s15, s21
	s_add_i32 s5, s4, s5
	s_mul_i32 s4, s14, s21
	v_add_u32_e32 v1, s21, v4
	v_addc_co_u32_e32 v3, vcc, v6, v3, vcc
	s_lshl_b64 s[4:5], s[4:5], 1
	v_mul_lo_u32 v6, s3, v4
	v_mul_lo_u32 v7, s2, v5
	v_mad_u64_u32 v[4:5], s[12:13], s2, v4, 0
	s_lshl_b64 s[0:1], s[0:1], 1
	v_add3_u32 v5, v5, v7, v6
	s_add_u32 s0, s24, s0
	v_lshlrev_b64 v[4:5], 1, v[4:5]
	s_addc_u32 s1, s25, s1
	v_mov_b32_e32 v6, s1
	v_add_co_u32_e32 v4, vcc, s0, v4
	s_mul_i32 s0, s2, s22
	s_mul_hi_u32 s1, s2, s21
	s_add_i32 s0, s1, s0
	s_mul_i32 s1, s3, s21
	s_add_i32 s1, s0, s1
	s_mul_i32 s0, s2, s21
	s_lshl_b64 s[12:13], s[0:1], 1
	v_addc_co_u32_e32 v5, vcc, v6, v5, vcc
	s_mov_b64 s[2:3], 0
	v_mov_b32_e32 v6, 0
	v_mov_b32_e32 v7, s5
	;; [unrolled: 1-line block ×3, first 2 shown]
	s_mov_b32 s5, s17
.LBB307_2:                              ; =>This Inner Loop Header: Depth=1
	global_load_ushort v9, v[4:5], off
	global_load_ushort v10, v[2:3], off
	v_add_co_u32_e64 v2, s[0:1], s4, v2
	v_addc_co_u32_e64 v3, s[0:1], v3, v7, s[0:1]
	s_add_i32 s13, s5, 1
	v_add_co_u32_e64 v4, s[0:1], s12, v4
	v_addc_co_u32_e64 v5, s[0:1], v5, v8, s[0:1]
	s_cmp_gt_u32 s5, 2
	v_cmp_le_i32_e32 vcc, s7, v1
	s_cselect_b64 s[0:1], -1, 0
	s_or_b64 s[0:1], s[0:1], vcc
	s_and_b64 s[0:1], exec, s[0:1]
	v_add_u32_e32 v1, s21, v1
	s_mov_b32 s5, s13
	s_or_b64 s[2:3], s[0:1], s[2:3]
	s_waitcnt vmcnt(0)
	v_fma_f16 v6, v9, v10, v6
	s_andn2_b64 exec, exec, s[2:3]
	s_cbranch_execnz .LBB307_2
; %bb.3:
	s_or_b64 exec, exec, s[2:3]
.LBB307_4:
	s_or_b64 exec, exec, s[18:19]
	v_and_b32_e32 v2, 63, v0
	v_cmp_gt_u32_e32 vcc, 64, v0
	v_lshlrev_b32_e32 v1, 1, v2
	s_and_saveexec_b64 s[0:1], vcc
	s_cbranch_execz .LBB307_6
; %bb.5:
	v_mov_b32_e32 v3, 0
	ds_write_b16 v1, v3
.LBB307_6:
	s_or_b64 exec, exec, s[0:1]
	v_mbcnt_lo_u32_b32 v3, -1, 0
	v_mbcnt_hi_u32_b32 v5, -1, v3
	v_and_b32_e32 v7, 63, v5
	v_cmp_gt_u32_e64 s[0:1], 32, v7
	v_cndmask_b32_e64 v4, 0, 1, s[0:1]
	v_lshlrev_b32_e32 v4, 5, v4
	v_and_b32_e32 v3, 0xffff, v6
	v_add_lshl_u32 v4, v4, v5, 2
	ds_bpermute_b32 v3, v4, v3
	v_cmp_gt_u32_e64 s[0:1], 48, v7
	s_mov_b32 s2, 0xffff0000
	s_waitcnt lgkmcnt(0)
	s_barrier
	v_add_f16_e32 v4, v6, v3
	v_cndmask_b32_e64 v6, 0, 1, s[0:1]
	v_lshlrev_b32_e32 v6, 4, v6
	v_and_or_b32 v3, v3, s2, v4
	v_add_lshl_u32 v6, v6, v5, 2
	ds_bpermute_b32 v3, v6, v3
	v_cmp_gt_u32_e64 s[0:1], 56, v7
	v_cndmask_b32_e64 v6, 0, 1, s[0:1]
	v_lshlrev_b32_e32 v6, 3, v6
	v_add_lshl_u32 v6, v6, v5, 2
	s_waitcnt lgkmcnt(0)
	v_add_f16_e32 v4, v4, v3
	v_and_or_b32 v3, v3, s2, v4
	ds_bpermute_b32 v3, v6, v3
	v_cmp_gt_u32_e64 s[0:1], 60, v7
	s_waitcnt lgkmcnt(0)
	v_add_f16_e32 v4, v4, v3
	v_and_or_b32 v6, v3, s2, v4
	v_cndmask_b32_e64 v3, 0, 1, s[0:1]
	v_lshlrev_b32_e32 v3, 2, v3
	v_add_lshl_u32 v3, v3, v5, 2
	ds_bpermute_b32 v6, v3, v6
	v_cmp_gt_u32_e64 s[0:1], 62, v7
	s_waitcnt lgkmcnt(0)
	v_add_f16_e32 v8, v4, v6
	v_cndmask_b32_e64 v4, 0, 1, s[0:1]
	v_lshlrev_b32_e32 v4, 1, v4
	v_and_or_b32 v6, v6, s2, v8
	v_add_lshl_u32 v4, v4, v5, 2
	ds_bpermute_b32 v9, v4, v6
	v_cmp_ne_u32_e64 s[0:1], 63, v7
	v_addc_co_u32_e64 v5, s[0:1], 0, v5, s[0:1]
	v_lshlrev_b32_e32 v5, 2, v5
	s_waitcnt lgkmcnt(0)
	v_add_f16_e32 v6, v8, v9
	v_and_or_b32 v8, v9, s2, v6
	ds_bpermute_b32 v7, v5, v8
	v_cmp_eq_u32_e64 s[0:1], 0, v2
	s_and_saveexec_b64 s[2:3], s[0:1]
	s_cbranch_execz .LBB307_8
; %bb.7:
	s_waitcnt lgkmcnt(0)
	v_add_f16_e32 v2, v6, v7
	v_lshrrev_b32_e32 v6, 5, v0
	v_and_b32_e32 v6, 14, v6
	ds_write_b16 v6, v2
.LBB307_8:
	s_or_b64 exec, exec, s[2:3]
	v_cmp_gt_u32_e64 s[0:1], 8, v0
	v_mov_b32_e32 v2, 0
	s_waitcnt lgkmcnt(0)
	s_barrier
	s_and_saveexec_b64 s[2:3], s[0:1]
	s_cbranch_execnz .LBB307_12
; %bb.9:
	s_or_b64 exec, exec, s[2:3]
	s_and_saveexec_b64 s[0:1], vcc
	s_cbranch_execnz .LBB307_13
.LBB307_10:
	s_or_b64 exec, exec, s[0:1]
	v_cmp_eq_u32_e32 vcc, 0, v0
	s_and_saveexec_b64 s[0:1], vcc
	s_cbranch_execnz .LBB307_14
.LBB307_11:
	s_endpgm
.LBB307_12:
	ds_read_u16 v2, v1
	s_or_b64 exec, exec, s[2:3]
	s_and_saveexec_b64 s[0:1], vcc
	s_cbranch_execz .LBB307_10
.LBB307_13:
	s_waitcnt lgkmcnt(0)
	v_and_b32_e32 v1, 0xffff, v2
	ds_bpermute_b32 v1, v3, v1
	s_mov_b32 s2, 0xffff0000
	s_waitcnt lgkmcnt(0)
	v_add_f16_e32 v2, v2, v1
	v_and_or_b32 v1, v1, s2, v2
	ds_bpermute_b32 v1, v4, v1
	s_waitcnt lgkmcnt(0)
	v_add_f16_e32 v2, v2, v1
	v_and_or_b32 v1, v1, s2, v2
	ds_bpermute_b32 v1, v5, v1
	s_waitcnt lgkmcnt(0)
	v_add_f16_e32 v2, v2, v1
	s_or_b64 exec, exec, s[0:1]
	v_cmp_eq_u32_e32 vcc, 0, v0
	s_and_saveexec_b64 s[0:1], vcc
	s_cbranch_execz .LBB307_11
.LBB307_14:
	s_cmp_lg_u32 s20, 1
	s_mov_b64 s[0:1], -1
	s_cbranch_scc0 .LBB307_16
; %bb.15:
	s_mul_hi_u32 s1, s20, s16
	s_mul_i32 s0, s20, s16
	s_lshl_b64 s[0:1], s[0:1], 1
	s_mov_b32 s7, 0
	s_add_u32 s2, s8, s0
	s_addc_u32 s3, s9, s1
	s_lshl_b64 s[0:1], s[6:7], 1
	s_add_u32 s0, s2, s0
	s_addc_u32 s1, s3, s1
	v_mov_b32_e32 v0, 0
	s_waitcnt lgkmcnt(0)
	global_store_short v0, v2, s[0:1]
	s_mov_b64 s[0:1], 0
.LBB307_16:
	s_andn2_b64 vcc, exec, s[0:1]
	s_cbranch_vccnz .LBB307_11
; %bb.17:
	s_waitcnt lgkmcnt(0)
	v_cvt_f32_f16_e32 v0, v2
	s_lshl_b64 s[0:1], s[16:17], 2
	s_add_u32 s0, s10, s0
	s_addc_u32 s1, s11, s1
	v_mov_b32_e32 v1, 0
	global_store_dword v1, v0, s[0:1]
	s_endpgm
	.section	.rodata,"a",@progbits
	.p2align	6, 0x0
	.amdhsa_kernel _ZL18rocblas_dot_kernelIlLb0ELi512ELi4ELb1EfPKPKDF16_DF16_EviT5_lT_lS4_lS5_liPT6_PT4_
		.amdhsa_group_segment_fixed_size 128
		.amdhsa_private_segment_fixed_size 0
		.amdhsa_kernarg_size 352
		.amdhsa_user_sgpr_count 6
		.amdhsa_user_sgpr_private_segment_buffer 1
		.amdhsa_user_sgpr_dispatch_ptr 0
		.amdhsa_user_sgpr_queue_ptr 0
		.amdhsa_user_sgpr_kernarg_segment_ptr 1
		.amdhsa_user_sgpr_dispatch_id 0
		.amdhsa_user_sgpr_flat_scratch_init 0
		.amdhsa_user_sgpr_kernarg_preload_length 0
		.amdhsa_user_sgpr_kernarg_preload_offset 0
		.amdhsa_user_sgpr_private_segment_size 0
		.amdhsa_uses_dynamic_stack 0
		.amdhsa_system_sgpr_private_segment_wavefront_offset 0
		.amdhsa_system_sgpr_workgroup_id_x 1
		.amdhsa_system_sgpr_workgroup_id_y 0
		.amdhsa_system_sgpr_workgroup_id_z 1
		.amdhsa_system_sgpr_workgroup_info 0
		.amdhsa_system_vgpr_workitem_id 0
		.amdhsa_next_free_vgpr 11
		.amdhsa_next_free_sgpr 26
		.amdhsa_accum_offset 12
		.amdhsa_reserve_vcc 1
		.amdhsa_reserve_flat_scratch 0
		.amdhsa_float_round_mode_32 0
		.amdhsa_float_round_mode_16_64 0
		.amdhsa_float_denorm_mode_32 3
		.amdhsa_float_denorm_mode_16_64 3
		.amdhsa_dx10_clamp 1
		.amdhsa_ieee_mode 1
		.amdhsa_fp16_overflow 0
		.amdhsa_tg_split 0
		.amdhsa_exception_fp_ieee_invalid_op 0
		.amdhsa_exception_fp_denorm_src 0
		.amdhsa_exception_fp_ieee_div_zero 0
		.amdhsa_exception_fp_ieee_overflow 0
		.amdhsa_exception_fp_ieee_underflow 0
		.amdhsa_exception_fp_ieee_inexact 0
		.amdhsa_exception_int_div_zero 0
	.end_amdhsa_kernel
	.section	.text._ZL18rocblas_dot_kernelIlLb0ELi512ELi4ELb1EfPKPKDF16_DF16_EviT5_lT_lS4_lS5_liPT6_PT4_,"axG",@progbits,_ZL18rocblas_dot_kernelIlLb0ELi512ELi4ELb1EfPKPKDF16_DF16_EviT5_lT_lS4_lS5_liPT6_PT4_,comdat
.Lfunc_end307:
	.size	_ZL18rocblas_dot_kernelIlLb0ELi512ELi4ELb1EfPKPKDF16_DF16_EviT5_lT_lS4_lS5_liPT6_PT4_, .Lfunc_end307-_ZL18rocblas_dot_kernelIlLb0ELi512ELi4ELb1EfPKPKDF16_DF16_EviT5_lT_lS4_lS5_liPT6_PT4_
                                        ; -- End function
	.section	.AMDGPU.csdata,"",@progbits
; Kernel info:
; codeLenInByte = 1168
; NumSgprs: 30
; NumVgprs: 11
; NumAgprs: 0
; TotalNumVgprs: 11
; ScratchSize: 0
; MemoryBound: 0
; FloatMode: 240
; IeeeMode: 1
; LDSByteSize: 128 bytes/workgroup (compile time only)
; SGPRBlocks: 3
; VGPRBlocks: 1
; NumSGPRsForWavesPerEU: 30
; NumVGPRsForWavesPerEU: 11
; AccumOffset: 12
; Occupancy: 8
; WaveLimiterHint : 0
; COMPUTE_PGM_RSRC2:SCRATCH_EN: 0
; COMPUTE_PGM_RSRC2:USER_SGPR: 6
; COMPUTE_PGM_RSRC2:TRAP_HANDLER: 0
; COMPUTE_PGM_RSRC2:TGID_X_EN: 1
; COMPUTE_PGM_RSRC2:TGID_Y_EN: 0
; COMPUTE_PGM_RSRC2:TGID_Z_EN: 1
; COMPUTE_PGM_RSRC2:TIDIG_COMP_CNT: 0
; COMPUTE_PGM_RSRC3_GFX90A:ACCUM_OFFSET: 2
; COMPUTE_PGM_RSRC3_GFX90A:TG_SPLIT: 0
	.section	.text._ZL24rocblas_dot_kernel_magsqIlLb0ELi512ELi4ELb1EfPKPKDF16_DF16_EviT5_lT_liPT6_PT4_,"axG",@progbits,_ZL24rocblas_dot_kernel_magsqIlLb0ELi512ELi4ELb1EfPKPKDF16_DF16_EviT5_lT_liPT6_PT4_,comdat
	.globl	_ZL24rocblas_dot_kernel_magsqIlLb0ELi512ELi4ELb1EfPKPKDF16_DF16_EviT5_lT_liPT6_PT4_ ; -- Begin function _ZL24rocblas_dot_kernel_magsqIlLb0ELi512ELi4ELb1EfPKPKDF16_DF16_EviT5_lT_liPT6_PT4_
	.p2align	8
	.type	_ZL24rocblas_dot_kernel_magsqIlLb0ELi512ELi4ELb1EfPKPKDF16_DF16_EviT5_lT_liPT6_PT4_,@function
_ZL24rocblas_dot_kernel_magsqIlLb0ELi512ELi4ELb1EfPKPKDF16_DF16_EviT5_lT_liPT6_PT4_: ; @_ZL24rocblas_dot_kernel_magsqIlLb0ELi512ELi4ELb1EfPKPKDF16_DF16_EviT5_lT_liPT6_PT4_
; %bb.0:
	s_mov_b32 s2, s7
	s_load_dword s7, s[4:5], 0x0
	s_load_dwordx4 s[8:11], s[4:5], 0x30
	s_load_dword s16, s[4:5], 0x40
	v_lshl_or_b32 v2, s6, 9, v0
	s_mov_b32 s3, 0
	s_waitcnt lgkmcnt(0)
	v_cmp_gt_i32_e32 vcc, s7, v2
	v_mov_b32_e32 v4, 0
	s_and_saveexec_b64 s[12:13], vcc
	s_cbranch_execz .LBB308_4
; %bb.1:
	s_load_dwordx2 s[0:1], s[4:5], 0x8
	s_load_dwordx4 s[20:23], s[4:5], 0x10
	s_lshl_b64 s[4:5], s[2:3], 3
	v_ashrrev_i32_e32 v3, 31, v2
	s_waitcnt lgkmcnt(0)
	s_add_u32 s0, s0, s4
	s_addc_u32 s1, s1, s5
	s_load_dwordx2 s[0:1], s[0:1], 0x0
	s_lshl_b32 s17, s16, 9
	v_add_u32_e32 v1, s17, v2
	v_mul_lo_u32 v4, s23, v2
	v_mul_lo_u32 v5, s22, v3
	v_mad_u64_u32 v[2:3], s[4:5], s22, v2, 0
	v_add3_u32 v3, v3, v5, v4
	s_lshl_b64 s[4:5], s[20:21], 1
	v_lshlrev_b64 v[2:3], 1, v[2:3]
	s_waitcnt lgkmcnt(0)
	s_add_u32 s0, s0, s4
	s_addc_u32 s1, s1, s5
	v_add_co_u32_e32 v2, vcc, s0, v2
	s_ashr_i32 s0, s17, 31
	v_mov_b32_e32 v4, s1
	s_mul_i32 s0, s22, s0
	s_mul_hi_u32 s1, s22, s17
	s_add_i32 s0, s1, s0
	s_mul_i32 s1, s23, s17
	s_add_i32 s1, s0, s1
	s_mul_i32 s0, s22, s17
	s_lshl_b64 s[14:15], s[0:1], 1
	v_addc_co_u32_e32 v3, vcc, v4, v3, vcc
	s_mov_b64 s[4:5], 0
	v_mov_b32_e32 v4, 0
	v_mov_b32_e32 v5, s15
	s_mov_b32 s15, s3
.LBB308_2:                              ; =>This Inner Loop Header: Depth=1
	global_load_ushort v6, v[2:3], off
	s_add_i32 s18, s15, 1
	v_add_co_u32_e64 v2, s[0:1], s14, v2
	v_addc_co_u32_e64 v3, s[0:1], v3, v5, s[0:1]
	s_cmp_gt_u32 s15, 2
	v_cmp_le_i32_e32 vcc, s7, v1
	s_cselect_b64 s[0:1], -1, 0
	s_or_b64 s[0:1], s[0:1], vcc
	s_and_b64 s[0:1], exec, s[0:1]
	v_add_u32_e32 v1, s17, v1
	s_mov_b32 s15, s18
	s_or_b64 s[4:5], s[0:1], s[4:5]
	s_waitcnt vmcnt(0)
	v_fma_f16 v4, v6, v6, v4
	s_andn2_b64 exec, exec, s[4:5]
	s_cbranch_execnz .LBB308_2
; %bb.3:
	s_or_b64 exec, exec, s[4:5]
.LBB308_4:
	s_or_b64 exec, exec, s[12:13]
	v_and_b32_e32 v2, 63, v0
	v_cmp_gt_u32_e32 vcc, 64, v0
	v_lshlrev_b32_e32 v1, 1, v2
	s_and_saveexec_b64 s[0:1], vcc
	s_cbranch_execz .LBB308_6
; %bb.5:
	v_mov_b32_e32 v3, 0
	ds_write_b16 v1, v3
.LBB308_6:
	s_or_b64 exec, exec, s[0:1]
	v_mbcnt_lo_u32_b32 v3, -1, 0
	v_mbcnt_hi_u32_b32 v5, -1, v3
	v_and_b32_e32 v7, 63, v5
	v_cmp_gt_u32_e64 s[0:1], 32, v7
	v_cndmask_b32_e64 v6, 0, 1, s[0:1]
	v_lshlrev_b32_e32 v6, 5, v6
	v_and_b32_e32 v3, 0xffff, v4
	v_add_lshl_u32 v6, v6, v5, 2
	ds_bpermute_b32 v3, v6, v3
	v_cmp_gt_u32_e64 s[0:1], 48, v7
	v_cndmask_b32_e64 v6, 0, 1, s[0:1]
	s_mov_b32 s4, 0xffff0000
	v_lshlrev_b32_e32 v6, 4, v6
	s_waitcnt lgkmcnt(0)
	v_add_f16_e32 v4, v4, v3
	v_and_or_b32 v3, v3, s4, v4
	v_add_lshl_u32 v6, v6, v5, 2
	ds_bpermute_b32 v3, v6, v3
	v_cmp_gt_u32_e64 s[0:1], 56, v7
	v_cndmask_b32_e64 v6, 0, 1, s[0:1]
	v_lshlrev_b32_e32 v6, 3, v6
	v_add_lshl_u32 v6, v6, v5, 2
	s_waitcnt lgkmcnt(0)
	v_add_f16_e32 v4, v4, v3
	v_and_or_b32 v3, v3, s4, v4
	ds_bpermute_b32 v3, v6, v3
	v_cmp_gt_u32_e64 s[0:1], 60, v7
	s_waitcnt lgkmcnt(0)
	s_barrier
	v_add_f16_e32 v4, v4, v3
	v_and_or_b32 v6, v3, s4, v4
	v_cndmask_b32_e64 v3, 0, 1, s[0:1]
	v_lshlrev_b32_e32 v3, 2, v3
	v_add_lshl_u32 v3, v3, v5, 2
	ds_bpermute_b32 v6, v3, v6
	v_cmp_gt_u32_e64 s[0:1], 62, v7
	s_waitcnt lgkmcnt(0)
	v_add_f16_e32 v8, v4, v6
	v_cndmask_b32_e64 v4, 0, 1, s[0:1]
	v_lshlrev_b32_e32 v4, 1, v4
	v_and_or_b32 v6, v6, s4, v8
	v_add_lshl_u32 v4, v4, v5, 2
	ds_bpermute_b32 v9, v4, v6
	v_cmp_ne_u32_e64 s[0:1], 63, v7
	v_addc_co_u32_e64 v5, s[0:1], 0, v5, s[0:1]
	v_lshlrev_b32_e32 v5, 2, v5
	s_waitcnt lgkmcnt(0)
	v_add_f16_e32 v6, v8, v9
	v_and_or_b32 v8, v9, s4, v6
	ds_bpermute_b32 v7, v5, v8
	v_cmp_eq_u32_e64 s[0:1], 0, v2
	s_and_saveexec_b64 s[4:5], s[0:1]
	s_cbranch_execz .LBB308_8
; %bb.7:
	s_waitcnt lgkmcnt(0)
	v_add_f16_e32 v2, v6, v7
	v_lshrrev_b32_e32 v6, 5, v0
	v_and_b32_e32 v6, 14, v6
	ds_write_b16 v6, v2
.LBB308_8:
	s_or_b64 exec, exec, s[4:5]
	v_cmp_gt_u32_e64 s[0:1], 8, v0
	v_mov_b32_e32 v2, 0
	s_waitcnt lgkmcnt(0)
	s_barrier
	s_and_saveexec_b64 s[4:5], s[0:1]
	s_cbranch_execnz .LBB308_12
; %bb.9:
	s_or_b64 exec, exec, s[4:5]
	s_and_saveexec_b64 s[0:1], vcc
	s_cbranch_execnz .LBB308_13
.LBB308_10:
	s_or_b64 exec, exec, s[0:1]
	v_cmp_eq_u32_e32 vcc, 0, v0
	s_and_saveexec_b64 s[0:1], vcc
	s_cbranch_execnz .LBB308_14
.LBB308_11:
	s_endpgm
.LBB308_12:
	ds_read_u16 v2, v1
	s_or_b64 exec, exec, s[4:5]
	s_and_saveexec_b64 s[0:1], vcc
	s_cbranch_execz .LBB308_10
.LBB308_13:
	s_waitcnt lgkmcnt(0)
	v_and_b32_e32 v1, 0xffff, v2
	ds_bpermute_b32 v1, v3, v1
	s_mov_b32 s4, 0xffff0000
	s_waitcnt lgkmcnt(0)
	v_add_f16_e32 v2, v2, v1
	v_and_or_b32 v1, v1, s4, v2
	ds_bpermute_b32 v1, v4, v1
	s_waitcnt lgkmcnt(0)
	v_add_f16_e32 v2, v2, v1
	v_and_or_b32 v1, v1, s4, v2
	ds_bpermute_b32 v1, v5, v1
	s_waitcnt lgkmcnt(0)
	v_add_f16_e32 v2, v2, v1
	s_or_b64 exec, exec, s[0:1]
	v_cmp_eq_u32_e32 vcc, 0, v0
	s_and_saveexec_b64 s[0:1], vcc
	s_cbranch_execz .LBB308_11
.LBB308_14:
	s_cmp_lg_u32 s16, 1
	s_mov_b64 s[0:1], -1
	s_cbranch_scc0 .LBB308_16
; %bb.15:
	s_mul_hi_u32 s1, s16, s2
	s_mul_i32 s0, s16, s2
	s_lshl_b64 s[0:1], s[0:1], 1
	s_mov_b32 s7, 0
	s_add_u32 s4, s8, s0
	s_addc_u32 s5, s9, s1
	s_lshl_b64 s[0:1], s[6:7], 1
	s_add_u32 s0, s4, s0
	s_addc_u32 s1, s5, s1
	v_mov_b32_e32 v0, 0
	s_waitcnt lgkmcnt(0)
	global_store_short v0, v2, s[0:1]
	s_mov_b64 s[0:1], 0
.LBB308_16:
	s_andn2_b64 vcc, exec, s[0:1]
	s_cbranch_vccnz .LBB308_11
; %bb.17:
	s_waitcnt lgkmcnt(0)
	v_cvt_f32_f16_e32 v0, v2
	s_lshl_b64 s[0:1], s[2:3], 2
	s_add_u32 s0, s10, s0
	s_addc_u32 s1, s11, s1
	v_mov_b32_e32 v1, 0
	global_store_dword v1, v0, s[0:1]
	s_endpgm
	.section	.rodata,"a",@progbits
	.p2align	6, 0x0
	.amdhsa_kernel _ZL24rocblas_dot_kernel_magsqIlLb0ELi512ELi4ELb1EfPKPKDF16_DF16_EviT5_lT_liPT6_PT4_
		.amdhsa_group_segment_fixed_size 128
		.amdhsa_private_segment_fixed_size 0
		.amdhsa_kernarg_size 320
		.amdhsa_user_sgpr_count 6
		.amdhsa_user_sgpr_private_segment_buffer 1
		.amdhsa_user_sgpr_dispatch_ptr 0
		.amdhsa_user_sgpr_queue_ptr 0
		.amdhsa_user_sgpr_kernarg_segment_ptr 1
		.amdhsa_user_sgpr_dispatch_id 0
		.amdhsa_user_sgpr_flat_scratch_init 0
		.amdhsa_user_sgpr_kernarg_preload_length 0
		.amdhsa_user_sgpr_kernarg_preload_offset 0
		.amdhsa_user_sgpr_private_segment_size 0
		.amdhsa_uses_dynamic_stack 0
		.amdhsa_system_sgpr_private_segment_wavefront_offset 0
		.amdhsa_system_sgpr_workgroup_id_x 1
		.amdhsa_system_sgpr_workgroup_id_y 0
		.amdhsa_system_sgpr_workgroup_id_z 1
		.amdhsa_system_sgpr_workgroup_info 0
		.amdhsa_system_vgpr_workitem_id 0
		.amdhsa_next_free_vgpr 10
		.amdhsa_next_free_sgpr 24
		.amdhsa_accum_offset 12
		.amdhsa_reserve_vcc 1
		.amdhsa_reserve_flat_scratch 0
		.amdhsa_float_round_mode_32 0
		.amdhsa_float_round_mode_16_64 0
		.amdhsa_float_denorm_mode_32 3
		.amdhsa_float_denorm_mode_16_64 3
		.amdhsa_dx10_clamp 1
		.amdhsa_ieee_mode 1
		.amdhsa_fp16_overflow 0
		.amdhsa_tg_split 0
		.amdhsa_exception_fp_ieee_invalid_op 0
		.amdhsa_exception_fp_denorm_src 0
		.amdhsa_exception_fp_ieee_div_zero 0
		.amdhsa_exception_fp_ieee_overflow 0
		.amdhsa_exception_fp_ieee_underflow 0
		.amdhsa_exception_fp_ieee_inexact 0
		.amdhsa_exception_int_div_zero 0
	.end_amdhsa_kernel
	.section	.text._ZL24rocblas_dot_kernel_magsqIlLb0ELi512ELi4ELb1EfPKPKDF16_DF16_EviT5_lT_liPT6_PT4_,"axG",@progbits,_ZL24rocblas_dot_kernel_magsqIlLb0ELi512ELi4ELb1EfPKPKDF16_DF16_EviT5_lT_liPT6_PT4_,comdat
.Lfunc_end308:
	.size	_ZL24rocblas_dot_kernel_magsqIlLb0ELi512ELi4ELb1EfPKPKDF16_DF16_EviT5_lT_liPT6_PT4_, .Lfunc_end308-_ZL24rocblas_dot_kernel_magsqIlLb0ELi512ELi4ELb1EfPKPKDF16_DF16_EviT5_lT_liPT6_PT4_
                                        ; -- End function
	.section	.AMDGPU.csdata,"",@progbits
; Kernel info:
; codeLenInByte = 1016
; NumSgprs: 28
; NumVgprs: 10
; NumAgprs: 0
; TotalNumVgprs: 10
; ScratchSize: 0
; MemoryBound: 0
; FloatMode: 240
; IeeeMode: 1
; LDSByteSize: 128 bytes/workgroup (compile time only)
; SGPRBlocks: 3
; VGPRBlocks: 1
; NumSGPRsForWavesPerEU: 28
; NumVGPRsForWavesPerEU: 10
; AccumOffset: 12
; Occupancy: 8
; WaveLimiterHint : 0
; COMPUTE_PGM_RSRC2:SCRATCH_EN: 0
; COMPUTE_PGM_RSRC2:USER_SGPR: 6
; COMPUTE_PGM_RSRC2:TRAP_HANDLER: 0
; COMPUTE_PGM_RSRC2:TGID_X_EN: 1
; COMPUTE_PGM_RSRC2:TGID_Y_EN: 0
; COMPUTE_PGM_RSRC2:TGID_Z_EN: 1
; COMPUTE_PGM_RSRC2:TIDIG_COMP_CNT: 0
; COMPUTE_PGM_RSRC3_GFX90A:ACCUM_OFFSET: 2
; COMPUTE_PGM_RSRC3_GFX90A:TG_SPLIT: 0
	.section	.text._ZL28rocblas_dot_batched_4_kernelIlLi32ELi4ELb1EffPK16rocblas_bfloat16EviT5_lT_lS3_lS4_liPT4_,"axG",@progbits,_ZL28rocblas_dot_batched_4_kernelIlLi32ELi4ELb1EffPK16rocblas_bfloat16EviT5_lT_lS3_lS4_liPT4_,comdat
	.globl	_ZL28rocblas_dot_batched_4_kernelIlLi32ELi4ELb1EffPK16rocblas_bfloat16EviT5_lT_lS3_lS4_liPT4_ ; -- Begin function _ZL28rocblas_dot_batched_4_kernelIlLi32ELi4ELb1EffPK16rocblas_bfloat16EviT5_lT_lS3_lS4_liPT4_
	.p2align	8
	.type	_ZL28rocblas_dot_batched_4_kernelIlLi32ELi4ELb1EffPK16rocblas_bfloat16EviT5_lT_lS3_lS4_liPT4_,@function
_ZL28rocblas_dot_batched_4_kernelIlLi32ELi4ELb1EffPK16rocblas_bfloat16EviT5_lT_lS3_lS4_liPT4_: ; @_ZL28rocblas_dot_batched_4_kernelIlLi32ELi4ELb1EffPK16rocblas_bfloat16EviT5_lT_lS3_lS4_liPT4_
; %bb.0:
	s_load_dword s0, s[4:5], 0x48
	v_bfe_u32 v1, v0, 10, 10
	v_lshl_add_u32 v2, s6, 2, v1
	s_waitcnt lgkmcnt(0)
	v_cmp_gt_u32_e32 vcc, s0, v2
	s_and_saveexec_b64 s[0:1], vcc
	s_cbranch_execz .LBB309_7
; %bb.1:
	s_load_dword s16, s[4:5], 0x0
	s_load_dwordx2 s[0:1], s[4:5], 0x50
	v_mov_b32_e32 v3, 0
	v_and_b32_e32 v6, 0x3ff, v0
	v_mov_b32_e32 v7, v3
	s_waitcnt lgkmcnt(0)
	v_cmp_gt_i32_e32 vcc, s16, v6
	s_and_saveexec_b64 s[2:3], vcc
	s_cbranch_execz .LBB309_5
; %bb.2:
	s_load_dwordx4 s[20:23], s[4:5], 0x10
	s_load_dwordx2 s[6:7], s[4:5], 0x8
	s_load_dwordx8 s[8:15], s[4:5], 0x20
	s_load_dwordx2 s[18:19], s[4:5], 0x40
	s_waitcnt lgkmcnt(0)
	v_mad_u64_u32 v[0:1], s[4:5], s22, v6, 0
	v_mov_b32_e32 v4, v1
	v_mad_u64_u32 v[4:5], s[4:5], s23, v6, v[4:5]
	v_mov_b32_e32 v1, v4
	;; [unrolled: 2-line block ×4, first 2 shown]
	v_lshlrev_b64 v[0:1], 1, v[0:1]
	v_lshlrev_b64 v[4:5], 1, v[4:5]
	s_lshl_b64 s[4:5], s[20:21], 1
	v_add_co_u32_e32 v0, vcc, v0, v4
	s_add_u32 s4, s6, s4
	v_addc_co_u32_e32 v1, vcc, v1, v5, vcc
	s_addc_u32 s5, s7, s5
	v_mov_b32_e32 v4, s5
	v_add_co_u32_e32 v0, vcc, s4, v0
	v_addc_co_u32_e32 v1, vcc, v4, v1, vcc
	v_mad_u64_u32 v[4:5], s[6:7], s14, v6, 0
	v_mov_b32_e32 v8, v5
	v_mad_u64_u32 v[8:9], s[6:7], s15, v6, v[8:9]
	v_mov_b32_e32 v5, v8
	;; [unrolled: 2-line block ×4, first 2 shown]
	s_lshl_b64 s[4:5], s[22:23], 6
	v_lshlrev_b64 v[4:5], 1, v[4:5]
	v_lshlrev_b64 v[8:9], 1, v[8:9]
	s_lshl_b64 s[6:7], s[12:13], 1
	v_add_co_u32_e32 v4, vcc, v4, v8
	s_add_u32 s6, s10, s6
	v_addc_co_u32_e32 v5, vcc, v5, v9, vcc
	s_addc_u32 s7, s11, s7
	v_mov_b32_e32 v7, s7
	v_add_co_u32_e32 v4, vcc, s6, v4
	s_lshl_b64 s[8:9], s[14:15], 6
	v_addc_co_u32_e32 v5, vcc, v7, v5, vcc
	s_mov_b64 s[6:7], 0
	v_mov_b32_e32 v7, 0
	v_mov_b32_e32 v8, s5
	;; [unrolled: 1-line block ×4, first 2 shown]
.LBB309_3:                              ; =>This Inner Loop Header: Depth=1
	global_load_ushort v11, v[0:1], off
	global_load_ushort v12, v[4:5], off
	v_add_co_u32_e32 v0, vcc, s4, v0
	v_addc_co_u32_e32 v1, vcc, v1, v8, vcc
	v_add_co_u32_e32 v4, vcc, s8, v4
	v_add_u32_e32 v10, 32, v10
	v_addc_co_u32_e32 v5, vcc, v5, v9, vcc
	v_cmp_le_i32_e32 vcc, s16, v10
	s_or_b64 s[6:7], vcc, s[6:7]
	s_waitcnt vmcnt(1)
	v_lshlrev_b32_e32 v11, 16, v11
	s_waitcnt vmcnt(0)
	v_lshlrev_b32_e32 v12, 16, v12
	v_fmac_f32_e32 v7, v12, v11
	s_andn2_b64 exec, exec, s[6:7]
	s_cbranch_execnz .LBB309_3
; %bb.4:
	s_or_b64 exec, exec, s[6:7]
.LBB309_5:
	s_or_b64 exec, exec, s[2:3]
	v_mbcnt_lo_u32_b32 v0, -1, 0
	v_mbcnt_hi_u32_b32 v0, -1, v0
	v_and_b32_e32 v1, 63, v0
	v_cmp_gt_u32_e32 vcc, 48, v1
	v_cndmask_b32_e64 v4, 0, 1, vcc
	v_lshlrev_b32_e32 v4, 4, v4
	v_add_lshl_u32 v4, v4, v0, 2
	ds_bpermute_b32 v4, v4, v7
	v_cmp_gt_u32_e32 vcc, 56, v1
	v_cndmask_b32_e64 v5, 0, 1, vcc
	v_lshlrev_b32_e32 v5, 3, v5
	v_add_lshl_u32 v5, v5, v0, 2
	s_waitcnt lgkmcnt(0)
	v_add_f32_e32 v4, v7, v4
	ds_bpermute_b32 v5, v5, v4
	v_cmp_gt_u32_e32 vcc, 60, v1
	v_cndmask_b32_e64 v7, 0, 1, vcc
	v_lshlrev_b32_e32 v7, 2, v7
	v_cmp_gt_u32_e32 vcc, 62, v1
	s_waitcnt lgkmcnt(0)
	v_add_f32_e32 v4, v4, v5
	v_add_lshl_u32 v5, v7, v0, 2
	ds_bpermute_b32 v5, v5, v4
	v_cndmask_b32_e64 v7, 0, 1, vcc
	v_lshlrev_b32_e32 v7, 1, v7
	v_cmp_ne_u32_e32 vcc, 63, v1
	v_addc_co_u32_e32 v1, vcc, 0, v0, vcc
	s_waitcnt lgkmcnt(0)
	v_add_f32_e32 v4, v4, v5
	v_add_lshl_u32 v5, v7, v0, 2
	ds_bpermute_b32 v5, v5, v4
	v_lshlrev_b32_e32 v1, 2, v1
	v_cmp_eq_u32_e32 vcc, 0, v6
	s_waitcnt lgkmcnt(0)
	s_barrier
	v_add_f32_e32 v0, v4, v5
	ds_bpermute_b32 v1, v1, v0
	s_waitcnt lgkmcnt(0)
	s_and_b64 exec, exec, vcc
	s_cbranch_execz .LBB309_7
; %bb.6:
	v_lshlrev_b64 v[2:3], 2, v[2:3]
	v_mov_b32_e32 v4, s1
	v_add_co_u32_e32 v2, vcc, s0, v2
	v_addc_co_u32_e32 v3, vcc, v4, v3, vcc
	v_add_f32_e32 v0, v0, v1
	global_store_dword v[2:3], v0, off
.LBB309_7:
	s_endpgm
	.section	.rodata,"a",@progbits
	.p2align	6, 0x0
	.amdhsa_kernel _ZL28rocblas_dot_batched_4_kernelIlLi32ELi4ELb1EffPK16rocblas_bfloat16EviT5_lT_lS3_lS4_liPT4_
		.amdhsa_group_segment_fixed_size 0
		.amdhsa_private_segment_fixed_size 0
		.amdhsa_kernarg_size 88
		.amdhsa_user_sgpr_count 6
		.amdhsa_user_sgpr_private_segment_buffer 1
		.amdhsa_user_sgpr_dispatch_ptr 0
		.amdhsa_user_sgpr_queue_ptr 0
		.amdhsa_user_sgpr_kernarg_segment_ptr 1
		.amdhsa_user_sgpr_dispatch_id 0
		.amdhsa_user_sgpr_flat_scratch_init 0
		.amdhsa_user_sgpr_kernarg_preload_length 0
		.amdhsa_user_sgpr_kernarg_preload_offset 0
		.amdhsa_user_sgpr_private_segment_size 0
		.amdhsa_uses_dynamic_stack 0
		.amdhsa_system_sgpr_private_segment_wavefront_offset 0
		.amdhsa_system_sgpr_workgroup_id_x 1
		.amdhsa_system_sgpr_workgroup_id_y 0
		.amdhsa_system_sgpr_workgroup_id_z 0
		.amdhsa_system_sgpr_workgroup_info 0
		.amdhsa_system_vgpr_workitem_id 1
		.amdhsa_next_free_vgpr 13
		.amdhsa_next_free_sgpr 24
		.amdhsa_accum_offset 16
		.amdhsa_reserve_vcc 1
		.amdhsa_reserve_flat_scratch 0
		.amdhsa_float_round_mode_32 0
		.amdhsa_float_round_mode_16_64 0
		.amdhsa_float_denorm_mode_32 3
		.amdhsa_float_denorm_mode_16_64 3
		.amdhsa_dx10_clamp 1
		.amdhsa_ieee_mode 1
		.amdhsa_fp16_overflow 0
		.amdhsa_tg_split 0
		.amdhsa_exception_fp_ieee_invalid_op 0
		.amdhsa_exception_fp_denorm_src 0
		.amdhsa_exception_fp_ieee_div_zero 0
		.amdhsa_exception_fp_ieee_overflow 0
		.amdhsa_exception_fp_ieee_underflow 0
		.amdhsa_exception_fp_ieee_inexact 0
		.amdhsa_exception_int_div_zero 0
	.end_amdhsa_kernel
	.section	.text._ZL28rocblas_dot_batched_4_kernelIlLi32ELi4ELb1EffPK16rocblas_bfloat16EviT5_lT_lS3_lS4_liPT4_,"axG",@progbits,_ZL28rocblas_dot_batched_4_kernelIlLi32ELi4ELb1EffPK16rocblas_bfloat16EviT5_lT_lS3_lS4_liPT4_,comdat
.Lfunc_end309:
	.size	_ZL28rocblas_dot_batched_4_kernelIlLi32ELi4ELb1EffPK16rocblas_bfloat16EviT5_lT_lS3_lS4_liPT4_, .Lfunc_end309-_ZL28rocblas_dot_batched_4_kernelIlLi32ELi4ELb1EffPK16rocblas_bfloat16EviT5_lT_lS3_lS4_liPT4_
                                        ; -- End function
	.section	.AMDGPU.csdata,"",@progbits
; Kernel info:
; codeLenInByte = 680
; NumSgprs: 28
; NumVgprs: 13
; NumAgprs: 0
; TotalNumVgprs: 13
; ScratchSize: 0
; MemoryBound: 0
; FloatMode: 240
; IeeeMode: 1
; LDSByteSize: 0 bytes/workgroup (compile time only)
; SGPRBlocks: 3
; VGPRBlocks: 1
; NumSGPRsForWavesPerEU: 28
; NumVGPRsForWavesPerEU: 13
; AccumOffset: 16
; Occupancy: 8
; WaveLimiterHint : 0
; COMPUTE_PGM_RSRC2:SCRATCH_EN: 0
; COMPUTE_PGM_RSRC2:USER_SGPR: 6
; COMPUTE_PGM_RSRC2:TRAP_HANDLER: 0
; COMPUTE_PGM_RSRC2:TGID_X_EN: 1
; COMPUTE_PGM_RSRC2:TGID_Y_EN: 0
; COMPUTE_PGM_RSRC2:TGID_Z_EN: 0
; COMPUTE_PGM_RSRC2:TIDIG_COMP_CNT: 1
; COMPUTE_PGM_RSRC3_GFX90A:ACCUM_OFFSET: 3
; COMPUTE_PGM_RSRC3_GFX90A:TG_SPLIT: 0
	.section	.text._ZL28rocblas_dot_batched_4_kernelIlLi64ELi4ELb1EffPK16rocblas_bfloat16EviT5_lT_lS3_lS4_liPT4_,"axG",@progbits,_ZL28rocblas_dot_batched_4_kernelIlLi64ELi4ELb1EffPK16rocblas_bfloat16EviT5_lT_lS3_lS4_liPT4_,comdat
	.globl	_ZL28rocblas_dot_batched_4_kernelIlLi64ELi4ELb1EffPK16rocblas_bfloat16EviT5_lT_lS3_lS4_liPT4_ ; -- Begin function _ZL28rocblas_dot_batched_4_kernelIlLi64ELi4ELb1EffPK16rocblas_bfloat16EviT5_lT_lS3_lS4_liPT4_
	.p2align	8
	.type	_ZL28rocblas_dot_batched_4_kernelIlLi64ELi4ELb1EffPK16rocblas_bfloat16EviT5_lT_lS3_lS4_liPT4_,@function
_ZL28rocblas_dot_batched_4_kernelIlLi64ELi4ELb1EffPK16rocblas_bfloat16EviT5_lT_lS3_lS4_liPT4_: ; @_ZL28rocblas_dot_batched_4_kernelIlLi64ELi4ELb1EffPK16rocblas_bfloat16EviT5_lT_lS3_lS4_liPT4_
; %bb.0:
	s_load_dword s0, s[4:5], 0x48
	v_bfe_u32 v1, v0, 10, 10
	v_lshl_add_u32 v2, s6, 2, v1
	s_waitcnt lgkmcnt(0)
	v_cmp_gt_u32_e32 vcc, s0, v2
	s_and_saveexec_b64 s[0:1], vcc
	s_cbranch_execz .LBB310_7
; %bb.1:
	s_load_dword s16, s[4:5], 0x0
	s_load_dwordx2 s[0:1], s[4:5], 0x50
	v_mov_b32_e32 v3, 0
	v_and_b32_e32 v6, 0x3ff, v0
	v_mov_b32_e32 v7, v3
	s_waitcnt lgkmcnt(0)
	v_cmp_gt_i32_e32 vcc, s16, v6
	s_and_saveexec_b64 s[2:3], vcc
	s_cbranch_execz .LBB310_5
; %bb.2:
	s_load_dwordx4 s[20:23], s[4:5], 0x10
	s_load_dwordx2 s[6:7], s[4:5], 0x8
	s_load_dwordx8 s[8:15], s[4:5], 0x20
	s_load_dwordx2 s[18:19], s[4:5], 0x40
	s_waitcnt lgkmcnt(0)
	v_mad_u64_u32 v[0:1], s[4:5], s22, v6, 0
	v_mov_b32_e32 v4, v1
	v_mad_u64_u32 v[4:5], s[4:5], s23, v6, v[4:5]
	v_mov_b32_e32 v1, v4
	;; [unrolled: 2-line block ×4, first 2 shown]
	v_lshlrev_b64 v[0:1], 1, v[0:1]
	v_lshlrev_b64 v[4:5], 1, v[4:5]
	s_lshl_b64 s[4:5], s[20:21], 1
	v_add_co_u32_e32 v0, vcc, v0, v4
	s_add_u32 s4, s6, s4
	v_addc_co_u32_e32 v1, vcc, v1, v5, vcc
	s_addc_u32 s5, s7, s5
	v_mov_b32_e32 v4, s5
	v_add_co_u32_e32 v0, vcc, s4, v0
	v_addc_co_u32_e32 v1, vcc, v4, v1, vcc
	v_mad_u64_u32 v[4:5], s[6:7], s14, v6, 0
	v_mov_b32_e32 v8, v5
	v_mad_u64_u32 v[8:9], s[6:7], s15, v6, v[8:9]
	v_mov_b32_e32 v5, v8
	;; [unrolled: 2-line block ×4, first 2 shown]
	s_lshl_b64 s[4:5], s[22:23], 7
	v_lshlrev_b64 v[4:5], 1, v[4:5]
	v_lshlrev_b64 v[8:9], 1, v[8:9]
	s_lshl_b64 s[6:7], s[12:13], 1
	v_add_co_u32_e32 v4, vcc, v4, v8
	s_add_u32 s6, s10, s6
	v_addc_co_u32_e32 v5, vcc, v5, v9, vcc
	s_addc_u32 s7, s11, s7
	v_mov_b32_e32 v7, s7
	v_add_co_u32_e32 v4, vcc, s6, v4
	s_lshl_b64 s[8:9], s[14:15], 7
	v_addc_co_u32_e32 v5, vcc, v7, v5, vcc
	s_mov_b64 s[6:7], 0
	v_mov_b32_e32 v7, 0
	v_mov_b32_e32 v8, s5
	;; [unrolled: 1-line block ×4, first 2 shown]
.LBB310_3:                              ; =>This Inner Loop Header: Depth=1
	global_load_ushort v11, v[0:1], off
	global_load_ushort v12, v[4:5], off
	v_add_co_u32_e32 v0, vcc, s4, v0
	v_addc_co_u32_e32 v1, vcc, v1, v8, vcc
	v_add_co_u32_e32 v4, vcc, s8, v4
	v_add_u32_e32 v10, 64, v10
	v_addc_co_u32_e32 v5, vcc, v5, v9, vcc
	v_cmp_le_i32_e32 vcc, s16, v10
	s_or_b64 s[6:7], vcc, s[6:7]
	s_waitcnt vmcnt(1)
	v_lshlrev_b32_e32 v11, 16, v11
	s_waitcnt vmcnt(0)
	v_lshlrev_b32_e32 v12, 16, v12
	v_fmac_f32_e32 v7, v12, v11
	s_andn2_b64 exec, exec, s[6:7]
	s_cbranch_execnz .LBB310_3
; %bb.4:
	s_or_b64 exec, exec, s[6:7]
.LBB310_5:
	s_or_b64 exec, exec, s[2:3]
	v_mbcnt_lo_u32_b32 v0, -1, 0
	v_mbcnt_hi_u32_b32 v0, -1, v0
	v_and_b32_e32 v1, 63, v0
	v_cmp_gt_u32_e32 vcc, 32, v1
	v_cndmask_b32_e64 v4, 0, 1, vcc
	v_lshlrev_b32_e32 v4, 5, v4
	v_add_lshl_u32 v4, v4, v0, 2
	ds_bpermute_b32 v4, v4, v7
	v_cmp_gt_u32_e32 vcc, 48, v1
	v_cndmask_b32_e64 v5, 0, 1, vcc
	v_lshlrev_b32_e32 v5, 4, v5
	v_add_lshl_u32 v5, v5, v0, 2
	s_waitcnt lgkmcnt(0)
	v_add_f32_e32 v4, v7, v4
	ds_bpermute_b32 v5, v5, v4
	v_cmp_gt_u32_e32 vcc, 56, v1
	v_cndmask_b32_e64 v7, 0, 1, vcc
	v_lshlrev_b32_e32 v7, 3, v7
	v_cmp_gt_u32_e32 vcc, 60, v1
	s_waitcnt lgkmcnt(0)
	v_add_f32_e32 v4, v4, v5
	v_add_lshl_u32 v5, v7, v0, 2
	ds_bpermute_b32 v5, v5, v4
	v_cndmask_b32_e64 v7, 0, 1, vcc
	v_lshlrev_b32_e32 v7, 2, v7
	v_cmp_gt_u32_e32 vcc, 62, v1
	s_waitcnt lgkmcnt(0)
	v_add_f32_e32 v4, v4, v5
	v_add_lshl_u32 v5, v7, v0, 2
	ds_bpermute_b32 v5, v5, v4
	v_cndmask_b32_e64 v7, 0, 1, vcc
	v_lshlrev_b32_e32 v7, 1, v7
	v_cmp_ne_u32_e32 vcc, 63, v1
	v_addc_co_u32_e32 v1, vcc, 0, v0, vcc
	s_waitcnt lgkmcnt(0)
	v_add_f32_e32 v4, v4, v5
	v_add_lshl_u32 v5, v7, v0, 2
	ds_bpermute_b32 v5, v5, v4
	v_lshlrev_b32_e32 v1, 2, v1
	v_cmp_eq_u32_e32 vcc, 0, v6
	s_barrier
	s_waitcnt lgkmcnt(0)
	v_add_f32_e32 v0, v4, v5
	ds_bpermute_b32 v1, v1, v0
	s_and_b64 exec, exec, vcc
	s_cbranch_execz .LBB310_7
; %bb.6:
	v_lshlrev_b64 v[2:3], 2, v[2:3]
	v_mov_b32_e32 v4, s1
	v_add_co_u32_e32 v2, vcc, s0, v2
	v_addc_co_u32_e32 v3, vcc, v4, v3, vcc
	s_waitcnt lgkmcnt(0)
	v_add_f32_e32 v0, v0, v1
	global_store_dword v[2:3], v0, off
.LBB310_7:
	s_endpgm
	.section	.rodata,"a",@progbits
	.p2align	6, 0x0
	.amdhsa_kernel _ZL28rocblas_dot_batched_4_kernelIlLi64ELi4ELb1EffPK16rocblas_bfloat16EviT5_lT_lS3_lS4_liPT4_
		.amdhsa_group_segment_fixed_size 0
		.amdhsa_private_segment_fixed_size 0
		.amdhsa_kernarg_size 88
		.amdhsa_user_sgpr_count 6
		.amdhsa_user_sgpr_private_segment_buffer 1
		.amdhsa_user_sgpr_dispatch_ptr 0
		.amdhsa_user_sgpr_queue_ptr 0
		.amdhsa_user_sgpr_kernarg_segment_ptr 1
		.amdhsa_user_sgpr_dispatch_id 0
		.amdhsa_user_sgpr_flat_scratch_init 0
		.amdhsa_user_sgpr_kernarg_preload_length 0
		.amdhsa_user_sgpr_kernarg_preload_offset 0
		.amdhsa_user_sgpr_private_segment_size 0
		.amdhsa_uses_dynamic_stack 0
		.amdhsa_system_sgpr_private_segment_wavefront_offset 0
		.amdhsa_system_sgpr_workgroup_id_x 1
		.amdhsa_system_sgpr_workgroup_id_y 0
		.amdhsa_system_sgpr_workgroup_id_z 0
		.amdhsa_system_sgpr_workgroup_info 0
		.amdhsa_system_vgpr_workitem_id 1
		.amdhsa_next_free_vgpr 13
		.amdhsa_next_free_sgpr 24
		.amdhsa_accum_offset 16
		.amdhsa_reserve_vcc 1
		.amdhsa_reserve_flat_scratch 0
		.amdhsa_float_round_mode_32 0
		.amdhsa_float_round_mode_16_64 0
		.amdhsa_float_denorm_mode_32 3
		.amdhsa_float_denorm_mode_16_64 3
		.amdhsa_dx10_clamp 1
		.amdhsa_ieee_mode 1
		.amdhsa_fp16_overflow 0
		.amdhsa_tg_split 0
		.amdhsa_exception_fp_ieee_invalid_op 0
		.amdhsa_exception_fp_denorm_src 0
		.amdhsa_exception_fp_ieee_div_zero 0
		.amdhsa_exception_fp_ieee_overflow 0
		.amdhsa_exception_fp_ieee_underflow 0
		.amdhsa_exception_fp_ieee_inexact 0
		.amdhsa_exception_int_div_zero 0
	.end_amdhsa_kernel
	.section	.text._ZL28rocblas_dot_batched_4_kernelIlLi64ELi4ELb1EffPK16rocblas_bfloat16EviT5_lT_lS3_lS4_liPT4_,"axG",@progbits,_ZL28rocblas_dot_batched_4_kernelIlLi64ELi4ELb1EffPK16rocblas_bfloat16EviT5_lT_lS3_lS4_liPT4_,comdat
.Lfunc_end310:
	.size	_ZL28rocblas_dot_batched_4_kernelIlLi64ELi4ELb1EffPK16rocblas_bfloat16EviT5_lT_lS3_lS4_liPT4_, .Lfunc_end310-_ZL28rocblas_dot_batched_4_kernelIlLi64ELi4ELb1EffPK16rocblas_bfloat16EviT5_lT_lS3_lS4_liPT4_
                                        ; -- End function
	.section	.AMDGPU.csdata,"",@progbits
; Kernel info:
; codeLenInByte = 720
; NumSgprs: 28
; NumVgprs: 13
; NumAgprs: 0
; TotalNumVgprs: 13
; ScratchSize: 0
; MemoryBound: 0
; FloatMode: 240
; IeeeMode: 1
; LDSByteSize: 0 bytes/workgroup (compile time only)
; SGPRBlocks: 3
; VGPRBlocks: 1
; NumSGPRsForWavesPerEU: 28
; NumVGPRsForWavesPerEU: 13
; AccumOffset: 16
; Occupancy: 8
; WaveLimiterHint : 0
; COMPUTE_PGM_RSRC2:SCRATCH_EN: 0
; COMPUTE_PGM_RSRC2:USER_SGPR: 6
; COMPUTE_PGM_RSRC2:TRAP_HANDLER: 0
; COMPUTE_PGM_RSRC2:TGID_X_EN: 1
; COMPUTE_PGM_RSRC2:TGID_Y_EN: 0
; COMPUTE_PGM_RSRC2:TGID_Z_EN: 0
; COMPUTE_PGM_RSRC2:TIDIG_COMP_CNT: 1
; COMPUTE_PGM_RSRC3_GFX90A:ACCUM_OFFSET: 3
; COMPUTE_PGM_RSRC3_GFX90A:TG_SPLIT: 0
	.section	.text._ZL26rocblas_dot_kernel_inc1by2ILb1ELi1024ELi32ELb1EfPK16rocblas_bfloat16fEviT4_llS3_lliPT5_PT3_,"axG",@progbits,_ZL26rocblas_dot_kernel_inc1by2ILb1ELi1024ELi32ELb1EfPK16rocblas_bfloat16fEviT4_llS3_lliPT5_PT3_,comdat
	.globl	_ZL26rocblas_dot_kernel_inc1by2ILb1ELi1024ELi32ELb1EfPK16rocblas_bfloat16fEviT4_llS3_lliPT5_PT3_ ; -- Begin function _ZL26rocblas_dot_kernel_inc1by2ILb1ELi1024ELi32ELb1EfPK16rocblas_bfloat16fEviT4_llS3_lliPT5_PT3_
	.p2align	8
	.type	_ZL26rocblas_dot_kernel_inc1by2ILb1ELi1024ELi32ELb1EfPK16rocblas_bfloat16fEviT4_llS3_lliPT5_PT3_,@function
_ZL26rocblas_dot_kernel_inc1by2ILb1ELi1024ELi32ELb1EfPK16rocblas_bfloat16fEviT4_llS3_lliPT5_PT3_: ; @_ZL26rocblas_dot_kernel_inc1by2ILb1ELi1024ELi32ELb1EfPK16rocblas_bfloat16fEviT4_llS3_lliPT5_PT3_
; %bb.0:
	s_mov_b32 s2, s7
	s_load_dword s24, s[4:5], 0x0
	s_load_dwordx2 s[18:19], s[4:5], 0x8
	s_load_dwordx4 s[12:15], s[4:5], 0x10
	s_load_dwordx2 s[16:17], s[4:5], 0x20
	s_load_dwordx2 s[6:7], s[4:5], 0x48
	s_load_dwordx4 s[8:11], s[4:5], 0x28
	v_lshlrev_b32_e32 v6, 1, v0
	s_waitcnt lgkmcnt(0)
	s_mul_i32 s0, s2, s15
	s_mul_hi_u32 s1, s2, s14
	s_add_i32 s15, s1, s0
	s_mul_i32 s0, s2, s11
	s_mul_hi_u32 s1, s2, s10
	s_add_i32 s4, s24, -1
	s_mov_b32 s3, 0
	s_mul_i32 s14, s2, s14
	s_add_i32 s11, s1, s0
	s_mul_i32 s10, s2, s10
	v_cmp_gt_i32_e32 vcc, s4, v6
	v_mov_b32_e32 v1, 0
	s_and_saveexec_b64 s[20:21], vcc
	s_cbranch_execz .LBB311_4
; %bb.1:
	s_lshl_b64 s[0:1], s[10:11], 1
	s_lshl_b64 s[22:23], s[8:9], 1
	s_add_u32 s5, s16, s22
	s_addc_u32 s22, s17, s23
	s_add_u32 s0, s5, s0
	v_lshlrev_b32_e32 v4, 2, v0
	s_addc_u32 s1, s22, s1
	v_mov_b32_e32 v3, s1
	v_add_co_u32_e32 v2, vcc, s0, v4
	s_lshl_b64 s[0:1], s[14:15], 1
	s_lshl_b64 s[22:23], s[12:13], 1
	s_add_u32 s5, s18, s22
	s_addc_u32 s22, s19, s23
	s_add_u32 s0, s5, s0
	v_addc_co_u32_e32 v3, vcc, 0, v3, vcc
	s_addc_u32 s1, s22, s1
	v_mov_b32_e32 v5, s1
	v_add_co_u32_e32 v4, vcc, s0, v4
	v_mov_b32_e32 v1, 0
	v_addc_co_u32_e32 v5, vcc, 0, v5, vcc
	s_mov_b64 s[22:23], 0
	s_mov_b32 s5, s3
.LBB311_2:                              ; =>This Inner Loop Header: Depth=1
	global_load_dword v7, v[2:3], off
	global_load_dword v10, v[4:5], off
	s_add_i32 s25, s5, 1
	v_add_u32_e32 v6, 0x800, v6
	s_cmp_gt_u32 s5, 30
	v_add_co_u32_e32 v2, vcc, 0x1000, v2
	v_cmp_le_i32_e64 s[0:1], s4, v6
	s_cselect_b64 s[26:27], -1, 0
	v_addc_co_u32_e32 v3, vcc, 0, v3, vcc
	s_or_b64 s[0:1], s[26:27], s[0:1]
	v_add_co_u32_e32 v4, vcc, 0x1000, v4
	s_and_b64 s[0:1], exec, s[0:1]
	s_mov_b32 s5, s25
	v_addc_co_u32_e32 v5, vcc, 0, v5, vcc
	s_or_b64 s[22:23], s[0:1], s[22:23]
	s_waitcnt vmcnt(1)
	v_and_b32_e32 v9, 0xffff0000, v7
	v_lshlrev_b32_e32 v8, 16, v7
	s_waitcnt vmcnt(0)
	v_and_b32_e32 v11, 0xffff0000, v10
	v_lshlrev_b32_e32 v10, 16, v10
	v_pk_mul_f32 v[8:9], v[8:9], v[10:11]
	v_add_f32_e32 v1, v1, v8
	v_add_f32_e32 v1, v1, v9
	s_andn2_b64 exec, exec, s[22:23]
	s_cbranch_execnz .LBB311_2
; %bb.3:
	s_or_b64 exec, exec, s[22:23]
.LBB311_4:
	s_or_b64 exec, exec, s[20:21]
	s_bitcmp1_b32 s24, 0
	s_cselect_b64 s[0:1], -1, 0
	v_cmp_eq_u32_e32 vcc, s4, v6
	s_and_b64 s[20:21], s[0:1], vcc
	s_and_saveexec_b64 s[0:1], s[20:21]
	s_cbranch_execz .LBB311_6
; %bb.5:
	s_lshl_b64 s[14:15], s[14:15], 1
	s_add_u32 s5, s18, s14
	s_addc_u32 s14, s19, s15
	s_lshl_b64 s[12:13], s[12:13], 1
	s_add_u32 s12, s5, s12
	s_addc_u32 s13, s14, s13
	;; [unrolled: 3-line block ×3, first 2 shown]
	s_lshl_b64 s[8:9], s[8:9], 1
	s_add_u32 s8, s5, s8
	s_mov_b32 s5, 0
	s_addc_u32 s9, s10, s9
	s_lshl_b64 s[4:5], s[4:5], 1
	s_add_u32 s8, s8, s4
	s_addc_u32 s9, s9, s5
	v_mov_b32_e32 v2, 0
	s_add_u32 s4, s12, s4
	s_addc_u32 s5, s13, s5
	global_load_ushort v3, v2, s[8:9]
	global_load_ushort v4, v2, s[4:5]
	s_waitcnt vmcnt(1)
	v_lshlrev_b32_e32 v2, 16, v3
	s_waitcnt vmcnt(0)
	v_lshlrev_b32_e32 v3, 16, v4
	v_fmac_f32_e32 v1, v3, v2
.LBB311_6:
	s_or_b64 exec, exec, s[0:1]
	v_and_b32_e32 v3, 63, v0
	v_cmp_gt_u32_e32 vcc, 64, v0
	v_lshlrev_b32_e32 v2, 2, v3
	s_and_saveexec_b64 s[0:1], vcc
	s_cbranch_execz .LBB311_8
; %bb.7:
	v_mov_b32_e32 v4, 0
	ds_write_b32 v2, v4
.LBB311_8:
	s_or_b64 exec, exec, s[0:1]
	v_mbcnt_lo_u32_b32 v4, -1, 0
	v_mbcnt_hi_u32_b32 v6, -1, v4
	v_and_b32_e32 v7, 63, v6
	v_cmp_gt_u32_e64 s[0:1], 32, v7
	v_cndmask_b32_e64 v4, 0, 1, s[0:1]
	v_lshlrev_b32_e32 v4, 5, v4
	v_add_lshl_u32 v4, v4, v6, 2
	ds_bpermute_b32 v4, v4, v1
	v_cmp_gt_u32_e64 s[0:1], 48, v7
	v_cndmask_b32_e64 v5, 0, 1, s[0:1]
	v_lshlrev_b32_e32 v5, 4, v5
	v_cmp_gt_u32_e64 s[0:1], 56, v7
	s_waitcnt lgkmcnt(0)
	v_add_f32_e32 v1, v1, v4
	v_add_lshl_u32 v4, v5, v6, 2
	ds_bpermute_b32 v4, v4, v1
	v_cndmask_b32_e64 v5, 0, 1, s[0:1]
	v_lshlrev_b32_e32 v5, 3, v5
	v_cmp_gt_u32_e64 s[0:1], 60, v7
	v_cndmask_b32_e64 v8, 0, 1, s[0:1]
	s_waitcnt lgkmcnt(0)
	v_add_f32_e32 v4, v1, v4
	v_add_lshl_u32 v1, v5, v6, 2
	ds_bpermute_b32 v5, v1, v4
	v_lshlrev_b32_e32 v8, 2, v8
	v_cmp_gt_u32_e64 s[0:1], 62, v7
	v_cndmask_b32_e64 v9, 0, 1, s[0:1]
	v_lshlrev_b32_e32 v9, 1, v9
	s_waitcnt lgkmcnt(0)
	v_add_f32_e32 v5, v4, v5
	v_add_lshl_u32 v4, v8, v6, 2
	ds_bpermute_b32 v8, v4, v5
	v_cmp_ne_u32_e64 s[0:1], 63, v7
	s_waitcnt lgkmcnt(0)
	s_barrier
	v_add_f32_e32 v8, v5, v8
	v_add_lshl_u32 v5, v9, v6, 2
	ds_bpermute_b32 v9, v5, v8
	v_addc_co_u32_e64 v6, s[0:1], 0, v6, s[0:1]
	v_lshlrev_b32_e32 v6, 2, v6
	v_cmp_eq_u32_e64 s[0:1], 0, v3
	s_waitcnt lgkmcnt(0)
	v_add_f32_e32 v7, v8, v9
	ds_bpermute_b32 v8, v6, v7
	s_and_saveexec_b64 s[4:5], s[0:1]
	s_cbranch_execz .LBB311_10
; %bb.9:
	s_waitcnt lgkmcnt(0)
	v_add_f32_e32 v3, v7, v8
	v_lshrrev_b32_e32 v7, 4, v0
	v_and_b32_e32 v7, 60, v7
	ds_write_b32 v7, v3
.LBB311_10:
	s_or_b64 exec, exec, s[4:5]
	v_cmp_gt_u32_e64 s[0:1], 16, v0
	v_mov_b32_e32 v3, 0
	s_waitcnt lgkmcnt(0)
	s_barrier
	s_and_saveexec_b64 s[4:5], s[0:1]
	s_cbranch_execnz .LBB311_14
; %bb.11:
	s_or_b64 exec, exec, s[4:5]
	s_and_saveexec_b64 s[0:1], vcc
	s_cbranch_execnz .LBB311_15
.LBB311_12:
	s_or_b64 exec, exec, s[0:1]
	v_cmp_eq_u32_e32 vcc, 0, v0
	s_and_saveexec_b64 s[0:1], vcc
	s_cbranch_execnz .LBB311_16
.LBB311_13:
	s_endpgm
.LBB311_14:
	ds_read_b32 v3, v2
	s_or_b64 exec, exec, s[4:5]
	s_and_saveexec_b64 s[0:1], vcc
	s_cbranch_execz .LBB311_12
.LBB311_15:
	s_waitcnt lgkmcnt(0)
	ds_bpermute_b32 v1, v1, v3
	s_waitcnt lgkmcnt(0)
	v_add_f32_e32 v1, v3, v1
	ds_bpermute_b32 v2, v4, v1
	s_waitcnt lgkmcnt(0)
	v_add_f32_e32 v1, v1, v2
	;; [unrolled: 3-line block ×4, first 2 shown]
	s_or_b64 exec, exec, s[0:1]
	v_cmp_eq_u32_e32 vcc, 0, v0
	s_and_saveexec_b64 s[0:1], vcc
	s_cbranch_execz .LBB311_13
.LBB311_16:
	s_lshl_b64 s[0:1], s[2:3], 2
	s_add_u32 s0, s6, s0
	s_addc_u32 s1, s7, s1
	v_mov_b32_e32 v0, 0
	s_waitcnt lgkmcnt(0)
	global_store_dword v0, v3, s[0:1]
	s_endpgm
	.section	.rodata,"a",@progbits
	.p2align	6, 0x0
	.amdhsa_kernel _ZL26rocblas_dot_kernel_inc1by2ILb1ELi1024ELi32ELb1EfPK16rocblas_bfloat16fEviT4_llS3_lliPT5_PT3_
		.amdhsa_group_segment_fixed_size 256
		.amdhsa_private_segment_fixed_size 0
		.amdhsa_kernarg_size 80
		.amdhsa_user_sgpr_count 6
		.amdhsa_user_sgpr_private_segment_buffer 1
		.amdhsa_user_sgpr_dispatch_ptr 0
		.amdhsa_user_sgpr_queue_ptr 0
		.amdhsa_user_sgpr_kernarg_segment_ptr 1
		.amdhsa_user_sgpr_dispatch_id 0
		.amdhsa_user_sgpr_flat_scratch_init 0
		.amdhsa_user_sgpr_kernarg_preload_length 0
		.amdhsa_user_sgpr_kernarg_preload_offset 0
		.amdhsa_user_sgpr_private_segment_size 0
		.amdhsa_uses_dynamic_stack 0
		.amdhsa_system_sgpr_private_segment_wavefront_offset 0
		.amdhsa_system_sgpr_workgroup_id_x 1
		.amdhsa_system_sgpr_workgroup_id_y 0
		.amdhsa_system_sgpr_workgroup_id_z 1
		.amdhsa_system_sgpr_workgroup_info 0
		.amdhsa_system_vgpr_workitem_id 0
		.amdhsa_next_free_vgpr 12
		.amdhsa_next_free_sgpr 28
		.amdhsa_accum_offset 12
		.amdhsa_reserve_vcc 1
		.amdhsa_reserve_flat_scratch 0
		.amdhsa_float_round_mode_32 0
		.amdhsa_float_round_mode_16_64 0
		.amdhsa_float_denorm_mode_32 3
		.amdhsa_float_denorm_mode_16_64 3
		.amdhsa_dx10_clamp 1
		.amdhsa_ieee_mode 1
		.amdhsa_fp16_overflow 0
		.amdhsa_tg_split 0
		.amdhsa_exception_fp_ieee_invalid_op 0
		.amdhsa_exception_fp_denorm_src 0
		.amdhsa_exception_fp_ieee_div_zero 0
		.amdhsa_exception_fp_ieee_overflow 0
		.amdhsa_exception_fp_ieee_underflow 0
		.amdhsa_exception_fp_ieee_inexact 0
		.amdhsa_exception_int_div_zero 0
	.end_amdhsa_kernel
	.section	.text._ZL26rocblas_dot_kernel_inc1by2ILb1ELi1024ELi32ELb1EfPK16rocblas_bfloat16fEviT4_llS3_lliPT5_PT3_,"axG",@progbits,_ZL26rocblas_dot_kernel_inc1by2ILb1ELi1024ELi32ELb1EfPK16rocblas_bfloat16fEviT4_llS3_lliPT5_PT3_,comdat
.Lfunc_end311:
	.size	_ZL26rocblas_dot_kernel_inc1by2ILb1ELi1024ELi32ELb1EfPK16rocblas_bfloat16fEviT4_llS3_lliPT5_PT3_, .Lfunc_end311-_ZL26rocblas_dot_kernel_inc1by2ILb1ELi1024ELi32ELb1EfPK16rocblas_bfloat16fEviT4_llS3_lliPT5_PT3_
                                        ; -- End function
	.section	.AMDGPU.csdata,"",@progbits
; Kernel info:
; codeLenInByte = 1040
; NumSgprs: 32
; NumVgprs: 12
; NumAgprs: 0
; TotalNumVgprs: 12
; ScratchSize: 0
; MemoryBound: 0
; FloatMode: 240
; IeeeMode: 1
; LDSByteSize: 256 bytes/workgroup (compile time only)
; SGPRBlocks: 3
; VGPRBlocks: 1
; NumSGPRsForWavesPerEU: 32
; NumVGPRsForWavesPerEU: 12
; AccumOffset: 12
; Occupancy: 8
; WaveLimiterHint : 0
; COMPUTE_PGM_RSRC2:SCRATCH_EN: 0
; COMPUTE_PGM_RSRC2:USER_SGPR: 6
; COMPUTE_PGM_RSRC2:TRAP_HANDLER: 0
; COMPUTE_PGM_RSRC2:TGID_X_EN: 1
; COMPUTE_PGM_RSRC2:TGID_Y_EN: 0
; COMPUTE_PGM_RSRC2:TGID_Z_EN: 1
; COMPUTE_PGM_RSRC2:TIDIG_COMP_CNT: 0
; COMPUTE_PGM_RSRC3_GFX90A:ACCUM_OFFSET: 2
; COMPUTE_PGM_RSRC3_GFX90A:TG_SPLIT: 0
	.section	.text._ZL18rocblas_dot_kernelIlLb1ELi1024ELi32ELb1EfPK16rocblas_bfloat16fEviT5_lT_lS3_lS4_liPT6_PT4_,"axG",@progbits,_ZL18rocblas_dot_kernelIlLb1ELi1024ELi32ELb1EfPK16rocblas_bfloat16fEviT5_lT_lS3_lS4_liPT6_PT4_,comdat
	.globl	_ZL18rocblas_dot_kernelIlLb1ELi1024ELi32ELb1EfPK16rocblas_bfloat16fEviT5_lT_lS3_lS4_liPT6_PT4_ ; -- Begin function _ZL18rocblas_dot_kernelIlLb1ELi1024ELi32ELb1EfPK16rocblas_bfloat16fEviT5_lT_lS3_lS4_liPT6_PT4_
	.p2align	8
	.type	_ZL18rocblas_dot_kernelIlLb1ELi1024ELi32ELb1EfPK16rocblas_bfloat16fEviT5_lT_lS3_lS4_liPT6_PT4_,@function
_ZL18rocblas_dot_kernelIlLb1ELi1024ELi32ELb1EfPK16rocblas_bfloat16fEviT5_lT_lS3_lS4_liPT6_PT4_: ; @_ZL18rocblas_dot_kernelIlLb1ELi1024ELi32ELb1EfPK16rocblas_bfloat16fEviT5_lT_lS3_lS4_liPT6_PT4_
; %bb.0:
	s_mov_b32 s2, s7
	s_load_dword s18, s[4:5], 0x0
	s_load_dwordx2 s[6:7], s[4:5], 0x58
	s_mov_b32 s3, 0
	v_mov_b32_e32 v6, 0
	s_waitcnt lgkmcnt(0)
	v_cmp_gt_i32_e32 vcc, s18, v0
	s_and_saveexec_b64 s[16:17], vcc
	s_cbranch_execz .LBB312_4
; %bb.1:
	s_load_dword s19, s[4:5], 0x60
	s_load_dwordx2 s[0:1], s[4:5], 0x40
	s_load_dwordx8 s[8:15], s[4:5], 0x20
	s_load_dwordx2 s[24:25], s[4:5], 0x8
	s_load_dwordx4 s[20:23], s[4:5], 0x10
	s_waitcnt lgkmcnt(0)
	s_lshl_b32 s19, s19, 10
	s_mul_i32 s1, s1, s2
	s_mul_i32 s4, s9, s2
	s_mul_hi_u32 s5, s8, s2
	s_add_i32 s5, s5, s4
	s_mul_i32 s4, s8, s2
	v_mad_u64_u32 v[2:3], s[8:9], s22, v0, 0
	v_mov_b32_e32 v4, v3
	v_mad_u64_u32 v[4:5], s[8:9], s23, v0, v[4:5]
	s_lshl_b64 s[4:5], s[4:5], 1
	s_lshl_b64 s[8:9], s[20:21], 1
	s_add_u32 s8, s24, s8
	s_addc_u32 s9, s25, s9
	v_mov_b32_e32 v3, v4
	s_add_u32 s4, s8, s4
	v_lshlrev_b64 v[2:3], 1, v[2:3]
	s_addc_u32 s5, s9, s5
	v_mov_b32_e32 v4, s5
	v_add_co_u32_e32 v2, vcc, s4, v2
	s_ashr_i32 s20, s19, 31
	s_mul_hi_u32 s8, s0, s2
	v_addc_co_u32_e32 v3, vcc, v4, v3, vcc
	s_mul_i32 s4, s22, s20
	s_mul_hi_u32 s5, s22, s19
	s_add_i32 s1, s8, s1
	v_mad_u64_u32 v[4:5], s[8:9], s14, v0, 0
	s_add_i32 s4, s5, s4
	s_mul_i32 s5, s23, s19
	v_mov_b32_e32 v6, v5
	s_add_i32 s5, s4, s5
	s_mul_i32 s4, s22, s19
	s_mul_i32 s0, s0, s2
	v_mad_u64_u32 v[6:7], s[8:9], s15, v0, v[6:7]
	s_lshl_b64 s[4:5], s[4:5], 1
	s_lshl_b64 s[0:1], s[0:1], 1
	;; [unrolled: 1-line block ×3, first 2 shown]
	s_add_u32 s8, s10, s8
	s_addc_u32 s9, s11, s9
	v_mov_b32_e32 v5, v6
	s_add_u32 s0, s8, s0
	v_lshlrev_b64 v[4:5], 1, v[4:5]
	s_addc_u32 s1, s9, s1
	v_mov_b32_e32 v6, s1
	v_add_co_u32_e32 v4, vcc, s0, v4
	s_mul_i32 s0, s14, s20
	s_mul_hi_u32 s1, s14, s19
	s_add_i32 s0, s1, s0
	s_mul_i32 s1, s15, s19
	s_add_i32 s1, s0, s1
	s_mul_i32 s0, s14, s19
	s_lshl_b64 s[10:11], s[0:1], 1
	v_or_b32_e32 v1, s19, v0
	v_addc_co_u32_e32 v5, vcc, v6, v5, vcc
	s_mov_b64 s[8:9], 0
	v_mov_b32_e32 v6, 0
	v_mov_b32_e32 v7, s5
	;; [unrolled: 1-line block ×3, first 2 shown]
	s_mov_b32 s5, s3
.LBB312_2:                              ; =>This Inner Loop Header: Depth=1
	global_load_ushort v9, v[4:5], off
	global_load_ushort v10, v[2:3], off
	v_add_co_u32_e64 v2, s[0:1], s4, v2
	v_addc_co_u32_e64 v3, s[0:1], v3, v7, s[0:1]
	s_add_i32 s11, s5, 1
	v_add_co_u32_e64 v4, s[0:1], s10, v4
	v_addc_co_u32_e64 v5, s[0:1], v5, v8, s[0:1]
	s_cmp_gt_u32 s5, 30
	v_cmp_le_i32_e32 vcc, s18, v1
	s_cselect_b64 s[0:1], -1, 0
	s_or_b64 s[0:1], s[0:1], vcc
	s_and_b64 s[0:1], exec, s[0:1]
	v_add_u32_e32 v1, s19, v1
	s_mov_b32 s5, s11
	s_or_b64 s[8:9], s[0:1], s[8:9]
	s_waitcnt vmcnt(1)
	v_lshlrev_b32_e32 v9, 16, v9
	s_waitcnt vmcnt(0)
	v_lshlrev_b32_e32 v10, 16, v10
	v_fmac_f32_e32 v6, v10, v9
	s_andn2_b64 exec, exec, s[8:9]
	s_cbranch_execnz .LBB312_2
; %bb.3:
	s_or_b64 exec, exec, s[8:9]
.LBB312_4:
	s_or_b64 exec, exec, s[16:17]
	v_and_b32_e32 v2, 63, v0
	v_cmp_gt_u32_e32 vcc, 64, v0
	v_lshlrev_b32_e32 v1, 2, v2
	s_and_saveexec_b64 s[0:1], vcc
	s_cbranch_execz .LBB312_6
; %bb.5:
	v_mov_b32_e32 v3, 0
	ds_write_b32 v1, v3
.LBB312_6:
	s_or_b64 exec, exec, s[0:1]
	v_mbcnt_lo_u32_b32 v3, -1, 0
	v_mbcnt_hi_u32_b32 v7, -1, v3
	v_and_b32_e32 v8, 63, v7
	v_cmp_gt_u32_e64 s[0:1], 32, v8
	v_cndmask_b32_e64 v3, 0, 1, s[0:1]
	v_lshlrev_b32_e32 v3, 5, v3
	v_add_lshl_u32 v3, v3, v7, 2
	ds_bpermute_b32 v3, v3, v6
	v_cmp_gt_u32_e64 s[0:1], 48, v8
	v_cndmask_b32_e64 v4, 0, 1, s[0:1]
	v_lshlrev_b32_e32 v4, 4, v4
	v_add_lshl_u32 v4, v4, v7, 2
	s_waitcnt lgkmcnt(0)
	v_add_f32_e32 v3, v6, v3
	ds_bpermute_b32 v4, v4, v3
	v_cmp_gt_u32_e64 s[0:1], 56, v8
	v_cndmask_b32_e64 v5, 0, 1, s[0:1]
	v_lshlrev_b32_e32 v5, 3, v5
	v_cmp_gt_u32_e64 s[0:1], 60, v8
	s_waitcnt lgkmcnt(0)
	v_add_f32_e32 v4, v3, v4
	v_add_lshl_u32 v3, v5, v7, 2
	ds_bpermute_b32 v5, v3, v4
	v_cndmask_b32_e64 v6, 0, 1, s[0:1]
	v_lshlrev_b32_e32 v6, 2, v6
	v_cmp_gt_u32_e64 s[0:1], 62, v8
	v_cndmask_b32_e64 v9, 0, 1, s[0:1]
	s_waitcnt lgkmcnt(0)
	v_add_f32_e32 v5, v4, v5
	v_add_lshl_u32 v4, v6, v7, 2
	ds_bpermute_b32 v6, v4, v5
	v_lshlrev_b32_e32 v9, 1, v9
	v_cmp_ne_u32_e64 s[0:1], 63, v8
	v_addc_co_u32_e64 v8, s[0:1], 0, v7, s[0:1]
	s_waitcnt lgkmcnt(0)
	v_add_f32_e32 v6, v5, v6
	v_add_lshl_u32 v5, v9, v7, 2
	ds_bpermute_b32 v9, v5, v6
	v_cmp_eq_u32_e64 s[0:1], 0, v2
	s_waitcnt lgkmcnt(0)
	s_barrier
	v_add_f32_e32 v7, v6, v9
	v_lshlrev_b32_e32 v6, 2, v8
	ds_bpermute_b32 v8, v6, v7
	s_and_saveexec_b64 s[4:5], s[0:1]
	s_cbranch_execz .LBB312_8
; %bb.7:
	s_waitcnt lgkmcnt(0)
	v_add_f32_e32 v2, v7, v8
	v_lshrrev_b32_e32 v7, 4, v0
	v_and_b32_e32 v7, 60, v7
	ds_write_b32 v7, v2
.LBB312_8:
	s_or_b64 exec, exec, s[4:5]
	v_cmp_gt_u32_e64 s[0:1], 16, v0
	v_mov_b32_e32 v2, 0
	s_waitcnt lgkmcnt(0)
	s_barrier
	s_and_saveexec_b64 s[4:5], s[0:1]
	s_cbranch_execnz .LBB312_12
; %bb.9:
	s_or_b64 exec, exec, s[4:5]
	s_and_saveexec_b64 s[0:1], vcc
	s_cbranch_execnz .LBB312_13
.LBB312_10:
	s_or_b64 exec, exec, s[0:1]
	v_cmp_eq_u32_e32 vcc, 0, v0
	s_and_saveexec_b64 s[0:1], vcc
	s_cbranch_execnz .LBB312_14
.LBB312_11:
	s_endpgm
.LBB312_12:
	ds_read_b32 v2, v1
	s_or_b64 exec, exec, s[4:5]
	s_and_saveexec_b64 s[0:1], vcc
	s_cbranch_execz .LBB312_10
.LBB312_13:
	s_waitcnt lgkmcnt(0)
	ds_bpermute_b32 v1, v3, v2
	s_waitcnt lgkmcnt(0)
	v_add_f32_e32 v1, v2, v1
	ds_bpermute_b32 v2, v4, v1
	s_waitcnt lgkmcnt(0)
	v_add_f32_e32 v1, v1, v2
	;; [unrolled: 3-line block ×4, first 2 shown]
	s_or_b64 exec, exec, s[0:1]
	v_cmp_eq_u32_e32 vcc, 0, v0
	s_and_saveexec_b64 s[0:1], vcc
	s_cbranch_execz .LBB312_11
.LBB312_14:
	s_lshl_b64 s[0:1], s[2:3], 2
	s_add_u32 s0, s6, s0
	s_addc_u32 s1, s7, s1
	v_mov_b32_e32 v0, 0
	s_waitcnt lgkmcnt(0)
	global_store_dword v0, v2, s[0:1]
	s_endpgm
	.section	.rodata,"a",@progbits
	.p2align	6, 0x0
	.amdhsa_kernel _ZL18rocblas_dot_kernelIlLb1ELi1024ELi32ELb1EfPK16rocblas_bfloat16fEviT5_lT_lS3_lS4_liPT6_PT4_
		.amdhsa_group_segment_fixed_size 256
		.amdhsa_private_segment_fixed_size 0
		.amdhsa_kernarg_size 352
		.amdhsa_user_sgpr_count 6
		.amdhsa_user_sgpr_private_segment_buffer 1
		.amdhsa_user_sgpr_dispatch_ptr 0
		.amdhsa_user_sgpr_queue_ptr 0
		.amdhsa_user_sgpr_kernarg_segment_ptr 1
		.amdhsa_user_sgpr_dispatch_id 0
		.amdhsa_user_sgpr_flat_scratch_init 0
		.amdhsa_user_sgpr_kernarg_preload_length 0
		.amdhsa_user_sgpr_kernarg_preload_offset 0
		.amdhsa_user_sgpr_private_segment_size 0
		.amdhsa_uses_dynamic_stack 0
		.amdhsa_system_sgpr_private_segment_wavefront_offset 0
		.amdhsa_system_sgpr_workgroup_id_x 1
		.amdhsa_system_sgpr_workgroup_id_y 0
		.amdhsa_system_sgpr_workgroup_id_z 1
		.amdhsa_system_sgpr_workgroup_info 0
		.amdhsa_system_vgpr_workitem_id 0
		.amdhsa_next_free_vgpr 11
		.amdhsa_next_free_sgpr 26
		.amdhsa_accum_offset 12
		.amdhsa_reserve_vcc 1
		.amdhsa_reserve_flat_scratch 0
		.amdhsa_float_round_mode_32 0
		.amdhsa_float_round_mode_16_64 0
		.amdhsa_float_denorm_mode_32 3
		.amdhsa_float_denorm_mode_16_64 3
		.amdhsa_dx10_clamp 1
		.amdhsa_ieee_mode 1
		.amdhsa_fp16_overflow 0
		.amdhsa_tg_split 0
		.amdhsa_exception_fp_ieee_invalid_op 0
		.amdhsa_exception_fp_denorm_src 0
		.amdhsa_exception_fp_ieee_div_zero 0
		.amdhsa_exception_fp_ieee_overflow 0
		.amdhsa_exception_fp_ieee_underflow 0
		.amdhsa_exception_fp_ieee_inexact 0
		.amdhsa_exception_int_div_zero 0
	.end_amdhsa_kernel
	.section	.text._ZL18rocblas_dot_kernelIlLb1ELi1024ELi32ELb1EfPK16rocblas_bfloat16fEviT5_lT_lS3_lS4_liPT6_PT4_,"axG",@progbits,_ZL18rocblas_dot_kernelIlLb1ELi1024ELi32ELb1EfPK16rocblas_bfloat16fEviT5_lT_lS3_lS4_liPT6_PT4_,comdat
.Lfunc_end312:
	.size	_ZL18rocblas_dot_kernelIlLb1ELi1024ELi32ELb1EfPK16rocblas_bfloat16fEviT5_lT_lS3_lS4_liPT6_PT4_, .Lfunc_end312-_ZL18rocblas_dot_kernelIlLb1ELi1024ELi32ELb1EfPK16rocblas_bfloat16fEviT5_lT_lS3_lS4_liPT6_PT4_
                                        ; -- End function
	.section	.AMDGPU.csdata,"",@progbits
; Kernel info:
; codeLenInByte = 1012
; NumSgprs: 30
; NumVgprs: 11
; NumAgprs: 0
; TotalNumVgprs: 11
; ScratchSize: 0
; MemoryBound: 0
; FloatMode: 240
; IeeeMode: 1
; LDSByteSize: 256 bytes/workgroup (compile time only)
; SGPRBlocks: 3
; VGPRBlocks: 1
; NumSGPRsForWavesPerEU: 30
; NumVGPRsForWavesPerEU: 11
; AccumOffset: 12
; Occupancy: 8
; WaveLimiterHint : 0
; COMPUTE_PGM_RSRC2:SCRATCH_EN: 0
; COMPUTE_PGM_RSRC2:USER_SGPR: 6
; COMPUTE_PGM_RSRC2:TRAP_HANDLER: 0
; COMPUTE_PGM_RSRC2:TGID_X_EN: 1
; COMPUTE_PGM_RSRC2:TGID_Y_EN: 0
; COMPUTE_PGM_RSRC2:TGID_Z_EN: 1
; COMPUTE_PGM_RSRC2:TIDIG_COMP_CNT: 0
; COMPUTE_PGM_RSRC3_GFX90A:ACCUM_OFFSET: 2
; COMPUTE_PGM_RSRC3_GFX90A:TG_SPLIT: 0
	.section	.text._ZL24rocblas_dot_kernel_magsqIlLb1ELi1024ELi32ELb1EfPK16rocblas_bfloat16fEviT5_lT_liPT6_PT4_,"axG",@progbits,_ZL24rocblas_dot_kernel_magsqIlLb1ELi1024ELi32ELb1EfPK16rocblas_bfloat16fEviT5_lT_liPT6_PT4_,comdat
	.globl	_ZL24rocblas_dot_kernel_magsqIlLb1ELi1024ELi32ELb1EfPK16rocblas_bfloat16fEviT5_lT_liPT6_PT4_ ; -- Begin function _ZL24rocblas_dot_kernel_magsqIlLb1ELi1024ELi32ELb1EfPK16rocblas_bfloat16fEviT5_lT_liPT6_PT4_
	.p2align	8
	.type	_ZL24rocblas_dot_kernel_magsqIlLb1ELi1024ELi32ELb1EfPK16rocblas_bfloat16fEviT5_lT_liPT6_PT4_,@function
_ZL24rocblas_dot_kernel_magsqIlLb1ELi1024ELi32ELb1EfPK16rocblas_bfloat16fEviT5_lT_liPT6_PT4_: ; @_ZL24rocblas_dot_kernel_magsqIlLb1ELi1024ELi32ELb1EfPK16rocblas_bfloat16fEviT5_lT_liPT6_PT4_
; %bb.0:
	s_mov_b32 s2, s7
	s_load_dword s12, s[4:5], 0x0
	s_load_dwordx2 s[6:7], s[4:5], 0x38
	s_mov_b32 s3, 0
	v_mov_b32_e32 v1, 0
	s_waitcnt lgkmcnt(0)
	v_cmp_gt_i32_e32 vcc, s12, v0
	s_and_saveexec_b64 s[8:9], vcc
	s_cbranch_execz .LBB313_4
; %bb.1:
	s_load_dword s13, s[4:5], 0x40
	s_load_dwordx2 s[0:1], s[4:5], 0x20
	s_load_dwordx2 s[10:11], s[4:5], 0x8
	s_load_dwordx4 s[16:19], s[4:5], 0x10
	s_waitcnt lgkmcnt(0)
	s_lshl_b32 s13, s13, 10
	s_mul_i32 s1, s1, s2
	s_mul_hi_u32 s4, s0, s2
	s_add_i32 s1, s4, s1
	v_mad_u64_u32 v[2:3], s[4:5], s18, v0, 0
	v_mov_b32_e32 v6, v3
	s_mul_i32 s0, s0, s2
	v_mad_u64_u32 v[6:7], s[4:5], s19, v0, v[6:7]
	s_lshl_b64 s[0:1], s[0:1], 1
	s_lshl_b64 s[4:5], s[16:17], 1
	s_add_u32 s4, s10, s4
	v_mov_b32_e32 v3, v6
	s_addc_u32 s5, s11, s5
	v_lshlrev_b64 v[2:3], 1, v[2:3]
	s_add_u32 s0, s4, s0
	s_addc_u32 s1, s5, s1
	v_add_co_u32_e32 v2, vcc, s0, v2
	s_ashr_i32 s0, s13, 31
	v_mov_b32_e32 v1, s1
	s_mul_i32 s0, s18, s0
	s_mul_hi_u32 s1, s18, s13
	s_add_i32 s0, s1, s0
	s_mul_i32 s1, s19, s13
	s_add_i32 s1, s0, s1
	s_mul_i32 s0, s18, s13
	s_lshl_b64 s[10:11], s[0:1], 1
	v_or_b32_e32 v4, s13, v0
	v_addc_co_u32_e32 v3, vcc, v1, v3, vcc
	s_mov_b64 s[4:5], 0
	v_mov_b32_e32 v1, 0
	v_mov_b32_e32 v5, s11
	s_mov_b32 s11, s3
.LBB313_2:                              ; =>This Inner Loop Header: Depth=1
	global_load_ushort v6, v[2:3], off
	s_add_i32 s14, s11, 1
	v_add_co_u32_e64 v2, s[0:1], s10, v2
	v_addc_co_u32_e64 v3, s[0:1], v3, v5, s[0:1]
	s_cmp_gt_u32 s11, 30
	v_cmp_le_i32_e32 vcc, s12, v4
	s_cselect_b64 s[0:1], -1, 0
	s_or_b64 s[0:1], s[0:1], vcc
	s_and_b64 s[0:1], exec, s[0:1]
	v_add_u32_e32 v4, s13, v4
	s_mov_b32 s11, s14
	s_or_b64 s[4:5], s[0:1], s[4:5]
	s_waitcnt vmcnt(0)
	v_lshlrev_b32_e32 v6, 16, v6
	v_fmac_f32_e32 v1, v6, v6
	s_andn2_b64 exec, exec, s[4:5]
	s_cbranch_execnz .LBB313_2
; %bb.3:
	s_or_b64 exec, exec, s[4:5]
.LBB313_4:
	s_or_b64 exec, exec, s[8:9]
	v_and_b32_e32 v3, 63, v0
	v_cmp_gt_u32_e32 vcc, 64, v0
	v_lshlrev_b32_e32 v2, 2, v3
	s_and_saveexec_b64 s[0:1], vcc
	s_cbranch_execz .LBB313_6
; %bb.5:
	v_mov_b32_e32 v4, 0
	ds_write_b32 v2, v4
.LBB313_6:
	s_or_b64 exec, exec, s[0:1]
	v_mbcnt_lo_u32_b32 v4, -1, 0
	v_mbcnt_hi_u32_b32 v6, -1, v4
	v_and_b32_e32 v7, 63, v6
	v_cmp_gt_u32_e64 s[0:1], 32, v7
	v_cndmask_b32_e64 v4, 0, 1, s[0:1]
	v_lshlrev_b32_e32 v4, 5, v4
	v_add_lshl_u32 v4, v4, v6, 2
	ds_bpermute_b32 v4, v4, v1
	v_cmp_gt_u32_e64 s[0:1], 48, v7
	v_cndmask_b32_e64 v5, 0, 1, s[0:1]
	v_lshlrev_b32_e32 v5, 4, v5
	v_cmp_gt_u32_e64 s[0:1], 56, v7
	s_waitcnt lgkmcnt(0)
	v_add_f32_e32 v1, v1, v4
	v_add_lshl_u32 v4, v5, v6, 2
	ds_bpermute_b32 v4, v4, v1
	v_cndmask_b32_e64 v5, 0, 1, s[0:1]
	v_lshlrev_b32_e32 v5, 3, v5
	v_cmp_gt_u32_e64 s[0:1], 60, v7
	v_cndmask_b32_e64 v8, 0, 1, s[0:1]
	s_waitcnt lgkmcnt(0)
	v_add_f32_e32 v4, v1, v4
	v_add_lshl_u32 v1, v5, v6, 2
	ds_bpermute_b32 v5, v1, v4
	v_lshlrev_b32_e32 v8, 2, v8
	v_cmp_gt_u32_e64 s[0:1], 62, v7
	v_cndmask_b32_e64 v9, 0, 1, s[0:1]
	v_lshlrev_b32_e32 v9, 1, v9
	s_waitcnt lgkmcnt(0)
	v_add_f32_e32 v5, v4, v5
	v_add_lshl_u32 v4, v8, v6, 2
	ds_bpermute_b32 v8, v4, v5
	v_cmp_ne_u32_e64 s[0:1], 63, v7
	s_waitcnt lgkmcnt(0)
	s_barrier
	v_add_f32_e32 v8, v5, v8
	v_add_lshl_u32 v5, v9, v6, 2
	ds_bpermute_b32 v9, v5, v8
	v_addc_co_u32_e64 v6, s[0:1], 0, v6, s[0:1]
	v_lshlrev_b32_e32 v6, 2, v6
	v_cmp_eq_u32_e64 s[0:1], 0, v3
	s_waitcnt lgkmcnt(0)
	v_add_f32_e32 v7, v8, v9
	ds_bpermute_b32 v8, v6, v7
	s_and_saveexec_b64 s[4:5], s[0:1]
	s_cbranch_execz .LBB313_8
; %bb.7:
	s_waitcnt lgkmcnt(0)
	v_add_f32_e32 v3, v7, v8
	v_lshrrev_b32_e32 v7, 4, v0
	v_and_b32_e32 v7, 60, v7
	ds_write_b32 v7, v3
.LBB313_8:
	s_or_b64 exec, exec, s[4:5]
	v_cmp_gt_u32_e64 s[0:1], 16, v0
	v_mov_b32_e32 v3, 0
	s_waitcnt lgkmcnt(0)
	s_barrier
	s_and_saveexec_b64 s[4:5], s[0:1]
	s_cbranch_execnz .LBB313_12
; %bb.9:
	s_or_b64 exec, exec, s[4:5]
	s_and_saveexec_b64 s[0:1], vcc
	s_cbranch_execnz .LBB313_13
.LBB313_10:
	s_or_b64 exec, exec, s[0:1]
	v_cmp_eq_u32_e32 vcc, 0, v0
	s_and_saveexec_b64 s[0:1], vcc
	s_cbranch_execnz .LBB313_14
.LBB313_11:
	s_endpgm
.LBB313_12:
	ds_read_b32 v3, v2
	s_or_b64 exec, exec, s[4:5]
	s_and_saveexec_b64 s[0:1], vcc
	s_cbranch_execz .LBB313_10
.LBB313_13:
	s_waitcnt lgkmcnt(0)
	ds_bpermute_b32 v1, v1, v3
	s_waitcnt lgkmcnt(0)
	v_add_f32_e32 v1, v3, v1
	ds_bpermute_b32 v2, v4, v1
	s_waitcnt lgkmcnt(0)
	v_add_f32_e32 v1, v1, v2
	;; [unrolled: 3-line block ×4, first 2 shown]
	s_or_b64 exec, exec, s[0:1]
	v_cmp_eq_u32_e32 vcc, 0, v0
	s_and_saveexec_b64 s[0:1], vcc
	s_cbranch_execz .LBB313_11
.LBB313_14:
	s_lshl_b64 s[0:1], s[2:3], 2
	s_add_u32 s0, s6, s0
	s_addc_u32 s1, s7, s1
	v_mov_b32_e32 v0, 0
	s_waitcnt lgkmcnt(0)
	global_store_dword v0, v3, s[0:1]
	s_endpgm
	.section	.rodata,"a",@progbits
	.p2align	6, 0x0
	.amdhsa_kernel _ZL24rocblas_dot_kernel_magsqIlLb1ELi1024ELi32ELb1EfPK16rocblas_bfloat16fEviT5_lT_liPT6_PT4_
		.amdhsa_group_segment_fixed_size 256
		.amdhsa_private_segment_fixed_size 0
		.amdhsa_kernarg_size 320
		.amdhsa_user_sgpr_count 6
		.amdhsa_user_sgpr_private_segment_buffer 1
		.amdhsa_user_sgpr_dispatch_ptr 0
		.amdhsa_user_sgpr_queue_ptr 0
		.amdhsa_user_sgpr_kernarg_segment_ptr 1
		.amdhsa_user_sgpr_dispatch_id 0
		.amdhsa_user_sgpr_flat_scratch_init 0
		.amdhsa_user_sgpr_kernarg_preload_length 0
		.amdhsa_user_sgpr_kernarg_preload_offset 0
		.amdhsa_user_sgpr_private_segment_size 0
		.amdhsa_uses_dynamic_stack 0
		.amdhsa_system_sgpr_private_segment_wavefront_offset 0
		.amdhsa_system_sgpr_workgroup_id_x 1
		.amdhsa_system_sgpr_workgroup_id_y 0
		.amdhsa_system_sgpr_workgroup_id_z 1
		.amdhsa_system_sgpr_workgroup_info 0
		.amdhsa_system_vgpr_workitem_id 0
		.amdhsa_next_free_vgpr 10
		.amdhsa_next_free_sgpr 20
		.amdhsa_accum_offset 12
		.amdhsa_reserve_vcc 1
		.amdhsa_reserve_flat_scratch 0
		.amdhsa_float_round_mode_32 0
		.amdhsa_float_round_mode_16_64 0
		.amdhsa_float_denorm_mode_32 3
		.amdhsa_float_denorm_mode_16_64 3
		.amdhsa_dx10_clamp 1
		.amdhsa_ieee_mode 1
		.amdhsa_fp16_overflow 0
		.amdhsa_tg_split 0
		.amdhsa_exception_fp_ieee_invalid_op 0
		.amdhsa_exception_fp_denorm_src 0
		.amdhsa_exception_fp_ieee_div_zero 0
		.amdhsa_exception_fp_ieee_overflow 0
		.amdhsa_exception_fp_ieee_underflow 0
		.amdhsa_exception_fp_ieee_inexact 0
		.amdhsa_exception_int_div_zero 0
	.end_amdhsa_kernel
	.section	.text._ZL24rocblas_dot_kernel_magsqIlLb1ELi1024ELi32ELb1EfPK16rocblas_bfloat16fEviT5_lT_liPT6_PT4_,"axG",@progbits,_ZL24rocblas_dot_kernel_magsqIlLb1ELi1024ELi32ELb1EfPK16rocblas_bfloat16fEviT5_lT_liPT6_PT4_,comdat
.Lfunc_end313:
	.size	_ZL24rocblas_dot_kernel_magsqIlLb1ELi1024ELi32ELb1EfPK16rocblas_bfloat16fEviT5_lT_liPT6_PT4_, .Lfunc_end313-_ZL24rocblas_dot_kernel_magsqIlLb1ELi1024ELi32ELb1EfPK16rocblas_bfloat16fEviT5_lT_liPT6_PT4_
                                        ; -- End function
	.section	.AMDGPU.csdata,"",@progbits
; Kernel info:
; codeLenInByte = 856
; NumSgprs: 24
; NumVgprs: 10
; NumAgprs: 0
; TotalNumVgprs: 10
; ScratchSize: 0
; MemoryBound: 0
; FloatMode: 240
; IeeeMode: 1
; LDSByteSize: 256 bytes/workgroup (compile time only)
; SGPRBlocks: 2
; VGPRBlocks: 1
; NumSGPRsForWavesPerEU: 24
; NumVGPRsForWavesPerEU: 10
; AccumOffset: 12
; Occupancy: 8
; WaveLimiterHint : 0
; COMPUTE_PGM_RSRC2:SCRATCH_EN: 0
; COMPUTE_PGM_RSRC2:USER_SGPR: 6
; COMPUTE_PGM_RSRC2:TRAP_HANDLER: 0
; COMPUTE_PGM_RSRC2:TGID_X_EN: 1
; COMPUTE_PGM_RSRC2:TGID_Y_EN: 0
; COMPUTE_PGM_RSRC2:TGID_Z_EN: 1
; COMPUTE_PGM_RSRC2:TIDIG_COMP_CNT: 0
; COMPUTE_PGM_RSRC3_GFX90A:ACCUM_OFFSET: 2
; COMPUTE_PGM_RSRC3_GFX90A:TG_SPLIT: 0
	.section	.text._ZL38rocblas_dot_kernel_gfx942_float_doubleIlLi1024EfPK16rocblas_bfloat16fEviT2_lT_lS3_lS4_lPT3_PT1_,"axG",@progbits,_ZL38rocblas_dot_kernel_gfx942_float_doubleIlLi1024EfPK16rocblas_bfloat16fEviT2_lT_lS3_lS4_lPT3_PT1_,comdat
	.globl	_ZL38rocblas_dot_kernel_gfx942_float_doubleIlLi1024EfPK16rocblas_bfloat16fEviT2_lT_lS3_lS4_lPT3_PT1_ ; -- Begin function _ZL38rocblas_dot_kernel_gfx942_float_doubleIlLi1024EfPK16rocblas_bfloat16fEviT2_lT_lS3_lS4_lPT3_PT1_
	.p2align	8
	.type	_ZL38rocblas_dot_kernel_gfx942_float_doubleIlLi1024EfPK16rocblas_bfloat16fEviT2_lT_lS3_lS4_lPT3_PT1_,@function
_ZL38rocblas_dot_kernel_gfx942_float_doubleIlLi1024EfPK16rocblas_bfloat16fEviT2_lT_lS3_lS4_lPT3_PT1_: ; @_ZL38rocblas_dot_kernel_gfx942_float_doubleIlLi1024EfPK16rocblas_bfloat16fEviT2_lT_lS3_lS4_lPT3_PT1_
; %bb.0:
	s_endpgm
	.section	.rodata,"a",@progbits
	.p2align	6, 0x0
	.amdhsa_kernel _ZL38rocblas_dot_kernel_gfx942_float_doubleIlLi1024EfPK16rocblas_bfloat16fEviT2_lT_lS3_lS4_lPT3_PT1_
		.amdhsa_group_segment_fixed_size 0
		.amdhsa_private_segment_fixed_size 0
		.amdhsa_kernarg_size 88
		.amdhsa_user_sgpr_count 6
		.amdhsa_user_sgpr_private_segment_buffer 1
		.amdhsa_user_sgpr_dispatch_ptr 0
		.amdhsa_user_sgpr_queue_ptr 0
		.amdhsa_user_sgpr_kernarg_segment_ptr 1
		.amdhsa_user_sgpr_dispatch_id 0
		.amdhsa_user_sgpr_flat_scratch_init 0
		.amdhsa_user_sgpr_kernarg_preload_length 0
		.amdhsa_user_sgpr_kernarg_preload_offset 0
		.amdhsa_user_sgpr_private_segment_size 0
		.amdhsa_uses_dynamic_stack 0
		.amdhsa_system_sgpr_private_segment_wavefront_offset 0
		.amdhsa_system_sgpr_workgroup_id_x 1
		.amdhsa_system_sgpr_workgroup_id_y 0
		.amdhsa_system_sgpr_workgroup_id_z 0
		.amdhsa_system_sgpr_workgroup_info 0
		.amdhsa_system_vgpr_workitem_id 0
		.amdhsa_next_free_vgpr 1
		.amdhsa_next_free_sgpr 0
		.amdhsa_accum_offset 4
		.amdhsa_reserve_vcc 0
		.amdhsa_reserve_flat_scratch 0
		.amdhsa_float_round_mode_32 0
		.amdhsa_float_round_mode_16_64 0
		.amdhsa_float_denorm_mode_32 3
		.amdhsa_float_denorm_mode_16_64 3
		.amdhsa_dx10_clamp 1
		.amdhsa_ieee_mode 1
		.amdhsa_fp16_overflow 0
		.amdhsa_tg_split 0
		.amdhsa_exception_fp_ieee_invalid_op 0
		.amdhsa_exception_fp_denorm_src 0
		.amdhsa_exception_fp_ieee_div_zero 0
		.amdhsa_exception_fp_ieee_overflow 0
		.amdhsa_exception_fp_ieee_underflow 0
		.amdhsa_exception_fp_ieee_inexact 0
		.amdhsa_exception_int_div_zero 0
	.end_amdhsa_kernel
	.section	.text._ZL38rocblas_dot_kernel_gfx942_float_doubleIlLi1024EfPK16rocblas_bfloat16fEviT2_lT_lS3_lS4_lPT3_PT1_,"axG",@progbits,_ZL38rocblas_dot_kernel_gfx942_float_doubleIlLi1024EfPK16rocblas_bfloat16fEviT2_lT_lS3_lS4_lPT3_PT1_,comdat
.Lfunc_end314:
	.size	_ZL38rocblas_dot_kernel_gfx942_float_doubleIlLi1024EfPK16rocblas_bfloat16fEviT2_lT_lS3_lS4_lPT3_PT1_, .Lfunc_end314-_ZL38rocblas_dot_kernel_gfx942_float_doubleIlLi1024EfPK16rocblas_bfloat16fEviT2_lT_lS3_lS4_lPT3_PT1_
                                        ; -- End function
	.section	.AMDGPU.csdata,"",@progbits
; Kernel info:
; codeLenInByte = 4
; NumSgprs: 4
; NumVgprs: 0
; NumAgprs: 0
; TotalNumVgprs: 0
; ScratchSize: 0
; MemoryBound: 0
; FloatMode: 240
; IeeeMode: 1
; LDSByteSize: 0 bytes/workgroup (compile time only)
; SGPRBlocks: 0
; VGPRBlocks: 0
; NumSGPRsForWavesPerEU: 4
; NumVGPRsForWavesPerEU: 1
; AccumOffset: 4
; Occupancy: 8
; WaveLimiterHint : 0
; COMPUTE_PGM_RSRC2:SCRATCH_EN: 0
; COMPUTE_PGM_RSRC2:USER_SGPR: 6
; COMPUTE_PGM_RSRC2:TRAP_HANDLER: 0
; COMPUTE_PGM_RSRC2:TGID_X_EN: 1
; COMPUTE_PGM_RSRC2:TGID_Y_EN: 0
; COMPUTE_PGM_RSRC2:TGID_Z_EN: 0
; COMPUTE_PGM_RSRC2:TIDIG_COMP_CNT: 0
; COMPUTE_PGM_RSRC3_GFX90A:ACCUM_OFFSET: 0
; COMPUTE_PGM_RSRC3_GFX90A:TG_SPLIT: 0
	.section	.text._ZL23rocblas_dot_kernel_inc1ILb0ELi512ELi4ELb1EfPK16rocblas_bfloat16fEviT4_llS3_lliPT5_PT3_,"axG",@progbits,_ZL23rocblas_dot_kernel_inc1ILb0ELi512ELi4ELb1EfPK16rocblas_bfloat16fEviT4_llS3_lliPT5_PT3_,comdat
	.globl	_ZL23rocblas_dot_kernel_inc1ILb0ELi512ELi4ELb1EfPK16rocblas_bfloat16fEviT4_llS3_lliPT5_PT3_ ; -- Begin function _ZL23rocblas_dot_kernel_inc1ILb0ELi512ELi4ELb1EfPK16rocblas_bfloat16fEviT4_llS3_lliPT5_PT3_
	.p2align	8
	.type	_ZL23rocblas_dot_kernel_inc1ILb0ELi512ELi4ELb1EfPK16rocblas_bfloat16fEviT4_llS3_lliPT5_PT3_,@function
_ZL23rocblas_dot_kernel_inc1ILb0ELi512ELi4ELb1EfPK16rocblas_bfloat16fEviT4_llS3_lliPT5_PT3_: ; @_ZL23rocblas_dot_kernel_inc1ILb0ELi512ELi4ELb1EfPK16rocblas_bfloat16fEviT4_llS3_lliPT5_PT3_
; %bb.0:
	s_mov_b32 s2, s7
	s_load_dword s18, s[4:5], 0x50
	s_load_dword s7, s[4:5], 0x0
	s_load_dwordx4 s[8:11], s[4:5], 0x40
	v_lshl_or_b32 v2, s6, 9, v0
	s_mov_b32 s3, 0
	v_mov_b32_e32 v1, 0
	s_waitcnt lgkmcnt(0)
	v_cmp_gt_i32_e32 vcc, s7, v2
	s_and_saveexec_b64 s[12:13], vcc
	s_cbranch_execz .LBB315_4
; %bb.1:
	s_load_dwordx4 s[20:23], s[4:5], 0x10
	s_load_dwordx2 s[0:1], s[4:5], 0x8
	s_load_dwordx2 s[14:15], s[4:5], 0x20
	s_load_dwordx4 s[24:27], s[4:5], 0x28
	v_ashrrev_i32_e32 v3, 31, v2
	s_waitcnt lgkmcnt(0)
	s_mul_i32 s4, s2, s23
	s_mul_hi_u32 s5, s2, s22
	s_add_i32 s5, s5, s4
	s_mul_i32 s4, s2, s22
	s_lshl_b64 s[4:5], s[4:5], 1
	s_add_u32 s4, s0, s4
	s_addc_u32 s5, s1, s5
	s_lshl_b64 s[0:1], s[20:21], 1
	s_add_u32 s19, s4, s0
	s_addc_u32 s21, s5, s1
	s_mul_i32 s0, s2, s27
	s_mul_hi_u32 s1, s2, s26
	s_add_i32 s1, s1, s0
	s_mul_i32 s0, s2, s26
	s_lshl_b64 s[0:1], s[0:1], 1
	s_add_u32 s4, s14, s0
	s_addc_u32 s5, s15, s1
	s_lshl_b64 s[0:1], s[24:25], 1
	s_add_u32 s20, s4, s0
	s_addc_u32 s0, s5, s1
	s_lshl_b32 s4, s18, 9
	s_ashr_i32 s5, s4, 31
	s_lshl_b64 s[16:17], s[4:5], 1
	v_add_u32_e32 v4, s4, v2
	v_lshlrev_b64 v[2:3], 1, v[2:3]
	s_mov_b64 s[14:15], 0
	v_mov_b32_e32 v1, 0
	v_mov_b32_e32 v5, s0
	;; [unrolled: 1-line block ×4, first 2 shown]
	s_mov_b32 s5, s3
.LBB315_2:                              ; =>This Inner Loop Header: Depth=1
	v_add_co_u32_e32 v8, vcc, s20, v2
	v_addc_co_u32_e32 v9, vcc, v5, v3, vcc
	v_add_co_u32_e32 v10, vcc, s19, v2
	v_addc_co_u32_e32 v11, vcc, v6, v3, vcc
	global_load_ushort v12, v[8:9], off
	global_load_ushort v13, v[10:11], off
	s_add_i32 s17, s5, 1
	v_add_co_u32_e64 v2, s[0:1], s16, v2
	v_addc_co_u32_e64 v3, s[0:1], v3, v7, s[0:1]
	s_cmp_gt_u32 s5, 2
	v_cmp_le_i32_e32 vcc, s7, v4
	s_cselect_b64 s[0:1], -1, 0
	s_or_b64 s[0:1], s[0:1], vcc
	s_and_b64 s[0:1], exec, s[0:1]
	v_add_u32_e32 v4, s4, v4
	s_mov_b32 s5, s17
	s_or_b64 s[14:15], s[0:1], s[14:15]
	s_waitcnt vmcnt(1)
	v_lshlrev_b32_e32 v8, 16, v12
	s_waitcnt vmcnt(0)
	v_lshlrev_b32_e32 v9, 16, v13
	v_fmac_f32_e32 v1, v9, v8
	s_andn2_b64 exec, exec, s[14:15]
	s_cbranch_execnz .LBB315_2
; %bb.3:
	s_or_b64 exec, exec, s[14:15]
.LBB315_4:
	s_or_b64 exec, exec, s[12:13]
	v_and_b32_e32 v3, 63, v0
	v_cmp_gt_u32_e32 vcc, 64, v0
	v_lshlrev_b32_e32 v2, 2, v3
	s_and_saveexec_b64 s[0:1], vcc
	s_cbranch_execz .LBB315_6
; %bb.5:
	v_mov_b32_e32 v4, 0
	ds_write_b32 v2, v4
.LBB315_6:
	s_or_b64 exec, exec, s[0:1]
	v_mbcnt_lo_u32_b32 v4, -1, 0
	v_mbcnt_hi_u32_b32 v6, -1, v4
	v_and_b32_e32 v7, 63, v6
	v_cmp_gt_u32_e64 s[0:1], 32, v7
	v_cndmask_b32_e64 v4, 0, 1, s[0:1]
	v_lshlrev_b32_e32 v4, 5, v4
	v_add_lshl_u32 v4, v4, v6, 2
	ds_bpermute_b32 v4, v4, v1
	v_cmp_gt_u32_e64 s[0:1], 48, v7
	v_cndmask_b32_e64 v5, 0, 1, s[0:1]
	v_lshlrev_b32_e32 v5, 4, v5
	v_cmp_gt_u32_e64 s[0:1], 56, v7
	s_waitcnt lgkmcnt(0)
	v_add_f32_e32 v1, v1, v4
	v_add_lshl_u32 v4, v5, v6, 2
	ds_bpermute_b32 v4, v4, v1
	v_cndmask_b32_e64 v5, 0, 1, s[0:1]
	v_lshlrev_b32_e32 v5, 3, v5
	v_cmp_gt_u32_e64 s[0:1], 60, v7
	s_waitcnt lgkmcnt(0)
	v_add_f32_e32 v1, v1, v4
	v_add_lshl_u32 v4, v5, v6, 2
	ds_bpermute_b32 v4, v4, v1
	v_cndmask_b32_e64 v5, 0, 1, s[0:1]
	v_lshlrev_b32_e32 v5, 2, v5
	v_cmp_gt_u32_e64 s[0:1], 62, v7
	v_cndmask_b32_e64 v8, 0, 1, s[0:1]
	s_waitcnt lgkmcnt(0)
	v_add_f32_e32 v1, v1, v4
	v_add_lshl_u32 v4, v5, v6, 2
	ds_bpermute_b32 v5, v4, v1
	v_lshlrev_b32_e32 v8, 1, v8
	v_cmp_ne_u32_e64 s[0:1], 63, v7
	s_barrier
	s_waitcnt lgkmcnt(0)
	v_add_f32_e32 v1, v1, v5
	v_add_lshl_u32 v5, v8, v6, 2
	ds_bpermute_b32 v8, v5, v1
	v_addc_co_u32_e64 v6, s[0:1], 0, v6, s[0:1]
	v_lshlrev_b32_e32 v6, 2, v6
	v_cmp_eq_u32_e64 s[0:1], 0, v3
	s_waitcnt lgkmcnt(0)
	v_add_f32_e32 v1, v1, v8
	ds_bpermute_b32 v7, v6, v1
	s_and_saveexec_b64 s[4:5], s[0:1]
	s_cbranch_execz .LBB315_8
; %bb.7:
	v_lshrrev_b32_e32 v3, 4, v0
	s_waitcnt lgkmcnt(0)
	v_add_f32_e32 v1, v1, v7
	v_and_b32_e32 v3, 28, v3
	ds_write_b32 v3, v1
.LBB315_8:
	s_or_b64 exec, exec, s[4:5]
	v_cmp_gt_u32_e64 s[0:1], 8, v0
	v_mov_b32_e32 v1, 0
	s_waitcnt lgkmcnt(0)
	s_barrier
	s_and_saveexec_b64 s[4:5], s[0:1]
	s_cbranch_execnz .LBB315_12
; %bb.9:
	s_or_b64 exec, exec, s[4:5]
	s_and_saveexec_b64 s[0:1], vcc
	s_cbranch_execnz .LBB315_13
.LBB315_10:
	s_or_b64 exec, exec, s[0:1]
	v_cmp_eq_u32_e32 vcc, 0, v0
	s_and_saveexec_b64 s[0:1], vcc
	s_cbranch_execnz .LBB315_14
.LBB315_11:
	s_endpgm
.LBB315_12:
	ds_read_b32 v1, v2
	s_or_b64 exec, exec, s[4:5]
	s_and_saveexec_b64 s[0:1], vcc
	s_cbranch_execz .LBB315_10
.LBB315_13:
	s_waitcnt lgkmcnt(0)
	ds_bpermute_b32 v2, v4, v1
	s_waitcnt lgkmcnt(0)
	v_add_f32_e32 v1, v1, v2
	ds_bpermute_b32 v2, v5, v1
	s_waitcnt lgkmcnt(0)
	v_add_f32_e32 v1, v1, v2
	;; [unrolled: 3-line block ×3, first 2 shown]
	s_or_b64 exec, exec, s[0:1]
	v_cmp_eq_u32_e32 vcc, 0, v0
	s_and_saveexec_b64 s[0:1], vcc
	s_cbranch_execz .LBB315_11
.LBB315_14:
	s_cmp_lg_u32 s18, 1
	s_cbranch_scc0 .LBB315_16
; %bb.15:
	s_mul_hi_u32 s1, s18, s2
	s_mul_i32 s0, s18, s2
	s_lshl_b64 s[0:1], s[0:1], 2
	s_mov_b32 s7, 0
	s_add_u32 s4, s8, s0
	s_addc_u32 s5, s9, s1
	s_lshl_b64 s[0:1], s[6:7], 2
	s_add_u32 s0, s4, s0
	s_addc_u32 s1, s5, s1
	s_cbranch_execz .LBB315_17
	s_branch .LBB315_18
.LBB315_16:
                                        ; implicit-def: $sgpr0_sgpr1
.LBB315_17:
	s_lshl_b64 s[0:1], s[2:3], 2
	s_add_u32 s0, s10, s0
	s_addc_u32 s1, s11, s1
.LBB315_18:
	v_mov_b32_e32 v0, 0
	s_waitcnt lgkmcnt(0)
	global_store_dword v0, v1, s[0:1]
	s_endpgm
	.section	.rodata,"a",@progbits
	.p2align	6, 0x0
	.amdhsa_kernel _ZL23rocblas_dot_kernel_inc1ILb0ELi512ELi4ELb1EfPK16rocblas_bfloat16fEviT4_llS3_lliPT5_PT3_
		.amdhsa_group_segment_fixed_size 256
		.amdhsa_private_segment_fixed_size 0
		.amdhsa_kernarg_size 336
		.amdhsa_user_sgpr_count 6
		.amdhsa_user_sgpr_private_segment_buffer 1
		.amdhsa_user_sgpr_dispatch_ptr 0
		.amdhsa_user_sgpr_queue_ptr 0
		.amdhsa_user_sgpr_kernarg_segment_ptr 1
		.amdhsa_user_sgpr_dispatch_id 0
		.amdhsa_user_sgpr_flat_scratch_init 0
		.amdhsa_user_sgpr_kernarg_preload_length 0
		.amdhsa_user_sgpr_kernarg_preload_offset 0
		.amdhsa_user_sgpr_private_segment_size 0
		.amdhsa_uses_dynamic_stack 0
		.amdhsa_system_sgpr_private_segment_wavefront_offset 0
		.amdhsa_system_sgpr_workgroup_id_x 1
		.amdhsa_system_sgpr_workgroup_id_y 0
		.amdhsa_system_sgpr_workgroup_id_z 1
		.amdhsa_system_sgpr_workgroup_info 0
		.amdhsa_system_vgpr_workitem_id 0
		.amdhsa_next_free_vgpr 14
		.amdhsa_next_free_sgpr 28
		.amdhsa_accum_offset 16
		.amdhsa_reserve_vcc 1
		.amdhsa_reserve_flat_scratch 0
		.amdhsa_float_round_mode_32 0
		.amdhsa_float_round_mode_16_64 0
		.amdhsa_float_denorm_mode_32 3
		.amdhsa_float_denorm_mode_16_64 3
		.amdhsa_dx10_clamp 1
		.amdhsa_ieee_mode 1
		.amdhsa_fp16_overflow 0
		.amdhsa_tg_split 0
		.amdhsa_exception_fp_ieee_invalid_op 0
		.amdhsa_exception_fp_denorm_src 0
		.amdhsa_exception_fp_ieee_div_zero 0
		.amdhsa_exception_fp_ieee_overflow 0
		.amdhsa_exception_fp_ieee_underflow 0
		.amdhsa_exception_fp_ieee_inexact 0
		.amdhsa_exception_int_div_zero 0
	.end_amdhsa_kernel
	.section	.text._ZL23rocblas_dot_kernel_inc1ILb0ELi512ELi4ELb1EfPK16rocblas_bfloat16fEviT4_llS3_lliPT5_PT3_,"axG",@progbits,_ZL23rocblas_dot_kernel_inc1ILb0ELi512ELi4ELb1EfPK16rocblas_bfloat16fEviT4_llS3_lliPT5_PT3_,comdat
.Lfunc_end315:
	.size	_ZL23rocblas_dot_kernel_inc1ILb0ELi512ELi4ELb1EfPK16rocblas_bfloat16fEviT4_llS3_lliPT5_PT3_, .Lfunc_end315-_ZL23rocblas_dot_kernel_inc1ILb0ELi512ELi4ELb1EfPK16rocblas_bfloat16fEviT4_llS3_lliPT5_PT3_
                                        ; -- End function
	.section	.AMDGPU.csdata,"",@progbits
; Kernel info:
; codeLenInByte = 932
; NumSgprs: 32
; NumVgprs: 14
; NumAgprs: 0
; TotalNumVgprs: 14
; ScratchSize: 0
; MemoryBound: 0
; FloatMode: 240
; IeeeMode: 1
; LDSByteSize: 256 bytes/workgroup (compile time only)
; SGPRBlocks: 3
; VGPRBlocks: 1
; NumSGPRsForWavesPerEU: 32
; NumVGPRsForWavesPerEU: 14
; AccumOffset: 16
; Occupancy: 8
; WaveLimiterHint : 0
; COMPUTE_PGM_RSRC2:SCRATCH_EN: 0
; COMPUTE_PGM_RSRC2:USER_SGPR: 6
; COMPUTE_PGM_RSRC2:TRAP_HANDLER: 0
; COMPUTE_PGM_RSRC2:TGID_X_EN: 1
; COMPUTE_PGM_RSRC2:TGID_Y_EN: 0
; COMPUTE_PGM_RSRC2:TGID_Z_EN: 1
; COMPUTE_PGM_RSRC2:TIDIG_COMP_CNT: 0
; COMPUTE_PGM_RSRC3_GFX90A:ACCUM_OFFSET: 3
; COMPUTE_PGM_RSRC3_GFX90A:TG_SPLIT: 0
	.section	.text._ZL18rocblas_dot_kernelIlLb0ELi512ELi4ELb1EfPK16rocblas_bfloat16fEviT5_lT_lS3_lS4_liPT6_PT4_,"axG",@progbits,_ZL18rocblas_dot_kernelIlLb0ELi512ELi4ELb1EfPK16rocblas_bfloat16fEviT5_lT_lS3_lS4_liPT6_PT4_,comdat
	.globl	_ZL18rocblas_dot_kernelIlLb0ELi512ELi4ELb1EfPK16rocblas_bfloat16fEviT5_lT_lS3_lS4_liPT6_PT4_ ; -- Begin function _ZL18rocblas_dot_kernelIlLb0ELi512ELi4ELb1EfPK16rocblas_bfloat16fEviT5_lT_lS3_lS4_liPT6_PT4_
	.p2align	8
	.type	_ZL18rocblas_dot_kernelIlLb0ELi512ELi4ELb1EfPK16rocblas_bfloat16fEviT5_lT_lS3_lS4_liPT6_PT4_,@function
_ZL18rocblas_dot_kernelIlLb0ELi512ELi4ELb1EfPK16rocblas_bfloat16fEviT5_lT_lS3_lS4_liPT6_PT4_: ; @_ZL18rocblas_dot_kernelIlLb0ELi512ELi4ELb1EfPK16rocblas_bfloat16fEviT5_lT_lS3_lS4_liPT6_PT4_
; %bb.0:
	s_mov_b32 s2, s7
	s_load_dword s22, s[4:5], 0x60
	s_load_dword s7, s[4:5], 0x0
	s_load_dwordx4 s[16:19], s[4:5], 0x50
	v_lshl_or_b32 v4, s6, 9, v0
	s_mov_b32 s3, 0
	v_mov_b32_e32 v6, 0
	s_waitcnt lgkmcnt(0)
	v_cmp_gt_i32_e32 vcc, s7, v4
	s_and_saveexec_b64 s[20:21], vcc
	s_cbranch_execz .LBB316_4
; %bb.1:
	s_load_dwordx8 s[8:15], s[4:5], 0x20
	s_load_dwordx2 s[0:1], s[4:5], 0x8
	s_load_dwordx4 s[24:27], s[4:5], 0x10
	s_load_dwordx2 s[28:29], s[4:5], 0x40
	s_lshl_b32 s23, s22, 9
	v_ashrrev_i32_e32 v5, 31, v4
	v_add_u32_e32 v1, s23, v4
	s_waitcnt lgkmcnt(0)
	v_mad_u64_u32 v[2:3], s[4:5], s26, v4, 0
	s_mul_i32 s4, s9, s2
	s_mul_hi_u32 s5, s8, s2
	s_add_i32 s5, s5, s4
	s_mul_i32 s4, s8, s2
	s_lshl_b64 s[4:5], s[4:5], 1
	s_lshl_b64 s[8:9], s[24:25], 1
	s_add_u32 s0, s0, s8
	v_mul_lo_u32 v6, s27, v4
	v_mul_lo_u32 v7, s26, v5
	s_addc_u32 s1, s1, s9
	v_add3_u32 v3, v3, v7, v6
	s_add_u32 s0, s0, s4
	v_lshlrev_b64 v[2:3], 1, v[2:3]
	s_addc_u32 s1, s1, s5
	s_ashr_i32 s24, s23, 31
	v_mov_b32_e32 v6, s1
	v_add_co_u32_e32 v2, vcc, s0, v2
	s_mul_i32 s0, s26, s24
	s_mul_hi_u32 s1, s26, s23
	s_add_i32 s0, s1, s0
	s_mul_i32 s1, s27, s23
	s_add_i32 s1, s0, s1
	s_mul_i32 s0, s26, s23
	v_addc_co_u32_e32 v3, vcc, v6, v3, vcc
	s_lshl_b64 s[4:5], s[0:1], 1
	v_mul_lo_u32 v6, s15, v4
	v_mul_lo_u32 v7, s14, v5
	v_mad_u64_u32 v[4:5], s[0:1], s14, v4, 0
	s_mul_i32 s0, s29, s2
	s_mul_hi_u32 s1, s28, s2
	s_add_i32 s1, s1, s0
	s_mul_i32 s0, s28, s2
	s_lshl_b64 s[0:1], s[0:1], 1
	s_lshl_b64 s[8:9], s[12:13], 1
	s_add_u32 s8, s10, s8
	s_addc_u32 s9, s11, s9
	v_add3_u32 v5, v5, v7, v6
	s_add_u32 s0, s8, s0
	v_lshlrev_b64 v[4:5], 1, v[4:5]
	s_addc_u32 s1, s9, s1
	v_mov_b32_e32 v6, s1
	v_add_co_u32_e32 v4, vcc, s0, v4
	s_mul_i32 s0, s14, s24
	s_mul_hi_u32 s1, s14, s23
	s_add_i32 s0, s1, s0
	s_mul_i32 s1, s15, s23
	s_add_i32 s1, s0, s1
	s_mul_i32 s0, s14, s23
	s_lshl_b64 s[10:11], s[0:1], 1
	v_addc_co_u32_e32 v5, vcc, v6, v5, vcc
	s_mov_b64 s[8:9], 0
	v_mov_b32_e32 v6, 0
	v_mov_b32_e32 v7, s5
	;; [unrolled: 1-line block ×3, first 2 shown]
	s_mov_b32 s5, s3
.LBB316_2:                              ; =>This Inner Loop Header: Depth=1
	global_load_ushort v9, v[4:5], off
	global_load_ushort v10, v[2:3], off
	v_add_co_u32_e64 v2, s[0:1], s4, v2
	v_addc_co_u32_e64 v3, s[0:1], v3, v7, s[0:1]
	s_add_i32 s11, s5, 1
	v_add_co_u32_e64 v4, s[0:1], s10, v4
	v_addc_co_u32_e64 v5, s[0:1], v5, v8, s[0:1]
	s_cmp_gt_u32 s5, 2
	v_cmp_le_i32_e32 vcc, s7, v1
	s_cselect_b64 s[0:1], -1, 0
	s_or_b64 s[0:1], s[0:1], vcc
	s_and_b64 s[0:1], exec, s[0:1]
	v_add_u32_e32 v1, s23, v1
	s_mov_b32 s5, s11
	s_or_b64 s[8:9], s[0:1], s[8:9]
	s_waitcnt vmcnt(1)
	v_lshlrev_b32_e32 v9, 16, v9
	s_waitcnt vmcnt(0)
	v_lshlrev_b32_e32 v10, 16, v10
	v_fmac_f32_e32 v6, v10, v9
	s_andn2_b64 exec, exec, s[8:9]
	s_cbranch_execnz .LBB316_2
; %bb.3:
	s_or_b64 exec, exec, s[8:9]
.LBB316_4:
	s_or_b64 exec, exec, s[20:21]
	v_and_b32_e32 v2, 63, v0
	v_cmp_gt_u32_e32 vcc, 64, v0
	v_lshlrev_b32_e32 v1, 2, v2
	s_and_saveexec_b64 s[0:1], vcc
	s_cbranch_execz .LBB316_6
; %bb.5:
	v_mov_b32_e32 v3, 0
	ds_write_b32 v1, v3
.LBB316_6:
	s_or_b64 exec, exec, s[0:1]
	v_mbcnt_lo_u32_b32 v3, -1, 0
	v_mbcnt_hi_u32_b32 v5, -1, v3
	v_and_b32_e32 v7, 63, v5
	v_cmp_gt_u32_e64 s[0:1], 32, v7
	v_cndmask_b32_e64 v3, 0, 1, s[0:1]
	v_lshlrev_b32_e32 v3, 5, v3
	v_add_lshl_u32 v3, v3, v5, 2
	ds_bpermute_b32 v3, v3, v6
	v_cmp_gt_u32_e64 s[0:1], 48, v7
	v_cndmask_b32_e64 v4, 0, 1, s[0:1]
	v_lshlrev_b32_e32 v4, 4, v4
	v_add_lshl_u32 v4, v4, v5, 2
	s_waitcnt lgkmcnt(0)
	v_add_f32_e32 v3, v6, v3
	ds_bpermute_b32 v4, v4, v3
	v_cmp_gt_u32_e64 s[0:1], 56, v7
	v_cndmask_b32_e64 v6, 0, 1, s[0:1]
	v_lshlrev_b32_e32 v6, 3, v6
	v_cmp_gt_u32_e64 s[0:1], 60, v7
	s_waitcnt lgkmcnt(0)
	v_add_f32_e32 v3, v3, v4
	v_add_lshl_u32 v4, v6, v5, 2
	ds_bpermute_b32 v4, v4, v3
	v_cndmask_b32_e64 v6, 0, 1, s[0:1]
	v_lshlrev_b32_e32 v6, 2, v6
	v_cmp_gt_u32_e64 s[0:1], 62, v7
	v_cndmask_b32_e64 v8, 0, 1, s[0:1]
	s_waitcnt lgkmcnt(0)
	v_add_f32_e32 v4, v3, v4
	v_add_lshl_u32 v3, v6, v5, 2
	ds_bpermute_b32 v6, v3, v4
	v_lshlrev_b32_e32 v8, 1, v8
	v_cmp_ne_u32_e64 s[0:1], 63, v7
	s_waitcnt lgkmcnt(0)
	s_barrier
	v_add_f32_e32 v6, v4, v6
	v_add_lshl_u32 v4, v8, v5, 2
	ds_bpermute_b32 v8, v4, v6
	v_addc_co_u32_e64 v5, s[0:1], 0, v5, s[0:1]
	v_lshlrev_b32_e32 v5, 2, v5
	v_cmp_eq_u32_e64 s[0:1], 0, v2
	s_waitcnt lgkmcnt(0)
	v_add_f32_e32 v6, v6, v8
	ds_bpermute_b32 v7, v5, v6
	s_waitcnt lgkmcnt(0)
	s_and_saveexec_b64 s[4:5], s[0:1]
	s_cbranch_execz .LBB316_8
; %bb.7:
	v_add_f32_e32 v2, v6, v7
	v_lshrrev_b32_e32 v6, 4, v0
	v_and_b32_e32 v6, 28, v6
	ds_write_b32 v6, v2
.LBB316_8:
	s_or_b64 exec, exec, s[4:5]
	v_cmp_gt_u32_e64 s[0:1], 8, v0
	v_mov_b32_e32 v2, 0
	s_waitcnt lgkmcnt(0)
	s_barrier
	s_and_saveexec_b64 s[4:5], s[0:1]
	s_cbranch_execnz .LBB316_12
; %bb.9:
	s_or_b64 exec, exec, s[4:5]
	s_and_saveexec_b64 s[0:1], vcc
	s_cbranch_execnz .LBB316_13
.LBB316_10:
	s_or_b64 exec, exec, s[0:1]
	v_cmp_eq_u32_e32 vcc, 0, v0
	s_and_saveexec_b64 s[0:1], vcc
	s_cbranch_execnz .LBB316_14
.LBB316_11:
	s_endpgm
.LBB316_12:
	ds_read_b32 v2, v1
	s_or_b64 exec, exec, s[4:5]
	s_and_saveexec_b64 s[0:1], vcc
	s_cbranch_execz .LBB316_10
.LBB316_13:
	s_waitcnt lgkmcnt(0)
	ds_bpermute_b32 v1, v3, v2
	s_waitcnt lgkmcnt(0)
	v_add_f32_e32 v1, v2, v1
	ds_bpermute_b32 v2, v4, v1
	s_waitcnt lgkmcnt(0)
	v_add_f32_e32 v1, v1, v2
	;; [unrolled: 3-line block ×3, first 2 shown]
	s_or_b64 exec, exec, s[0:1]
	v_cmp_eq_u32_e32 vcc, 0, v0
	s_and_saveexec_b64 s[0:1], vcc
	s_cbranch_execz .LBB316_11
.LBB316_14:
	s_cmp_lg_u32 s22, 1
	s_cbranch_scc0 .LBB316_16
; %bb.15:
	s_mul_hi_u32 s1, s22, s2
	s_mul_i32 s0, s22, s2
	s_lshl_b64 s[0:1], s[0:1], 2
	s_mov_b32 s7, 0
	s_add_u32 s4, s16, s0
	s_addc_u32 s5, s17, s1
	s_lshl_b64 s[0:1], s[6:7], 2
	s_add_u32 s0, s4, s0
	s_addc_u32 s1, s5, s1
	s_cbranch_execz .LBB316_17
	s_branch .LBB316_18
.LBB316_16:
                                        ; implicit-def: $sgpr0_sgpr1
.LBB316_17:
	s_lshl_b64 s[0:1], s[2:3], 2
	s_add_u32 s0, s18, s0
	s_addc_u32 s1, s19, s1
.LBB316_18:
	v_mov_b32_e32 v0, 0
	s_waitcnt lgkmcnt(0)
	global_store_dword v0, v2, s[0:1]
	s_endpgm
	.section	.rodata,"a",@progbits
	.p2align	6, 0x0
	.amdhsa_kernel _ZL18rocblas_dot_kernelIlLb0ELi512ELi4ELb1EfPK16rocblas_bfloat16fEviT5_lT_lS3_lS4_liPT6_PT4_
		.amdhsa_group_segment_fixed_size 256
		.amdhsa_private_segment_fixed_size 0
		.amdhsa_kernarg_size 352
		.amdhsa_user_sgpr_count 6
		.amdhsa_user_sgpr_private_segment_buffer 1
		.amdhsa_user_sgpr_dispatch_ptr 0
		.amdhsa_user_sgpr_queue_ptr 0
		.amdhsa_user_sgpr_kernarg_segment_ptr 1
		.amdhsa_user_sgpr_dispatch_id 0
		.amdhsa_user_sgpr_flat_scratch_init 0
		.amdhsa_user_sgpr_kernarg_preload_length 0
		.amdhsa_user_sgpr_kernarg_preload_offset 0
		.amdhsa_user_sgpr_private_segment_size 0
		.amdhsa_uses_dynamic_stack 0
		.amdhsa_system_sgpr_private_segment_wavefront_offset 0
		.amdhsa_system_sgpr_workgroup_id_x 1
		.amdhsa_system_sgpr_workgroup_id_y 0
		.amdhsa_system_sgpr_workgroup_id_z 1
		.amdhsa_system_sgpr_workgroup_info 0
		.amdhsa_system_vgpr_workitem_id 0
		.amdhsa_next_free_vgpr 11
		.amdhsa_next_free_sgpr 30
		.amdhsa_accum_offset 12
		.amdhsa_reserve_vcc 1
		.amdhsa_reserve_flat_scratch 0
		.amdhsa_float_round_mode_32 0
		.amdhsa_float_round_mode_16_64 0
		.amdhsa_float_denorm_mode_32 3
		.amdhsa_float_denorm_mode_16_64 3
		.amdhsa_dx10_clamp 1
		.amdhsa_ieee_mode 1
		.amdhsa_fp16_overflow 0
		.amdhsa_tg_split 0
		.amdhsa_exception_fp_ieee_invalid_op 0
		.amdhsa_exception_fp_denorm_src 0
		.amdhsa_exception_fp_ieee_div_zero 0
		.amdhsa_exception_fp_ieee_overflow 0
		.amdhsa_exception_fp_ieee_underflow 0
		.amdhsa_exception_fp_ieee_inexact 0
		.amdhsa_exception_int_div_zero 0
	.end_amdhsa_kernel
	.section	.text._ZL18rocblas_dot_kernelIlLb0ELi512ELi4ELb1EfPK16rocblas_bfloat16fEviT5_lT_lS3_lS4_liPT6_PT4_,"axG",@progbits,_ZL18rocblas_dot_kernelIlLb0ELi512ELi4ELb1EfPK16rocblas_bfloat16fEviT5_lT_lS3_lS4_liPT6_PT4_,comdat
.Lfunc_end316:
	.size	_ZL18rocblas_dot_kernelIlLb0ELi512ELi4ELb1EfPK16rocblas_bfloat16fEviT5_lT_lS3_lS4_liPT6_PT4_, .Lfunc_end316-_ZL18rocblas_dot_kernelIlLb0ELi512ELi4ELb1EfPK16rocblas_bfloat16fEviT5_lT_lS3_lS4_liPT6_PT4_
                                        ; -- End function
	.section	.AMDGPU.csdata,"",@progbits
; Kernel info:
; codeLenInByte = 1076
; NumSgprs: 34
; NumVgprs: 11
; NumAgprs: 0
; TotalNumVgprs: 11
; ScratchSize: 0
; MemoryBound: 0
; FloatMode: 240
; IeeeMode: 1
; LDSByteSize: 256 bytes/workgroup (compile time only)
; SGPRBlocks: 4
; VGPRBlocks: 1
; NumSGPRsForWavesPerEU: 34
; NumVGPRsForWavesPerEU: 11
; AccumOffset: 12
; Occupancy: 8
; WaveLimiterHint : 0
; COMPUTE_PGM_RSRC2:SCRATCH_EN: 0
; COMPUTE_PGM_RSRC2:USER_SGPR: 6
; COMPUTE_PGM_RSRC2:TRAP_HANDLER: 0
; COMPUTE_PGM_RSRC2:TGID_X_EN: 1
; COMPUTE_PGM_RSRC2:TGID_Y_EN: 0
; COMPUTE_PGM_RSRC2:TGID_Z_EN: 1
; COMPUTE_PGM_RSRC2:TIDIG_COMP_CNT: 0
; COMPUTE_PGM_RSRC3_GFX90A:ACCUM_OFFSET: 2
; COMPUTE_PGM_RSRC3_GFX90A:TG_SPLIT: 0
	.section	.text._ZL24rocblas_dot_kernel_magsqIlLb0ELi512ELi4ELb1EfPK16rocblas_bfloat16fEviT5_lT_liPT6_PT4_,"axG",@progbits,_ZL24rocblas_dot_kernel_magsqIlLb0ELi512ELi4ELb1EfPK16rocblas_bfloat16fEviT5_lT_liPT6_PT4_,comdat
	.globl	_ZL24rocblas_dot_kernel_magsqIlLb0ELi512ELi4ELb1EfPK16rocblas_bfloat16fEviT5_lT_liPT6_PT4_ ; -- Begin function _ZL24rocblas_dot_kernel_magsqIlLb0ELi512ELi4ELb1EfPK16rocblas_bfloat16fEviT5_lT_liPT6_PT4_
	.p2align	8
	.type	_ZL24rocblas_dot_kernel_magsqIlLb0ELi512ELi4ELb1EfPK16rocblas_bfloat16fEviT5_lT_liPT6_PT4_,@function
_ZL24rocblas_dot_kernel_magsqIlLb0ELi512ELi4ELb1EfPK16rocblas_bfloat16fEviT5_lT_liPT6_PT4_: ; @_ZL24rocblas_dot_kernel_magsqIlLb0ELi512ELi4ELb1EfPK16rocblas_bfloat16fEviT5_lT_liPT6_PT4_
; %bb.0:
	s_mov_b32 s2, s7
	s_load_dword s7, s[4:5], 0x0
	s_load_dwordx4 s[8:11], s[4:5], 0x30
	s_load_dword s16, s[4:5], 0x40
	v_lshl_or_b32 v2, s6, 9, v0
	s_mov_b32 s3, 0
	s_waitcnt lgkmcnt(0)
	v_cmp_gt_i32_e32 vcc, s7, v2
	v_mov_b32_e32 v1, 0
	s_and_saveexec_b64 s[12:13], vcc
	s_cbranch_execz .LBB317_4
; %bb.1:
	s_load_dwordx2 s[0:1], s[4:5], 0x8
	s_load_dwordx4 s[20:23], s[4:5], 0x10
	s_load_dwordx2 s[14:15], s[4:5], 0x20
	s_lshl_b32 s17, s16, 9
	v_add_u32_e32 v4, s17, v2
	v_ashrrev_i32_e32 v1, 31, v2
	s_waitcnt lgkmcnt(0)
	v_mul_lo_u32 v5, s23, v2
	v_mad_u64_u32 v[2:3], s[4:5], s22, v2, 0
	s_mul_i32 s4, s15, s2
	s_mul_hi_u32 s5, s14, s2
	s_add_i32 s5, s5, s4
	s_mul_i32 s4, s14, s2
	s_lshl_b64 s[4:5], s[4:5], 1
	s_lshl_b64 s[14:15], s[20:21], 1
	v_mul_lo_u32 v1, s22, v1
	s_add_u32 s0, s0, s14
	v_add3_u32 v3, v3, v1, v5
	s_addc_u32 s1, s1, s15
	v_lshlrev_b64 v[2:3], 1, v[2:3]
	s_add_u32 s0, s0, s4
	s_addc_u32 s1, s1, s5
	v_add_co_u32_e32 v2, vcc, s0, v2
	s_ashr_i32 s0, s17, 31
	v_mov_b32_e32 v1, s1
	s_mul_i32 s0, s22, s0
	s_mul_hi_u32 s1, s22, s17
	s_add_i32 s0, s1, s0
	s_mul_i32 s1, s23, s17
	s_add_i32 s1, s0, s1
	s_mul_i32 s0, s22, s17
	s_lshl_b64 s[14:15], s[0:1], 1
	v_addc_co_u32_e32 v3, vcc, v1, v3, vcc
	s_mov_b64 s[4:5], 0
	v_mov_b32_e32 v1, 0
	v_mov_b32_e32 v5, s15
	s_mov_b32 s15, s3
.LBB317_2:                              ; =>This Inner Loop Header: Depth=1
	global_load_ushort v6, v[2:3], off
	s_add_i32 s18, s15, 1
	v_add_co_u32_e64 v2, s[0:1], s14, v2
	v_addc_co_u32_e64 v3, s[0:1], v3, v5, s[0:1]
	s_cmp_gt_u32 s15, 2
	v_cmp_le_i32_e32 vcc, s7, v4
	s_cselect_b64 s[0:1], -1, 0
	s_or_b64 s[0:1], s[0:1], vcc
	s_and_b64 s[0:1], exec, s[0:1]
	v_add_u32_e32 v4, s17, v4
	s_mov_b32 s15, s18
	s_or_b64 s[4:5], s[0:1], s[4:5]
	s_waitcnt vmcnt(0)
	v_lshlrev_b32_e32 v6, 16, v6
	v_fmac_f32_e32 v1, v6, v6
	s_andn2_b64 exec, exec, s[4:5]
	s_cbranch_execnz .LBB317_2
; %bb.3:
	s_or_b64 exec, exec, s[4:5]
.LBB317_4:
	s_or_b64 exec, exec, s[12:13]
	v_and_b32_e32 v3, 63, v0
	v_cmp_gt_u32_e32 vcc, 64, v0
	v_lshlrev_b32_e32 v2, 2, v3
	s_and_saveexec_b64 s[0:1], vcc
	s_cbranch_execz .LBB317_6
; %bb.5:
	v_mov_b32_e32 v4, 0
	ds_write_b32 v2, v4
.LBB317_6:
	s_or_b64 exec, exec, s[0:1]
	v_mbcnt_lo_u32_b32 v4, -1, 0
	v_mbcnt_hi_u32_b32 v6, -1, v4
	v_and_b32_e32 v7, 63, v6
	v_cmp_gt_u32_e64 s[0:1], 32, v7
	v_cndmask_b32_e64 v4, 0, 1, s[0:1]
	v_lshlrev_b32_e32 v4, 5, v4
	v_add_lshl_u32 v4, v4, v6, 2
	ds_bpermute_b32 v4, v4, v1
	v_cmp_gt_u32_e64 s[0:1], 48, v7
	v_cndmask_b32_e64 v5, 0, 1, s[0:1]
	v_lshlrev_b32_e32 v5, 4, v5
	v_cmp_gt_u32_e64 s[0:1], 56, v7
	s_waitcnt lgkmcnt(0)
	v_add_f32_e32 v1, v1, v4
	v_add_lshl_u32 v4, v5, v6, 2
	ds_bpermute_b32 v4, v4, v1
	v_cndmask_b32_e64 v5, 0, 1, s[0:1]
	v_lshlrev_b32_e32 v5, 3, v5
	v_cmp_gt_u32_e64 s[0:1], 60, v7
	s_waitcnt lgkmcnt(0)
	v_add_f32_e32 v1, v1, v4
	v_add_lshl_u32 v4, v5, v6, 2
	ds_bpermute_b32 v4, v4, v1
	v_cndmask_b32_e64 v5, 0, 1, s[0:1]
	v_lshlrev_b32_e32 v5, 2, v5
	v_cmp_gt_u32_e64 s[0:1], 62, v7
	v_cndmask_b32_e64 v8, 0, 1, s[0:1]
	s_waitcnt lgkmcnt(0)
	v_add_f32_e32 v1, v1, v4
	v_add_lshl_u32 v4, v5, v6, 2
	ds_bpermute_b32 v5, v4, v1
	v_lshlrev_b32_e32 v8, 1, v8
	v_cmp_ne_u32_e64 s[0:1], 63, v7
	s_barrier
	s_waitcnt lgkmcnt(0)
	v_add_f32_e32 v1, v1, v5
	v_add_lshl_u32 v5, v8, v6, 2
	ds_bpermute_b32 v8, v5, v1
	v_addc_co_u32_e64 v6, s[0:1], 0, v6, s[0:1]
	v_lshlrev_b32_e32 v6, 2, v6
	v_cmp_eq_u32_e64 s[0:1], 0, v3
	s_waitcnt lgkmcnt(0)
	v_add_f32_e32 v1, v1, v8
	ds_bpermute_b32 v7, v6, v1
	s_and_saveexec_b64 s[4:5], s[0:1]
	s_cbranch_execz .LBB317_8
; %bb.7:
	v_lshrrev_b32_e32 v3, 4, v0
	s_waitcnt lgkmcnt(0)
	v_add_f32_e32 v1, v1, v7
	v_and_b32_e32 v3, 28, v3
	ds_write_b32 v3, v1
.LBB317_8:
	s_or_b64 exec, exec, s[4:5]
	v_cmp_gt_u32_e64 s[0:1], 8, v0
	v_mov_b32_e32 v1, 0
	s_waitcnt lgkmcnt(0)
	s_barrier
	s_and_saveexec_b64 s[4:5], s[0:1]
	s_cbranch_execnz .LBB317_12
; %bb.9:
	s_or_b64 exec, exec, s[4:5]
	s_and_saveexec_b64 s[0:1], vcc
	s_cbranch_execnz .LBB317_13
.LBB317_10:
	s_or_b64 exec, exec, s[0:1]
	v_cmp_eq_u32_e32 vcc, 0, v0
	s_and_saveexec_b64 s[0:1], vcc
	s_cbranch_execnz .LBB317_14
.LBB317_11:
	s_endpgm
.LBB317_12:
	ds_read_b32 v1, v2
	s_or_b64 exec, exec, s[4:5]
	s_and_saveexec_b64 s[0:1], vcc
	s_cbranch_execz .LBB317_10
.LBB317_13:
	s_waitcnt lgkmcnt(0)
	ds_bpermute_b32 v2, v4, v1
	s_waitcnt lgkmcnt(0)
	v_add_f32_e32 v1, v1, v2
	ds_bpermute_b32 v2, v5, v1
	s_waitcnt lgkmcnt(0)
	v_add_f32_e32 v1, v1, v2
	;; [unrolled: 3-line block ×3, first 2 shown]
	s_or_b64 exec, exec, s[0:1]
	v_cmp_eq_u32_e32 vcc, 0, v0
	s_and_saveexec_b64 s[0:1], vcc
	s_cbranch_execz .LBB317_11
.LBB317_14:
	s_cmp_lg_u32 s16, 1
	s_cbranch_scc0 .LBB317_16
; %bb.15:
	s_mul_hi_u32 s1, s16, s2
	s_mul_i32 s0, s16, s2
	s_lshl_b64 s[0:1], s[0:1], 2
	s_mov_b32 s7, 0
	s_add_u32 s4, s8, s0
	s_addc_u32 s5, s9, s1
	s_lshl_b64 s[0:1], s[6:7], 2
	s_add_u32 s0, s4, s0
	s_addc_u32 s1, s5, s1
	s_cbranch_execz .LBB317_17
	s_branch .LBB317_18
.LBB317_16:
                                        ; implicit-def: $sgpr0_sgpr1
.LBB317_17:
	s_lshl_b64 s[0:1], s[2:3], 2
	s_add_u32 s0, s10, s0
	s_addc_u32 s1, s11, s1
.LBB317_18:
	v_mov_b32_e32 v0, 0
	s_waitcnt lgkmcnt(0)
	global_store_dword v0, v1, s[0:1]
	s_endpgm
	.section	.rodata,"a",@progbits
	.p2align	6, 0x0
	.amdhsa_kernel _ZL24rocblas_dot_kernel_magsqIlLb0ELi512ELi4ELb1EfPK16rocblas_bfloat16fEviT5_lT_liPT6_PT4_
		.amdhsa_group_segment_fixed_size 256
		.amdhsa_private_segment_fixed_size 0
		.amdhsa_kernarg_size 320
		.amdhsa_user_sgpr_count 6
		.amdhsa_user_sgpr_private_segment_buffer 1
		.amdhsa_user_sgpr_dispatch_ptr 0
		.amdhsa_user_sgpr_queue_ptr 0
		.amdhsa_user_sgpr_kernarg_segment_ptr 1
		.amdhsa_user_sgpr_dispatch_id 0
		.amdhsa_user_sgpr_flat_scratch_init 0
		.amdhsa_user_sgpr_kernarg_preload_length 0
		.amdhsa_user_sgpr_kernarg_preload_offset 0
		.amdhsa_user_sgpr_private_segment_size 0
		.amdhsa_uses_dynamic_stack 0
		.amdhsa_system_sgpr_private_segment_wavefront_offset 0
		.amdhsa_system_sgpr_workgroup_id_x 1
		.amdhsa_system_sgpr_workgroup_id_y 0
		.amdhsa_system_sgpr_workgroup_id_z 1
		.amdhsa_system_sgpr_workgroup_info 0
		.amdhsa_system_vgpr_workitem_id 0
		.amdhsa_next_free_vgpr 9
		.amdhsa_next_free_sgpr 24
		.amdhsa_accum_offset 12
		.amdhsa_reserve_vcc 1
		.amdhsa_reserve_flat_scratch 0
		.amdhsa_float_round_mode_32 0
		.amdhsa_float_round_mode_16_64 0
		.amdhsa_float_denorm_mode_32 3
		.amdhsa_float_denorm_mode_16_64 3
		.amdhsa_dx10_clamp 1
		.amdhsa_ieee_mode 1
		.amdhsa_fp16_overflow 0
		.amdhsa_tg_split 0
		.amdhsa_exception_fp_ieee_invalid_op 0
		.amdhsa_exception_fp_denorm_src 0
		.amdhsa_exception_fp_ieee_div_zero 0
		.amdhsa_exception_fp_ieee_overflow 0
		.amdhsa_exception_fp_ieee_underflow 0
		.amdhsa_exception_fp_ieee_inexact 0
		.amdhsa_exception_int_div_zero 0
	.end_amdhsa_kernel
	.section	.text._ZL24rocblas_dot_kernel_magsqIlLb0ELi512ELi4ELb1EfPK16rocblas_bfloat16fEviT5_lT_liPT6_PT4_,"axG",@progbits,_ZL24rocblas_dot_kernel_magsqIlLb0ELi512ELi4ELb1EfPK16rocblas_bfloat16fEviT5_lT_liPT6_PT4_,comdat
.Lfunc_end317:
	.size	_ZL24rocblas_dot_kernel_magsqIlLb0ELi512ELi4ELb1EfPK16rocblas_bfloat16fEviT5_lT_liPT6_PT4_, .Lfunc_end317-_ZL24rocblas_dot_kernel_magsqIlLb0ELi512ELi4ELb1EfPK16rocblas_bfloat16fEviT5_lT_liPT6_PT4_
                                        ; -- End function
	.section	.AMDGPU.csdata,"",@progbits
; Kernel info:
; codeLenInByte = 912
; NumSgprs: 28
; NumVgprs: 9
; NumAgprs: 0
; TotalNumVgprs: 9
; ScratchSize: 0
; MemoryBound: 0
; FloatMode: 240
; IeeeMode: 1
; LDSByteSize: 256 bytes/workgroup (compile time only)
; SGPRBlocks: 3
; VGPRBlocks: 1
; NumSGPRsForWavesPerEU: 28
; NumVGPRsForWavesPerEU: 9
; AccumOffset: 12
; Occupancy: 8
; WaveLimiterHint : 0
; COMPUTE_PGM_RSRC2:SCRATCH_EN: 0
; COMPUTE_PGM_RSRC2:USER_SGPR: 6
; COMPUTE_PGM_RSRC2:TRAP_HANDLER: 0
; COMPUTE_PGM_RSRC2:TGID_X_EN: 1
; COMPUTE_PGM_RSRC2:TGID_Y_EN: 0
; COMPUTE_PGM_RSRC2:TGID_Z_EN: 1
; COMPUTE_PGM_RSRC2:TIDIG_COMP_CNT: 0
; COMPUTE_PGM_RSRC3_GFX90A:ACCUM_OFFSET: 2
; COMPUTE_PGM_RSRC3_GFX90A:TG_SPLIT: 0
	.section	.text._ZL28rocblas_dot_batched_4_kernelIlLi32ELi4ELb1EffPKPK16rocblas_bfloat16EviT5_lT_lS5_lS6_liPT4_,"axG",@progbits,_ZL28rocblas_dot_batched_4_kernelIlLi32ELi4ELb1EffPKPK16rocblas_bfloat16EviT5_lT_lS5_lS6_liPT4_,comdat
	.globl	_ZL28rocblas_dot_batched_4_kernelIlLi32ELi4ELb1EffPKPK16rocblas_bfloat16EviT5_lT_lS5_lS6_liPT4_ ; -- Begin function _ZL28rocblas_dot_batched_4_kernelIlLi32ELi4ELb1EffPKPK16rocblas_bfloat16EviT5_lT_lS5_lS6_liPT4_
	.p2align	8
	.type	_ZL28rocblas_dot_batched_4_kernelIlLi32ELi4ELb1EffPKPK16rocblas_bfloat16EviT5_lT_lS5_lS6_liPT4_,@function
_ZL28rocblas_dot_batched_4_kernelIlLi32ELi4ELb1EffPKPK16rocblas_bfloat16EviT5_lT_lS5_lS6_liPT4_: ; @_ZL28rocblas_dot_batched_4_kernelIlLi32ELi4ELb1EffPKPK16rocblas_bfloat16EviT5_lT_lS5_lS6_liPT4_
; %bb.0:
	s_load_dword s0, s[4:5], 0x48
	v_bfe_u32 v1, v0, 10, 10
	v_lshl_add_u32 v2, s6, 2, v1
	s_waitcnt lgkmcnt(0)
	v_cmp_gt_u32_e32 vcc, s0, v2
	s_and_saveexec_b64 s[0:1], vcc
	s_cbranch_execz .LBB318_7
; %bb.1:
	s_load_dword s14, s[4:5], 0x0
	s_load_dwordx2 s[8:9], s[4:5], 0x50
	v_mov_b32_e32 v3, 0
	v_and_b32_e32 v6, 0x3ff, v0
	v_mov_b32_e32 v7, v3
	s_waitcnt lgkmcnt(0)
	v_cmp_gt_i32_e32 vcc, s14, v6
	s_and_saveexec_b64 s[10:11], vcc
	s_cbranch_execz .LBB318_5
; %bb.2:
	s_load_dwordx2 s[6:7], s[4:5], 0x8
	s_load_dwordx2 s[12:13], s[4:5], 0x28
	v_lshlrev_b64 v[0:1], 3, v[2:3]
	s_load_dwordx4 s[0:3], s[4:5], 0x10
	s_waitcnt lgkmcnt(0)
	v_mov_b32_e32 v5, s7
	v_add_co_u32_e32 v4, vcc, s6, v0
	v_addc_co_u32_e32 v5, vcc, v5, v1, vcc
	global_load_dwordx2 v[4:5], v[4:5], off
	v_mov_b32_e32 v7, s13
	v_add_co_u32_e32 v0, vcc, s12, v0
	v_addc_co_u32_e32 v1, vcc, v7, v1, vcc
	global_load_dwordx2 v[10:11], v[0:1], off
	s_load_dwordx4 s[4:7], s[4:5], 0x30
	v_mad_u64_u32 v[0:1], s[16:17], s2, v6, 0
	v_mov_b32_e32 v14, v1
	s_lshl_b64 s[16:17], s[0:1], 1
	s_lshl_b64 s[0:1], s[2:3], 6
	s_waitcnt lgkmcnt(0)
	v_mad_u64_u32 v[12:13], s[18:19], s6, v6, 0
	v_mad_u64_u32 v[14:15], s[2:3], s3, v6, v[14:15]
	v_mov_b32_e32 v16, v13
	v_mov_b32_e32 v1, v14
	v_mad_u64_u32 v[16:17], s[2:3], s7, v6, v[16:17]
	v_lshlrev_b64 v[0:1], 1, v[0:1]
	v_mov_b32_e32 v18, s17
	v_mov_b32_e32 v13, v16
	v_add_co_u32_e32 v0, vcc, s16, v0
	s_lshl_b64 s[18:19], s[4:5], 1
	v_lshlrev_b64 v[12:13], 1, v[12:13]
	v_addc_co_u32_e32 v1, vcc, v1, v18, vcc
	v_mov_b32_e32 v19, s19
	v_add_co_u32_e32 v12, vcc, s18, v12
	v_addc_co_u32_e32 v13, vcc, v13, v19, vcc
	s_lshl_b64 s[4:5], s[6:7], 6
	s_mov_b64 s[12:13], 0
	v_mov_b32_e32 v7, 0
	v_mov_b32_e32 v8, s1
	;; [unrolled: 1-line block ×3, first 2 shown]
	s_waitcnt vmcnt(1)
	v_add_co_u32_e32 v0, vcc, v4, v0
	v_addc_co_u32_e32 v1, vcc, v5, v1, vcc
	s_waitcnt vmcnt(0)
	v_add_co_u32_e32 v4, vcc, v10, v12
	v_addc_co_u32_e32 v5, vcc, v11, v13, vcc
	v_mov_b32_e32 v10, v6
.LBB318_3:                              ; =>This Inner Loop Header: Depth=1
	global_load_ushort v11, v[0:1], off
	global_load_ushort v12, v[4:5], off
	v_add_co_u32_e32 v0, vcc, s0, v0
	v_addc_co_u32_e32 v1, vcc, v1, v8, vcc
	v_add_co_u32_e32 v4, vcc, s4, v4
	v_add_u32_e32 v10, 32, v10
	v_addc_co_u32_e32 v5, vcc, v5, v9, vcc
	v_cmp_le_i32_e32 vcc, s14, v10
	s_or_b64 s[12:13], vcc, s[12:13]
	s_waitcnt vmcnt(1)
	v_lshlrev_b32_e32 v11, 16, v11
	s_waitcnt vmcnt(0)
	v_lshlrev_b32_e32 v12, 16, v12
	v_fmac_f32_e32 v7, v12, v11
	s_andn2_b64 exec, exec, s[12:13]
	s_cbranch_execnz .LBB318_3
; %bb.4:
	s_or_b64 exec, exec, s[12:13]
.LBB318_5:
	s_or_b64 exec, exec, s[10:11]
	v_mbcnt_lo_u32_b32 v0, -1, 0
	v_mbcnt_hi_u32_b32 v0, -1, v0
	v_and_b32_e32 v1, 63, v0
	v_cmp_gt_u32_e32 vcc, 48, v1
	v_cndmask_b32_e64 v4, 0, 1, vcc
	v_lshlrev_b32_e32 v4, 4, v4
	v_add_lshl_u32 v4, v4, v0, 2
	ds_bpermute_b32 v4, v4, v7
	v_cmp_gt_u32_e32 vcc, 56, v1
	v_cndmask_b32_e64 v5, 0, 1, vcc
	v_lshlrev_b32_e32 v5, 3, v5
	v_add_lshl_u32 v5, v5, v0, 2
	s_waitcnt lgkmcnt(0)
	v_add_f32_e32 v4, v7, v4
	ds_bpermute_b32 v5, v5, v4
	v_cmp_gt_u32_e32 vcc, 60, v1
	v_cndmask_b32_e64 v7, 0, 1, vcc
	v_lshlrev_b32_e32 v7, 2, v7
	v_cmp_gt_u32_e32 vcc, 62, v1
	s_waitcnt lgkmcnt(0)
	v_add_f32_e32 v4, v4, v5
	v_add_lshl_u32 v5, v7, v0, 2
	ds_bpermute_b32 v5, v5, v4
	v_cndmask_b32_e64 v7, 0, 1, vcc
	v_lshlrev_b32_e32 v7, 1, v7
	v_cmp_ne_u32_e32 vcc, 63, v1
	v_addc_co_u32_e32 v1, vcc, 0, v0, vcc
	s_waitcnt lgkmcnt(0)
	v_add_f32_e32 v4, v4, v5
	v_add_lshl_u32 v5, v7, v0, 2
	ds_bpermute_b32 v5, v5, v4
	v_lshlrev_b32_e32 v1, 2, v1
	v_cmp_eq_u32_e32 vcc, 0, v6
	s_waitcnt lgkmcnt(0)
	s_barrier
	v_add_f32_e32 v0, v4, v5
	ds_bpermute_b32 v1, v1, v0
	s_waitcnt lgkmcnt(0)
	s_and_b64 exec, exec, vcc
	s_cbranch_execz .LBB318_7
; %bb.6:
	v_lshlrev_b64 v[2:3], 2, v[2:3]
	v_mov_b32_e32 v4, s9
	v_add_co_u32_e32 v2, vcc, s8, v2
	v_addc_co_u32_e32 v3, vcc, v4, v3, vcc
	v_add_f32_e32 v0, v0, v1
	global_store_dword v[2:3], v0, off
.LBB318_7:
	s_endpgm
	.section	.rodata,"a",@progbits
	.p2align	6, 0x0
	.amdhsa_kernel _ZL28rocblas_dot_batched_4_kernelIlLi32ELi4ELb1EffPKPK16rocblas_bfloat16EviT5_lT_lS5_lS6_liPT4_
		.amdhsa_group_segment_fixed_size 0
		.amdhsa_private_segment_fixed_size 0
		.amdhsa_kernarg_size 88
		.amdhsa_user_sgpr_count 6
		.amdhsa_user_sgpr_private_segment_buffer 1
		.amdhsa_user_sgpr_dispatch_ptr 0
		.amdhsa_user_sgpr_queue_ptr 0
		.amdhsa_user_sgpr_kernarg_segment_ptr 1
		.amdhsa_user_sgpr_dispatch_id 0
		.amdhsa_user_sgpr_flat_scratch_init 0
		.amdhsa_user_sgpr_kernarg_preload_length 0
		.amdhsa_user_sgpr_kernarg_preload_offset 0
		.amdhsa_user_sgpr_private_segment_size 0
		.amdhsa_uses_dynamic_stack 0
		.amdhsa_system_sgpr_private_segment_wavefront_offset 0
		.amdhsa_system_sgpr_workgroup_id_x 1
		.amdhsa_system_sgpr_workgroup_id_y 0
		.amdhsa_system_sgpr_workgroup_id_z 0
		.amdhsa_system_sgpr_workgroup_info 0
		.amdhsa_system_vgpr_workitem_id 1
		.amdhsa_next_free_vgpr 20
		.amdhsa_next_free_sgpr 20
		.amdhsa_accum_offset 20
		.amdhsa_reserve_vcc 1
		.amdhsa_reserve_flat_scratch 0
		.amdhsa_float_round_mode_32 0
		.amdhsa_float_round_mode_16_64 0
		.amdhsa_float_denorm_mode_32 3
		.amdhsa_float_denorm_mode_16_64 3
		.amdhsa_dx10_clamp 1
		.amdhsa_ieee_mode 1
		.amdhsa_fp16_overflow 0
		.amdhsa_tg_split 0
		.amdhsa_exception_fp_ieee_invalid_op 0
		.amdhsa_exception_fp_denorm_src 0
		.amdhsa_exception_fp_ieee_div_zero 0
		.amdhsa_exception_fp_ieee_overflow 0
		.amdhsa_exception_fp_ieee_underflow 0
		.amdhsa_exception_fp_ieee_inexact 0
		.amdhsa_exception_int_div_zero 0
	.end_amdhsa_kernel
	.section	.text._ZL28rocblas_dot_batched_4_kernelIlLi32ELi4ELb1EffPKPK16rocblas_bfloat16EviT5_lT_lS5_lS6_liPT4_,"axG",@progbits,_ZL28rocblas_dot_batched_4_kernelIlLi32ELi4ELb1EffPKPK16rocblas_bfloat16EviT5_lT_lS5_lS6_liPT4_,comdat
.Lfunc_end318:
	.size	_ZL28rocblas_dot_batched_4_kernelIlLi32ELi4ELb1EffPKPK16rocblas_bfloat16EviT5_lT_lS5_lS6_liPT4_, .Lfunc_end318-_ZL28rocblas_dot_batched_4_kernelIlLi32ELi4ELb1EffPKPK16rocblas_bfloat16EviT5_lT_lS5_lS6_liPT4_
                                        ; -- End function
	.section	.AMDGPU.csdata,"",@progbits
; Kernel info:
; codeLenInByte = 660
; NumSgprs: 24
; NumVgprs: 20
; NumAgprs: 0
; TotalNumVgprs: 20
; ScratchSize: 0
; MemoryBound: 0
; FloatMode: 240
; IeeeMode: 1
; LDSByteSize: 0 bytes/workgroup (compile time only)
; SGPRBlocks: 2
; VGPRBlocks: 2
; NumSGPRsForWavesPerEU: 24
; NumVGPRsForWavesPerEU: 20
; AccumOffset: 20
; Occupancy: 8
; WaveLimiterHint : 0
; COMPUTE_PGM_RSRC2:SCRATCH_EN: 0
; COMPUTE_PGM_RSRC2:USER_SGPR: 6
; COMPUTE_PGM_RSRC2:TRAP_HANDLER: 0
; COMPUTE_PGM_RSRC2:TGID_X_EN: 1
; COMPUTE_PGM_RSRC2:TGID_Y_EN: 0
; COMPUTE_PGM_RSRC2:TGID_Z_EN: 0
; COMPUTE_PGM_RSRC2:TIDIG_COMP_CNT: 1
; COMPUTE_PGM_RSRC3_GFX90A:ACCUM_OFFSET: 4
; COMPUTE_PGM_RSRC3_GFX90A:TG_SPLIT: 0
	.section	.text._ZL28rocblas_dot_batched_4_kernelIlLi64ELi4ELb1EffPKPK16rocblas_bfloat16EviT5_lT_lS5_lS6_liPT4_,"axG",@progbits,_ZL28rocblas_dot_batched_4_kernelIlLi64ELi4ELb1EffPKPK16rocblas_bfloat16EviT5_lT_lS5_lS6_liPT4_,comdat
	.globl	_ZL28rocblas_dot_batched_4_kernelIlLi64ELi4ELb1EffPKPK16rocblas_bfloat16EviT5_lT_lS5_lS6_liPT4_ ; -- Begin function _ZL28rocblas_dot_batched_4_kernelIlLi64ELi4ELb1EffPKPK16rocblas_bfloat16EviT5_lT_lS5_lS6_liPT4_
	.p2align	8
	.type	_ZL28rocblas_dot_batched_4_kernelIlLi64ELi4ELb1EffPKPK16rocblas_bfloat16EviT5_lT_lS5_lS6_liPT4_,@function
_ZL28rocblas_dot_batched_4_kernelIlLi64ELi4ELb1EffPKPK16rocblas_bfloat16EviT5_lT_lS5_lS6_liPT4_: ; @_ZL28rocblas_dot_batched_4_kernelIlLi64ELi4ELb1EffPKPK16rocblas_bfloat16EviT5_lT_lS5_lS6_liPT4_
; %bb.0:
	s_load_dword s0, s[4:5], 0x48
	v_bfe_u32 v1, v0, 10, 10
	v_lshl_add_u32 v2, s6, 2, v1
	s_waitcnt lgkmcnt(0)
	v_cmp_gt_u32_e32 vcc, s0, v2
	s_and_saveexec_b64 s[0:1], vcc
	s_cbranch_execz .LBB319_7
; %bb.1:
	s_load_dword s14, s[4:5], 0x0
	s_load_dwordx2 s[8:9], s[4:5], 0x50
	v_mov_b32_e32 v3, 0
	v_and_b32_e32 v6, 0x3ff, v0
	v_mov_b32_e32 v7, v3
	s_waitcnt lgkmcnt(0)
	v_cmp_gt_i32_e32 vcc, s14, v6
	s_and_saveexec_b64 s[10:11], vcc
	s_cbranch_execz .LBB319_5
; %bb.2:
	s_load_dwordx2 s[6:7], s[4:5], 0x8
	s_load_dwordx2 s[12:13], s[4:5], 0x28
	v_lshlrev_b64 v[0:1], 3, v[2:3]
	s_load_dwordx4 s[0:3], s[4:5], 0x10
	s_waitcnt lgkmcnt(0)
	v_mov_b32_e32 v5, s7
	v_add_co_u32_e32 v4, vcc, s6, v0
	v_addc_co_u32_e32 v5, vcc, v5, v1, vcc
	global_load_dwordx2 v[4:5], v[4:5], off
	v_mov_b32_e32 v7, s13
	v_add_co_u32_e32 v0, vcc, s12, v0
	v_addc_co_u32_e32 v1, vcc, v7, v1, vcc
	global_load_dwordx2 v[10:11], v[0:1], off
	s_load_dwordx4 s[4:7], s[4:5], 0x30
	v_mad_u64_u32 v[0:1], s[16:17], s2, v6, 0
	v_mov_b32_e32 v14, v1
	s_lshl_b64 s[16:17], s[0:1], 1
	s_lshl_b64 s[0:1], s[2:3], 7
	s_waitcnt lgkmcnt(0)
	v_mad_u64_u32 v[12:13], s[18:19], s6, v6, 0
	v_mad_u64_u32 v[14:15], s[2:3], s3, v6, v[14:15]
	v_mov_b32_e32 v16, v13
	v_mov_b32_e32 v1, v14
	v_mad_u64_u32 v[16:17], s[2:3], s7, v6, v[16:17]
	v_lshlrev_b64 v[0:1], 1, v[0:1]
	v_mov_b32_e32 v18, s17
	v_mov_b32_e32 v13, v16
	v_add_co_u32_e32 v0, vcc, s16, v0
	s_lshl_b64 s[18:19], s[4:5], 1
	v_lshlrev_b64 v[12:13], 1, v[12:13]
	v_addc_co_u32_e32 v1, vcc, v1, v18, vcc
	v_mov_b32_e32 v19, s19
	v_add_co_u32_e32 v12, vcc, s18, v12
	v_addc_co_u32_e32 v13, vcc, v13, v19, vcc
	s_lshl_b64 s[4:5], s[6:7], 7
	s_mov_b64 s[12:13], 0
	v_mov_b32_e32 v7, 0
	v_mov_b32_e32 v8, s1
	v_mov_b32_e32 v9, s5
	s_waitcnt vmcnt(1)
	v_add_co_u32_e32 v0, vcc, v4, v0
	v_addc_co_u32_e32 v1, vcc, v5, v1, vcc
	s_waitcnt vmcnt(0)
	v_add_co_u32_e32 v4, vcc, v10, v12
	v_addc_co_u32_e32 v5, vcc, v11, v13, vcc
	v_mov_b32_e32 v10, v6
.LBB319_3:                              ; =>This Inner Loop Header: Depth=1
	global_load_ushort v11, v[0:1], off
	global_load_ushort v12, v[4:5], off
	v_add_co_u32_e32 v0, vcc, s0, v0
	v_addc_co_u32_e32 v1, vcc, v1, v8, vcc
	v_add_co_u32_e32 v4, vcc, s4, v4
	v_add_u32_e32 v10, 64, v10
	v_addc_co_u32_e32 v5, vcc, v5, v9, vcc
	v_cmp_le_i32_e32 vcc, s14, v10
	s_or_b64 s[12:13], vcc, s[12:13]
	s_waitcnt vmcnt(1)
	v_lshlrev_b32_e32 v11, 16, v11
	s_waitcnt vmcnt(0)
	v_lshlrev_b32_e32 v12, 16, v12
	v_fmac_f32_e32 v7, v12, v11
	s_andn2_b64 exec, exec, s[12:13]
	s_cbranch_execnz .LBB319_3
; %bb.4:
	s_or_b64 exec, exec, s[12:13]
.LBB319_5:
	s_or_b64 exec, exec, s[10:11]
	v_mbcnt_lo_u32_b32 v0, -1, 0
	v_mbcnt_hi_u32_b32 v0, -1, v0
	v_and_b32_e32 v1, 63, v0
	v_cmp_gt_u32_e32 vcc, 32, v1
	v_cndmask_b32_e64 v4, 0, 1, vcc
	v_lshlrev_b32_e32 v4, 5, v4
	v_add_lshl_u32 v4, v4, v0, 2
	ds_bpermute_b32 v4, v4, v7
	v_cmp_gt_u32_e32 vcc, 48, v1
	v_cndmask_b32_e64 v5, 0, 1, vcc
	v_lshlrev_b32_e32 v5, 4, v5
	v_add_lshl_u32 v5, v5, v0, 2
	s_waitcnt lgkmcnt(0)
	v_add_f32_e32 v4, v7, v4
	ds_bpermute_b32 v5, v5, v4
	v_cmp_gt_u32_e32 vcc, 56, v1
	v_cndmask_b32_e64 v7, 0, 1, vcc
	v_lshlrev_b32_e32 v7, 3, v7
	v_cmp_gt_u32_e32 vcc, 60, v1
	s_waitcnt lgkmcnt(0)
	v_add_f32_e32 v4, v4, v5
	v_add_lshl_u32 v5, v7, v0, 2
	ds_bpermute_b32 v5, v5, v4
	v_cndmask_b32_e64 v7, 0, 1, vcc
	v_lshlrev_b32_e32 v7, 2, v7
	v_cmp_gt_u32_e32 vcc, 62, v1
	s_waitcnt lgkmcnt(0)
	v_add_f32_e32 v4, v4, v5
	v_add_lshl_u32 v5, v7, v0, 2
	ds_bpermute_b32 v5, v5, v4
	v_cndmask_b32_e64 v7, 0, 1, vcc
	v_lshlrev_b32_e32 v7, 1, v7
	v_cmp_ne_u32_e32 vcc, 63, v1
	v_addc_co_u32_e32 v1, vcc, 0, v0, vcc
	s_waitcnt lgkmcnt(0)
	v_add_f32_e32 v4, v4, v5
	v_add_lshl_u32 v5, v7, v0, 2
	ds_bpermute_b32 v5, v5, v4
	v_lshlrev_b32_e32 v1, 2, v1
	v_cmp_eq_u32_e32 vcc, 0, v6
	s_barrier
	s_waitcnt lgkmcnt(0)
	v_add_f32_e32 v0, v4, v5
	ds_bpermute_b32 v1, v1, v0
	s_and_b64 exec, exec, vcc
	s_cbranch_execz .LBB319_7
; %bb.6:
	v_lshlrev_b64 v[2:3], 2, v[2:3]
	v_mov_b32_e32 v4, s9
	v_add_co_u32_e32 v2, vcc, s8, v2
	v_addc_co_u32_e32 v3, vcc, v4, v3, vcc
	s_waitcnt lgkmcnt(0)
	v_add_f32_e32 v0, v0, v1
	global_store_dword v[2:3], v0, off
.LBB319_7:
	s_endpgm
	.section	.rodata,"a",@progbits
	.p2align	6, 0x0
	.amdhsa_kernel _ZL28rocblas_dot_batched_4_kernelIlLi64ELi4ELb1EffPKPK16rocblas_bfloat16EviT5_lT_lS5_lS6_liPT4_
		.amdhsa_group_segment_fixed_size 0
		.amdhsa_private_segment_fixed_size 0
		.amdhsa_kernarg_size 88
		.amdhsa_user_sgpr_count 6
		.amdhsa_user_sgpr_private_segment_buffer 1
		.amdhsa_user_sgpr_dispatch_ptr 0
		.amdhsa_user_sgpr_queue_ptr 0
		.amdhsa_user_sgpr_kernarg_segment_ptr 1
		.amdhsa_user_sgpr_dispatch_id 0
		.amdhsa_user_sgpr_flat_scratch_init 0
		.amdhsa_user_sgpr_kernarg_preload_length 0
		.amdhsa_user_sgpr_kernarg_preload_offset 0
		.amdhsa_user_sgpr_private_segment_size 0
		.amdhsa_uses_dynamic_stack 0
		.amdhsa_system_sgpr_private_segment_wavefront_offset 0
		.amdhsa_system_sgpr_workgroup_id_x 1
		.amdhsa_system_sgpr_workgroup_id_y 0
		.amdhsa_system_sgpr_workgroup_id_z 0
		.amdhsa_system_sgpr_workgroup_info 0
		.amdhsa_system_vgpr_workitem_id 1
		.amdhsa_next_free_vgpr 20
		.amdhsa_next_free_sgpr 20
		.amdhsa_accum_offset 20
		.amdhsa_reserve_vcc 1
		.amdhsa_reserve_flat_scratch 0
		.amdhsa_float_round_mode_32 0
		.amdhsa_float_round_mode_16_64 0
		.amdhsa_float_denorm_mode_32 3
		.amdhsa_float_denorm_mode_16_64 3
		.amdhsa_dx10_clamp 1
		.amdhsa_ieee_mode 1
		.amdhsa_fp16_overflow 0
		.amdhsa_tg_split 0
		.amdhsa_exception_fp_ieee_invalid_op 0
		.amdhsa_exception_fp_denorm_src 0
		.amdhsa_exception_fp_ieee_div_zero 0
		.amdhsa_exception_fp_ieee_overflow 0
		.amdhsa_exception_fp_ieee_underflow 0
		.amdhsa_exception_fp_ieee_inexact 0
		.amdhsa_exception_int_div_zero 0
	.end_amdhsa_kernel
	.section	.text._ZL28rocblas_dot_batched_4_kernelIlLi64ELi4ELb1EffPKPK16rocblas_bfloat16EviT5_lT_lS5_lS6_liPT4_,"axG",@progbits,_ZL28rocblas_dot_batched_4_kernelIlLi64ELi4ELb1EffPKPK16rocblas_bfloat16EviT5_lT_lS5_lS6_liPT4_,comdat
.Lfunc_end319:
	.size	_ZL28rocblas_dot_batched_4_kernelIlLi64ELi4ELb1EffPKPK16rocblas_bfloat16EviT5_lT_lS5_lS6_liPT4_, .Lfunc_end319-_ZL28rocblas_dot_batched_4_kernelIlLi64ELi4ELb1EffPKPK16rocblas_bfloat16EviT5_lT_lS5_lS6_liPT4_
                                        ; -- End function
	.section	.AMDGPU.csdata,"",@progbits
; Kernel info:
; codeLenInByte = 700
; NumSgprs: 24
; NumVgprs: 20
; NumAgprs: 0
; TotalNumVgprs: 20
; ScratchSize: 0
; MemoryBound: 0
; FloatMode: 240
; IeeeMode: 1
; LDSByteSize: 0 bytes/workgroup (compile time only)
; SGPRBlocks: 2
; VGPRBlocks: 2
; NumSGPRsForWavesPerEU: 24
; NumVGPRsForWavesPerEU: 20
; AccumOffset: 20
; Occupancy: 8
; WaveLimiterHint : 0
; COMPUTE_PGM_RSRC2:SCRATCH_EN: 0
; COMPUTE_PGM_RSRC2:USER_SGPR: 6
; COMPUTE_PGM_RSRC2:TRAP_HANDLER: 0
; COMPUTE_PGM_RSRC2:TGID_X_EN: 1
; COMPUTE_PGM_RSRC2:TGID_Y_EN: 0
; COMPUTE_PGM_RSRC2:TGID_Z_EN: 0
; COMPUTE_PGM_RSRC2:TIDIG_COMP_CNT: 1
; COMPUTE_PGM_RSRC3_GFX90A:ACCUM_OFFSET: 4
; COMPUTE_PGM_RSRC3_GFX90A:TG_SPLIT: 0
	.section	.text._ZL26rocblas_dot_kernel_inc1by2ILb1ELi1024ELi32ELb1EfPKPK16rocblas_bfloat16fEviT4_llS5_lliPT5_PT3_,"axG",@progbits,_ZL26rocblas_dot_kernel_inc1by2ILb1ELi1024ELi32ELb1EfPKPK16rocblas_bfloat16fEviT4_llS5_lliPT5_PT3_,comdat
	.globl	_ZL26rocblas_dot_kernel_inc1by2ILb1ELi1024ELi32ELb1EfPKPK16rocblas_bfloat16fEviT4_llS5_lliPT5_PT3_ ; -- Begin function _ZL26rocblas_dot_kernel_inc1by2ILb1ELi1024ELi32ELb1EfPKPK16rocblas_bfloat16fEviT4_llS5_lliPT5_PT3_
	.p2align	8
	.type	_ZL26rocblas_dot_kernel_inc1by2ILb1ELi1024ELi32ELb1EfPKPK16rocblas_bfloat16fEviT4_llS5_lliPT5_PT3_,@function
_ZL26rocblas_dot_kernel_inc1by2ILb1ELi1024ELi32ELb1EfPKPK16rocblas_bfloat16fEviT4_llS5_lliPT5_PT3_: ; @_ZL26rocblas_dot_kernel_inc1by2ILb1ELi1024ELi32ELb1EfPKPK16rocblas_bfloat16fEviT4_llS5_lliPT5_PT3_
; %bb.0:
	s_load_dword s20, s[4:5], 0x0
	s_load_dwordx4 s[0:3], s[4:5], 0x8
	s_load_dwordx2 s[12:13], s[4:5], 0x48
	s_load_dwordx4 s[8:11], s[4:5], 0x20
	s_mov_b32 s6, s7
	s_mov_b32 s7, 0
	s_lshl_b64 s[14:15], s[6:7], 3
	s_waitcnt lgkmcnt(0)
	s_add_u32 s0, s0, s14
	s_addc_u32 s1, s1, s15
	s_load_dwordx2 s[4:5], s[0:1], 0x0
	s_add_u32 s0, s8, s14
	s_addc_u32 s1, s9, s15
	s_load_dwordx2 s[14:15], s[0:1], 0x0
	v_lshlrev_b32_e32 v6, 1, v0
	s_add_i32 s8, s20, -1
	v_cmp_gt_i32_e32 vcc, s8, v6
	v_mov_b32_e32 v1, 0
	s_and_saveexec_b64 s[16:17], vcc
	s_cbranch_execz .LBB320_4
; %bb.1:
	s_lshl_b64 s[0:1], s[10:11], 1
	s_waitcnt lgkmcnt(0)
	s_add_u32 s0, s14, s0
	v_lshlrev_b32_e32 v4, 2, v0
	s_addc_u32 s1, s15, s1
	v_mov_b32_e32 v3, s1
	v_add_co_u32_e32 v2, vcc, s0, v4
	s_lshl_b64 s[0:1], s[2:3], 1
	s_add_u32 s0, s4, s0
	v_addc_co_u32_e32 v3, vcc, 0, v3, vcc
	s_addc_u32 s1, s5, s1
	v_mov_b32_e32 v5, s1
	v_add_co_u32_e32 v4, vcc, s0, v4
	v_mov_b32_e32 v1, 0
	v_addc_co_u32_e32 v5, vcc, 0, v5, vcc
	s_mov_b64 s[18:19], 0
	s_mov_b32 s9, s7
.LBB320_2:                              ; =>This Inner Loop Header: Depth=1
	global_load_dword v7, v[2:3], off
	global_load_dword v10, v[4:5], off
	s_add_i32 s21, s9, 1
	v_add_u32_e32 v6, 0x800, v6
	s_cmp_gt_u32 s9, 30
	v_add_co_u32_e32 v2, vcc, 0x1000, v2
	v_cmp_le_i32_e64 s[0:1], s8, v6
	s_cselect_b64 s[22:23], -1, 0
	v_addc_co_u32_e32 v3, vcc, 0, v3, vcc
	s_or_b64 s[0:1], s[22:23], s[0:1]
	v_add_co_u32_e32 v4, vcc, 0x1000, v4
	s_and_b64 s[0:1], exec, s[0:1]
	s_mov_b32 s9, s21
	v_addc_co_u32_e32 v5, vcc, 0, v5, vcc
	s_or_b64 s[18:19], s[0:1], s[18:19]
	s_waitcnt vmcnt(1)
	v_and_b32_e32 v9, 0xffff0000, v7
	v_lshlrev_b32_e32 v8, 16, v7
	s_waitcnt vmcnt(0)
	v_and_b32_e32 v11, 0xffff0000, v10
	v_lshlrev_b32_e32 v10, 16, v10
	v_pk_mul_f32 v[8:9], v[8:9], v[10:11]
	v_add_f32_e32 v1, v1, v8
	v_add_f32_e32 v1, v1, v9
	s_andn2_b64 exec, exec, s[18:19]
	s_cbranch_execnz .LBB320_2
; %bb.3:
	s_or_b64 exec, exec, s[18:19]
.LBB320_4:
	s_or_b64 exec, exec, s[16:17]
	s_bitcmp1_b32 s20, 0
	s_cselect_b64 s[0:1], -1, 0
	v_cmp_eq_u32_e32 vcc, s8, v6
	s_and_b64 s[16:17], s[0:1], vcc
	s_and_saveexec_b64 s[0:1], s[16:17]
	s_cbranch_execz .LBB320_6
; %bb.5:
	s_lshl_b64 s[2:3], s[2:3], 1
	s_waitcnt lgkmcnt(0)
	s_add_u32 s16, s4, s2
	s_addc_u32 s17, s5, s3
	s_lshl_b64 s[2:3], s[10:11], 1
	s_add_u32 s4, s14, s2
	s_mov_b32 s9, 0
	s_addc_u32 s5, s15, s3
	s_lshl_b64 s[2:3], s[8:9], 1
	s_add_u32 s4, s4, s2
	s_addc_u32 s5, s5, s3
	v_mov_b32_e32 v2, 0
	s_add_u32 s2, s16, s2
	s_addc_u32 s3, s17, s3
	global_load_ushort v3, v2, s[4:5]
	global_load_ushort v4, v2, s[2:3]
	s_waitcnt vmcnt(1)
	v_lshlrev_b32_e32 v2, 16, v3
	s_waitcnt vmcnt(0)
	v_lshlrev_b32_e32 v3, 16, v4
	v_fmac_f32_e32 v1, v3, v2
.LBB320_6:
	s_or_b64 exec, exec, s[0:1]
	v_and_b32_e32 v3, 63, v0
	v_cmp_gt_u32_e32 vcc, 64, v0
	v_lshlrev_b32_e32 v2, 2, v3
	s_and_saveexec_b64 s[0:1], vcc
	s_cbranch_execz .LBB320_8
; %bb.7:
	v_mov_b32_e32 v4, 0
	ds_write_b32 v2, v4
.LBB320_8:
	s_or_b64 exec, exec, s[0:1]
	v_mbcnt_lo_u32_b32 v4, -1, 0
	v_mbcnt_hi_u32_b32 v6, -1, v4
	v_and_b32_e32 v7, 63, v6
	v_cmp_gt_u32_e64 s[0:1], 32, v7
	v_cndmask_b32_e64 v4, 0, 1, s[0:1]
	v_lshlrev_b32_e32 v4, 5, v4
	v_add_lshl_u32 v4, v4, v6, 2
	ds_bpermute_b32 v4, v4, v1
	v_cmp_gt_u32_e64 s[0:1], 48, v7
	v_cndmask_b32_e64 v5, 0, 1, s[0:1]
	v_lshlrev_b32_e32 v5, 4, v5
	v_cmp_gt_u32_e64 s[0:1], 56, v7
	s_waitcnt lgkmcnt(0)
	v_add_f32_e32 v1, v1, v4
	v_add_lshl_u32 v4, v5, v6, 2
	ds_bpermute_b32 v4, v4, v1
	v_cndmask_b32_e64 v5, 0, 1, s[0:1]
	v_lshlrev_b32_e32 v5, 3, v5
	v_cmp_gt_u32_e64 s[0:1], 60, v7
	v_cndmask_b32_e64 v8, 0, 1, s[0:1]
	s_waitcnt lgkmcnt(0)
	v_add_f32_e32 v4, v1, v4
	v_add_lshl_u32 v1, v5, v6, 2
	ds_bpermute_b32 v5, v1, v4
	v_lshlrev_b32_e32 v8, 2, v8
	v_cmp_gt_u32_e64 s[0:1], 62, v7
	v_cndmask_b32_e64 v9, 0, 1, s[0:1]
	v_lshlrev_b32_e32 v9, 1, v9
	s_waitcnt lgkmcnt(0)
	v_add_f32_e32 v5, v4, v5
	v_add_lshl_u32 v4, v8, v6, 2
	ds_bpermute_b32 v8, v4, v5
	v_cmp_ne_u32_e64 s[0:1], 63, v7
	s_waitcnt lgkmcnt(0)
	s_barrier
	v_add_f32_e32 v8, v5, v8
	v_add_lshl_u32 v5, v9, v6, 2
	ds_bpermute_b32 v9, v5, v8
	v_addc_co_u32_e64 v6, s[0:1], 0, v6, s[0:1]
	v_lshlrev_b32_e32 v6, 2, v6
	v_cmp_eq_u32_e64 s[0:1], 0, v3
	s_waitcnt lgkmcnt(0)
	v_add_f32_e32 v7, v8, v9
	ds_bpermute_b32 v8, v6, v7
	s_and_saveexec_b64 s[2:3], s[0:1]
	s_cbranch_execz .LBB320_10
; %bb.9:
	s_waitcnt lgkmcnt(0)
	v_add_f32_e32 v3, v7, v8
	v_lshrrev_b32_e32 v7, 4, v0
	v_and_b32_e32 v7, 60, v7
	ds_write_b32 v7, v3
.LBB320_10:
	s_or_b64 exec, exec, s[2:3]
	v_cmp_gt_u32_e64 s[0:1], 16, v0
	v_mov_b32_e32 v3, 0
	s_waitcnt lgkmcnt(0)
	s_barrier
	s_and_saveexec_b64 s[2:3], s[0:1]
	s_cbranch_execnz .LBB320_14
; %bb.11:
	s_or_b64 exec, exec, s[2:3]
	s_and_saveexec_b64 s[0:1], vcc
	s_cbranch_execnz .LBB320_15
.LBB320_12:
	s_or_b64 exec, exec, s[0:1]
	v_cmp_eq_u32_e32 vcc, 0, v0
	s_and_saveexec_b64 s[0:1], vcc
	s_cbranch_execnz .LBB320_16
.LBB320_13:
	s_endpgm
.LBB320_14:
	ds_read_b32 v3, v2
	s_or_b64 exec, exec, s[2:3]
	s_and_saveexec_b64 s[0:1], vcc
	s_cbranch_execz .LBB320_12
.LBB320_15:
	s_waitcnt lgkmcnt(0)
	ds_bpermute_b32 v1, v1, v3
	s_waitcnt lgkmcnt(0)
	v_add_f32_e32 v1, v3, v1
	ds_bpermute_b32 v2, v4, v1
	s_waitcnt lgkmcnt(0)
	v_add_f32_e32 v1, v1, v2
	;; [unrolled: 3-line block ×4, first 2 shown]
	s_or_b64 exec, exec, s[0:1]
	v_cmp_eq_u32_e32 vcc, 0, v0
	s_and_saveexec_b64 s[0:1], vcc
	s_cbranch_execz .LBB320_13
.LBB320_16:
	s_lshl_b64 s[0:1], s[6:7], 2
	s_add_u32 s0, s12, s0
	s_addc_u32 s1, s13, s1
	v_mov_b32_e32 v0, 0
	s_waitcnt lgkmcnt(0)
	global_store_dword v0, v3, s[0:1]
	s_endpgm
	.section	.rodata,"a",@progbits
	.p2align	6, 0x0
	.amdhsa_kernel _ZL26rocblas_dot_kernel_inc1by2ILb1ELi1024ELi32ELb1EfPKPK16rocblas_bfloat16fEviT4_llS5_lliPT5_PT3_
		.amdhsa_group_segment_fixed_size 256
		.amdhsa_private_segment_fixed_size 0
		.amdhsa_kernarg_size 80
		.amdhsa_user_sgpr_count 6
		.amdhsa_user_sgpr_private_segment_buffer 1
		.amdhsa_user_sgpr_dispatch_ptr 0
		.amdhsa_user_sgpr_queue_ptr 0
		.amdhsa_user_sgpr_kernarg_segment_ptr 1
		.amdhsa_user_sgpr_dispatch_id 0
		.amdhsa_user_sgpr_flat_scratch_init 0
		.amdhsa_user_sgpr_kernarg_preload_length 0
		.amdhsa_user_sgpr_kernarg_preload_offset 0
		.amdhsa_user_sgpr_private_segment_size 0
		.amdhsa_uses_dynamic_stack 0
		.amdhsa_system_sgpr_private_segment_wavefront_offset 0
		.amdhsa_system_sgpr_workgroup_id_x 1
		.amdhsa_system_sgpr_workgroup_id_y 0
		.amdhsa_system_sgpr_workgroup_id_z 1
		.amdhsa_system_sgpr_workgroup_info 0
		.amdhsa_system_vgpr_workitem_id 0
		.amdhsa_next_free_vgpr 12
		.amdhsa_next_free_sgpr 24
		.amdhsa_accum_offset 12
		.amdhsa_reserve_vcc 1
		.amdhsa_reserve_flat_scratch 0
		.amdhsa_float_round_mode_32 0
		.amdhsa_float_round_mode_16_64 0
		.amdhsa_float_denorm_mode_32 3
		.amdhsa_float_denorm_mode_16_64 3
		.amdhsa_dx10_clamp 1
		.amdhsa_ieee_mode 1
		.amdhsa_fp16_overflow 0
		.amdhsa_tg_split 0
		.amdhsa_exception_fp_ieee_invalid_op 0
		.amdhsa_exception_fp_denorm_src 0
		.amdhsa_exception_fp_ieee_div_zero 0
		.amdhsa_exception_fp_ieee_overflow 0
		.amdhsa_exception_fp_ieee_underflow 0
		.amdhsa_exception_fp_ieee_inexact 0
		.amdhsa_exception_int_div_zero 0
	.end_amdhsa_kernel
	.section	.text._ZL26rocblas_dot_kernel_inc1by2ILb1ELi1024ELi32ELb1EfPKPK16rocblas_bfloat16fEviT4_llS5_lliPT5_PT3_,"axG",@progbits,_ZL26rocblas_dot_kernel_inc1by2ILb1ELi1024ELi32ELb1EfPKPK16rocblas_bfloat16fEviT4_llS5_lliPT5_PT3_,comdat
.Lfunc_end320:
	.size	_ZL26rocblas_dot_kernel_inc1by2ILb1ELi1024ELi32ELb1EfPKPK16rocblas_bfloat16fEviT4_llS5_lliPT5_PT3_, .Lfunc_end320-_ZL26rocblas_dot_kernel_inc1by2ILb1ELi1024ELi32ELb1EfPKPK16rocblas_bfloat16fEviT4_llS5_lliPT5_PT3_
                                        ; -- End function
	.section	.AMDGPU.csdata,"",@progbits
; Kernel info:
; codeLenInByte = 988
; NumSgprs: 28
; NumVgprs: 12
; NumAgprs: 0
; TotalNumVgprs: 12
; ScratchSize: 0
; MemoryBound: 0
; FloatMode: 240
; IeeeMode: 1
; LDSByteSize: 256 bytes/workgroup (compile time only)
; SGPRBlocks: 3
; VGPRBlocks: 1
; NumSGPRsForWavesPerEU: 28
; NumVGPRsForWavesPerEU: 12
; AccumOffset: 12
; Occupancy: 8
; WaveLimiterHint : 1
; COMPUTE_PGM_RSRC2:SCRATCH_EN: 0
; COMPUTE_PGM_RSRC2:USER_SGPR: 6
; COMPUTE_PGM_RSRC2:TRAP_HANDLER: 0
; COMPUTE_PGM_RSRC2:TGID_X_EN: 1
; COMPUTE_PGM_RSRC2:TGID_Y_EN: 0
; COMPUTE_PGM_RSRC2:TGID_Z_EN: 1
; COMPUTE_PGM_RSRC2:TIDIG_COMP_CNT: 0
; COMPUTE_PGM_RSRC3_GFX90A:ACCUM_OFFSET: 2
; COMPUTE_PGM_RSRC3_GFX90A:TG_SPLIT: 0
	.section	.text._ZL18rocblas_dot_kernelIlLb1ELi1024ELi32ELb1EfPKPK16rocblas_bfloat16fEviT5_lT_lS5_lS6_liPT6_PT4_,"axG",@progbits,_ZL18rocblas_dot_kernelIlLb1ELi1024ELi32ELb1EfPKPK16rocblas_bfloat16fEviT5_lT_lS5_lS6_liPT6_PT4_,comdat
	.globl	_ZL18rocblas_dot_kernelIlLb1ELi1024ELi32ELb1EfPKPK16rocblas_bfloat16fEviT5_lT_lS5_lS6_liPT6_PT4_ ; -- Begin function _ZL18rocblas_dot_kernelIlLb1ELi1024ELi32ELb1EfPKPK16rocblas_bfloat16fEviT5_lT_lS5_lS6_liPT6_PT4_
	.p2align	8
	.type	_ZL18rocblas_dot_kernelIlLb1ELi1024ELi32ELb1EfPKPK16rocblas_bfloat16fEviT5_lT_lS5_lS6_liPT6_PT4_,@function
_ZL18rocblas_dot_kernelIlLb1ELi1024ELi32ELb1EfPKPK16rocblas_bfloat16fEviT5_lT_lS5_lS6_liPT6_PT4_: ; @_ZL18rocblas_dot_kernelIlLb1ELi1024ELi32ELb1EfPKPK16rocblas_bfloat16fEviT5_lT_lS5_lS6_liPT6_PT4_
; %bb.0:
	s_load_dword s16, s[4:5], 0x0
	s_load_dwordx2 s[12:13], s[4:5], 0x58
	s_mov_b32 s6, s7
	s_mov_b32 s7, 0
	v_mov_b32_e32 v6, 0
	s_waitcnt lgkmcnt(0)
	v_cmp_gt_i32_e32 vcc, s16, v0
	s_and_saveexec_b64 s[14:15], vcc
	s_cbranch_execz .LBB321_4
; %bb.1:
	s_load_dwordx2 s[18:19], s[4:5], 0x8
	s_load_dwordx4 s[8:11], s[4:5], 0x10
	s_load_dwordx2 s[20:21], s[4:5], 0x28
	s_load_dwordx4 s[0:3], s[4:5], 0x30
	s_lshl_b64 s[22:23], s[6:7], 3
	s_waitcnt lgkmcnt(0)
	s_add_u32 s18, s18, s22
	s_addc_u32 s19, s19, s23
	s_load_dword s17, s[4:5], 0x60
	s_load_dwordx2 s[24:25], s[18:19], 0x0
	s_add_u32 s4, s20, s22
	s_addc_u32 s5, s21, s23
	s_load_dwordx2 s[18:19], s[4:5], 0x0
	v_mad_u64_u32 v[2:3], s[4:5], s10, v0, 0
	v_mov_b32_e32 v4, v3
	v_mad_u64_u32 v[4:5], s[4:5], s11, v0, v[4:5]
	s_waitcnt lgkmcnt(0)
	s_lshl_b32 s17, s17, 10
	s_lshl_b64 s[4:5], s[8:9], 1
	v_mov_b32_e32 v3, v4
	s_add_u32 s4, s24, s4
	v_lshlrev_b64 v[2:3], 1, v[2:3]
	s_addc_u32 s5, s25, s5
	s_ashr_i32 s20, s17, 31
	v_mov_b32_e32 v4, s5
	v_add_co_u32_e32 v2, vcc, s4, v2
	s_mul_i32 s4, s10, s20
	s_mul_hi_u32 s5, s10, s17
	v_addc_co_u32_e32 v3, vcc, v4, v3, vcc
	s_add_i32 s4, s5, s4
	s_mul_i32 s5, s11, s17
	v_mad_u64_u32 v[4:5], s[8:9], s2, v0, 0
	s_add_i32 s5, s4, s5
	s_mul_i32 s4, s10, s17
	v_mov_b32_e32 v6, v5
	s_lshl_b64 s[4:5], s[4:5], 1
	v_mad_u64_u32 v[6:7], s[8:9], s3, v0, v[6:7]
	s_lshl_b64 s[0:1], s[0:1], 1
	v_mov_b32_e32 v5, v6
	s_add_u32 s0, s18, s0
	v_lshlrev_b64 v[4:5], 1, v[4:5]
	s_addc_u32 s1, s19, s1
	v_mov_b32_e32 v6, s1
	v_add_co_u32_e32 v4, vcc, s0, v4
	s_mul_i32 s0, s2, s20
	s_mul_hi_u32 s1, s2, s17
	s_add_i32 s0, s1, s0
	s_mul_i32 s1, s3, s17
	s_add_i32 s1, s0, s1
	s_mul_i32 s0, s2, s17
	s_lshl_b64 s[8:9], s[0:1], 1
	v_or_b32_e32 v1, s17, v0
	v_addc_co_u32_e32 v5, vcc, v6, v5, vcc
	s_mov_b64 s[2:3], 0
	v_mov_b32_e32 v6, 0
	v_mov_b32_e32 v7, s5
	;; [unrolled: 1-line block ×3, first 2 shown]
	s_mov_b32 s5, s7
.LBB321_2:                              ; =>This Inner Loop Header: Depth=1
	global_load_ushort v9, v[4:5], off
	global_load_ushort v10, v[2:3], off
	v_add_co_u32_e64 v2, s[0:1], s4, v2
	v_addc_co_u32_e64 v3, s[0:1], v3, v7, s[0:1]
	s_add_i32 s9, s5, 1
	v_add_co_u32_e64 v4, s[0:1], s8, v4
	v_addc_co_u32_e64 v5, s[0:1], v5, v8, s[0:1]
	s_cmp_gt_u32 s5, 30
	v_cmp_le_i32_e32 vcc, s16, v1
	s_cselect_b64 s[0:1], -1, 0
	s_or_b64 s[0:1], s[0:1], vcc
	s_and_b64 s[0:1], exec, s[0:1]
	v_add_u32_e32 v1, s17, v1
	s_mov_b32 s5, s9
	s_or_b64 s[2:3], s[0:1], s[2:3]
	s_waitcnt vmcnt(1)
	v_lshlrev_b32_e32 v9, 16, v9
	s_waitcnt vmcnt(0)
	v_lshlrev_b32_e32 v10, 16, v10
	v_fmac_f32_e32 v6, v10, v9
	s_andn2_b64 exec, exec, s[2:3]
	s_cbranch_execnz .LBB321_2
; %bb.3:
	s_or_b64 exec, exec, s[2:3]
.LBB321_4:
	s_or_b64 exec, exec, s[14:15]
	v_and_b32_e32 v2, 63, v0
	v_cmp_gt_u32_e32 vcc, 64, v0
	v_lshlrev_b32_e32 v1, 2, v2
	s_and_saveexec_b64 s[0:1], vcc
	s_cbranch_execz .LBB321_6
; %bb.5:
	v_mov_b32_e32 v3, 0
	ds_write_b32 v1, v3
.LBB321_6:
	s_or_b64 exec, exec, s[0:1]
	v_mbcnt_lo_u32_b32 v3, -1, 0
	v_mbcnt_hi_u32_b32 v7, -1, v3
	v_and_b32_e32 v8, 63, v7
	v_cmp_gt_u32_e64 s[0:1], 32, v8
	v_cndmask_b32_e64 v3, 0, 1, s[0:1]
	v_lshlrev_b32_e32 v3, 5, v3
	v_add_lshl_u32 v3, v3, v7, 2
	ds_bpermute_b32 v3, v3, v6
	v_cmp_gt_u32_e64 s[0:1], 48, v8
	v_cndmask_b32_e64 v4, 0, 1, s[0:1]
	v_lshlrev_b32_e32 v4, 4, v4
	v_add_lshl_u32 v4, v4, v7, 2
	s_waitcnt lgkmcnt(0)
	v_add_f32_e32 v3, v6, v3
	ds_bpermute_b32 v4, v4, v3
	v_cmp_gt_u32_e64 s[0:1], 56, v8
	v_cndmask_b32_e64 v5, 0, 1, s[0:1]
	v_lshlrev_b32_e32 v5, 3, v5
	v_cmp_gt_u32_e64 s[0:1], 60, v8
	s_waitcnt lgkmcnt(0)
	v_add_f32_e32 v4, v3, v4
	v_add_lshl_u32 v3, v5, v7, 2
	ds_bpermute_b32 v5, v3, v4
	v_cndmask_b32_e64 v6, 0, 1, s[0:1]
	v_lshlrev_b32_e32 v6, 2, v6
	v_cmp_gt_u32_e64 s[0:1], 62, v8
	v_cndmask_b32_e64 v9, 0, 1, s[0:1]
	s_waitcnt lgkmcnt(0)
	v_add_f32_e32 v5, v4, v5
	v_add_lshl_u32 v4, v6, v7, 2
	ds_bpermute_b32 v6, v4, v5
	v_lshlrev_b32_e32 v9, 1, v9
	v_cmp_ne_u32_e64 s[0:1], 63, v8
	v_addc_co_u32_e64 v8, s[0:1], 0, v7, s[0:1]
	s_waitcnt lgkmcnt(0)
	v_add_f32_e32 v6, v5, v6
	v_add_lshl_u32 v5, v9, v7, 2
	ds_bpermute_b32 v9, v5, v6
	v_cmp_eq_u32_e64 s[0:1], 0, v2
	s_waitcnt lgkmcnt(0)
	s_barrier
	v_add_f32_e32 v7, v6, v9
	v_lshlrev_b32_e32 v6, 2, v8
	ds_bpermute_b32 v8, v6, v7
	s_and_saveexec_b64 s[2:3], s[0:1]
	s_cbranch_execz .LBB321_8
; %bb.7:
	s_waitcnt lgkmcnt(0)
	v_add_f32_e32 v2, v7, v8
	v_lshrrev_b32_e32 v7, 4, v0
	v_and_b32_e32 v7, 60, v7
	ds_write_b32 v7, v2
.LBB321_8:
	s_or_b64 exec, exec, s[2:3]
	v_cmp_gt_u32_e64 s[0:1], 16, v0
	v_mov_b32_e32 v2, 0
	s_waitcnt lgkmcnt(0)
	s_barrier
	s_and_saveexec_b64 s[2:3], s[0:1]
	s_cbranch_execnz .LBB321_12
; %bb.9:
	s_or_b64 exec, exec, s[2:3]
	s_and_saveexec_b64 s[0:1], vcc
	s_cbranch_execnz .LBB321_13
.LBB321_10:
	s_or_b64 exec, exec, s[0:1]
	v_cmp_eq_u32_e32 vcc, 0, v0
	s_and_saveexec_b64 s[0:1], vcc
	s_cbranch_execnz .LBB321_14
.LBB321_11:
	s_endpgm
.LBB321_12:
	ds_read_b32 v2, v1
	s_or_b64 exec, exec, s[2:3]
	s_and_saveexec_b64 s[0:1], vcc
	s_cbranch_execz .LBB321_10
.LBB321_13:
	s_waitcnt lgkmcnt(0)
	ds_bpermute_b32 v1, v3, v2
	s_waitcnt lgkmcnt(0)
	v_add_f32_e32 v1, v2, v1
	ds_bpermute_b32 v2, v4, v1
	s_waitcnt lgkmcnt(0)
	v_add_f32_e32 v1, v1, v2
	;; [unrolled: 3-line block ×4, first 2 shown]
	s_or_b64 exec, exec, s[0:1]
	v_cmp_eq_u32_e32 vcc, 0, v0
	s_and_saveexec_b64 s[0:1], vcc
	s_cbranch_execz .LBB321_11
.LBB321_14:
	s_lshl_b64 s[0:1], s[6:7], 2
	s_add_u32 s0, s12, s0
	s_addc_u32 s1, s13, s1
	v_mov_b32_e32 v0, 0
	s_waitcnt lgkmcnt(0)
	global_store_dword v0, v2, s[0:1]
	s_endpgm
	.section	.rodata,"a",@progbits
	.p2align	6, 0x0
	.amdhsa_kernel _ZL18rocblas_dot_kernelIlLb1ELi1024ELi32ELb1EfPKPK16rocblas_bfloat16fEviT5_lT_lS5_lS6_liPT6_PT4_
		.amdhsa_group_segment_fixed_size 256
		.amdhsa_private_segment_fixed_size 0
		.amdhsa_kernarg_size 352
		.amdhsa_user_sgpr_count 6
		.amdhsa_user_sgpr_private_segment_buffer 1
		.amdhsa_user_sgpr_dispatch_ptr 0
		.amdhsa_user_sgpr_queue_ptr 0
		.amdhsa_user_sgpr_kernarg_segment_ptr 1
		.amdhsa_user_sgpr_dispatch_id 0
		.amdhsa_user_sgpr_flat_scratch_init 0
		.amdhsa_user_sgpr_kernarg_preload_length 0
		.amdhsa_user_sgpr_kernarg_preload_offset 0
		.amdhsa_user_sgpr_private_segment_size 0
		.amdhsa_uses_dynamic_stack 0
		.amdhsa_system_sgpr_private_segment_wavefront_offset 0
		.amdhsa_system_sgpr_workgroup_id_x 1
		.amdhsa_system_sgpr_workgroup_id_y 0
		.amdhsa_system_sgpr_workgroup_id_z 1
		.amdhsa_system_sgpr_workgroup_info 0
		.amdhsa_system_vgpr_workitem_id 0
		.amdhsa_next_free_vgpr 11
		.amdhsa_next_free_sgpr 26
		.amdhsa_accum_offset 12
		.amdhsa_reserve_vcc 1
		.amdhsa_reserve_flat_scratch 0
		.amdhsa_float_round_mode_32 0
		.amdhsa_float_round_mode_16_64 0
		.amdhsa_float_denorm_mode_32 3
		.amdhsa_float_denorm_mode_16_64 3
		.amdhsa_dx10_clamp 1
		.amdhsa_ieee_mode 1
		.amdhsa_fp16_overflow 0
		.amdhsa_tg_split 0
		.amdhsa_exception_fp_ieee_invalid_op 0
		.amdhsa_exception_fp_denorm_src 0
		.amdhsa_exception_fp_ieee_div_zero 0
		.amdhsa_exception_fp_ieee_overflow 0
		.amdhsa_exception_fp_ieee_underflow 0
		.amdhsa_exception_fp_ieee_inexact 0
		.amdhsa_exception_int_div_zero 0
	.end_amdhsa_kernel
	.section	.text._ZL18rocblas_dot_kernelIlLb1ELi1024ELi32ELb1EfPKPK16rocblas_bfloat16fEviT5_lT_lS5_lS6_liPT6_PT4_,"axG",@progbits,_ZL18rocblas_dot_kernelIlLb1ELi1024ELi32ELb1EfPKPK16rocblas_bfloat16fEviT5_lT_lS5_lS6_liPT6_PT4_,comdat
.Lfunc_end321:
	.size	_ZL18rocblas_dot_kernelIlLb1ELi1024ELi32ELb1EfPKPK16rocblas_bfloat16fEviT5_lT_lS5_lS6_liPT6_PT4_, .Lfunc_end321-_ZL18rocblas_dot_kernelIlLb1ELi1024ELi32ELb1EfPKPK16rocblas_bfloat16fEviT5_lT_lS5_lS6_liPT6_PT4_
                                        ; -- End function
	.section	.AMDGPU.csdata,"",@progbits
; Kernel info:
; codeLenInByte = 996
; NumSgprs: 30
; NumVgprs: 11
; NumAgprs: 0
; TotalNumVgprs: 11
; ScratchSize: 0
; MemoryBound: 0
; FloatMode: 240
; IeeeMode: 1
; LDSByteSize: 256 bytes/workgroup (compile time only)
; SGPRBlocks: 3
; VGPRBlocks: 1
; NumSGPRsForWavesPerEU: 30
; NumVGPRsForWavesPerEU: 11
; AccumOffset: 12
; Occupancy: 8
; WaveLimiterHint : 0
; COMPUTE_PGM_RSRC2:SCRATCH_EN: 0
; COMPUTE_PGM_RSRC2:USER_SGPR: 6
; COMPUTE_PGM_RSRC2:TRAP_HANDLER: 0
; COMPUTE_PGM_RSRC2:TGID_X_EN: 1
; COMPUTE_PGM_RSRC2:TGID_Y_EN: 0
; COMPUTE_PGM_RSRC2:TGID_Z_EN: 1
; COMPUTE_PGM_RSRC2:TIDIG_COMP_CNT: 0
; COMPUTE_PGM_RSRC3_GFX90A:ACCUM_OFFSET: 2
; COMPUTE_PGM_RSRC3_GFX90A:TG_SPLIT: 0
	.section	.text._ZL24rocblas_dot_kernel_magsqIlLb1ELi1024ELi32ELb1EfPKPK16rocblas_bfloat16fEviT5_lT_liPT6_PT4_,"axG",@progbits,_ZL24rocblas_dot_kernel_magsqIlLb1ELi1024ELi32ELb1EfPKPK16rocblas_bfloat16fEviT5_lT_liPT6_PT4_,comdat
	.globl	_ZL24rocblas_dot_kernel_magsqIlLb1ELi1024ELi32ELb1EfPKPK16rocblas_bfloat16fEviT5_lT_liPT6_PT4_ ; -- Begin function _ZL24rocblas_dot_kernel_magsqIlLb1ELi1024ELi32ELb1EfPKPK16rocblas_bfloat16fEviT5_lT_liPT6_PT4_
	.p2align	8
	.type	_ZL24rocblas_dot_kernel_magsqIlLb1ELi1024ELi32ELb1EfPKPK16rocblas_bfloat16fEviT5_lT_liPT6_PT4_,@function
_ZL24rocblas_dot_kernel_magsqIlLb1ELi1024ELi32ELb1EfPKPK16rocblas_bfloat16fEviT5_lT_liPT6_PT4_: ; @_ZL24rocblas_dot_kernel_magsqIlLb1ELi1024ELi32ELb1EfPKPK16rocblas_bfloat16fEviT5_lT_liPT6_PT4_
; %bb.0:
	s_mov_b32 s2, s7
	s_load_dword s12, s[4:5], 0x0
	s_load_dwordx2 s[6:7], s[4:5], 0x38
	s_mov_b32 s3, 0
	v_mov_b32_e32 v1, 0
	s_waitcnt lgkmcnt(0)
	v_cmp_gt_i32_e32 vcc, s12, v0
	s_and_saveexec_b64 s[8:9], vcc
	s_cbranch_execz .LBB322_4
; %bb.1:
	s_load_dwordx2 s[0:1], s[4:5], 0x8
	s_load_dword s10, s[4:5], 0x40
	s_load_dwordx4 s[16:19], s[4:5], 0x10
	s_lshl_b64 s[4:5], s[2:3], 3
	s_waitcnt lgkmcnt(0)
	s_add_u32 s0, s0, s4
	s_addc_u32 s1, s1, s5
	s_load_dwordx2 s[0:1], s[0:1], 0x0
	v_mad_u64_u32 v[2:3], s[4:5], s18, v0, 0
	v_mov_b32_e32 v6, v3
	v_mad_u64_u32 v[6:7], s[4:5], s19, v0, v[6:7]
	s_lshl_b32 s13, s10, 10
	v_mov_b32_e32 v3, v6
	s_lshl_b64 s[4:5], s[16:17], 1
	v_lshlrev_b64 v[2:3], 1, v[2:3]
	s_waitcnt lgkmcnt(0)
	s_add_u32 s0, s0, s4
	s_addc_u32 s1, s1, s5
	v_add_co_u32_e32 v2, vcc, s0, v2
	s_ashr_i32 s0, s13, 31
	v_mov_b32_e32 v1, s1
	s_mul_i32 s0, s18, s0
	s_mul_hi_u32 s1, s18, s13
	s_add_i32 s0, s1, s0
	s_mul_i32 s1, s19, s13
	s_add_i32 s1, s0, s1
	s_mul_i32 s0, s18, s13
	s_lshl_b64 s[10:11], s[0:1], 1
	v_or_b32_e32 v4, s13, v0
	v_addc_co_u32_e32 v3, vcc, v1, v3, vcc
	s_mov_b64 s[4:5], 0
	v_mov_b32_e32 v1, 0
	v_mov_b32_e32 v5, s11
	s_mov_b32 s11, s3
.LBB322_2:                              ; =>This Inner Loop Header: Depth=1
	global_load_ushort v6, v[2:3], off
	s_add_i32 s14, s11, 1
	v_add_co_u32_e64 v2, s[0:1], s10, v2
	v_addc_co_u32_e64 v3, s[0:1], v3, v5, s[0:1]
	s_cmp_gt_u32 s11, 30
	v_cmp_le_i32_e32 vcc, s12, v4
	s_cselect_b64 s[0:1], -1, 0
	s_or_b64 s[0:1], s[0:1], vcc
	s_and_b64 s[0:1], exec, s[0:1]
	v_add_u32_e32 v4, s13, v4
	s_mov_b32 s11, s14
	s_or_b64 s[4:5], s[0:1], s[4:5]
	s_waitcnt vmcnt(0)
	v_lshlrev_b32_e32 v6, 16, v6
	v_fmac_f32_e32 v1, v6, v6
	s_andn2_b64 exec, exec, s[4:5]
	s_cbranch_execnz .LBB322_2
; %bb.3:
	s_or_b64 exec, exec, s[4:5]
.LBB322_4:
	s_or_b64 exec, exec, s[8:9]
	v_and_b32_e32 v3, 63, v0
	v_cmp_gt_u32_e32 vcc, 64, v0
	v_lshlrev_b32_e32 v2, 2, v3
	s_and_saveexec_b64 s[0:1], vcc
	s_cbranch_execz .LBB322_6
; %bb.5:
	v_mov_b32_e32 v4, 0
	ds_write_b32 v2, v4
.LBB322_6:
	s_or_b64 exec, exec, s[0:1]
	v_mbcnt_lo_u32_b32 v4, -1, 0
	v_mbcnt_hi_u32_b32 v6, -1, v4
	v_and_b32_e32 v7, 63, v6
	v_cmp_gt_u32_e64 s[0:1], 32, v7
	v_cndmask_b32_e64 v4, 0, 1, s[0:1]
	v_lshlrev_b32_e32 v4, 5, v4
	v_add_lshl_u32 v4, v4, v6, 2
	ds_bpermute_b32 v4, v4, v1
	v_cmp_gt_u32_e64 s[0:1], 48, v7
	v_cndmask_b32_e64 v5, 0, 1, s[0:1]
	v_lshlrev_b32_e32 v5, 4, v5
	v_cmp_gt_u32_e64 s[0:1], 56, v7
	s_waitcnt lgkmcnt(0)
	v_add_f32_e32 v1, v1, v4
	v_add_lshl_u32 v4, v5, v6, 2
	ds_bpermute_b32 v4, v4, v1
	v_cndmask_b32_e64 v5, 0, 1, s[0:1]
	v_lshlrev_b32_e32 v5, 3, v5
	v_cmp_gt_u32_e64 s[0:1], 60, v7
	v_cndmask_b32_e64 v8, 0, 1, s[0:1]
	s_waitcnt lgkmcnt(0)
	v_add_f32_e32 v4, v1, v4
	v_add_lshl_u32 v1, v5, v6, 2
	ds_bpermute_b32 v5, v1, v4
	v_lshlrev_b32_e32 v8, 2, v8
	v_cmp_gt_u32_e64 s[0:1], 62, v7
	v_cndmask_b32_e64 v9, 0, 1, s[0:1]
	v_lshlrev_b32_e32 v9, 1, v9
	s_waitcnt lgkmcnt(0)
	v_add_f32_e32 v5, v4, v5
	v_add_lshl_u32 v4, v8, v6, 2
	ds_bpermute_b32 v8, v4, v5
	v_cmp_ne_u32_e64 s[0:1], 63, v7
	s_waitcnt lgkmcnt(0)
	s_barrier
	v_add_f32_e32 v8, v5, v8
	v_add_lshl_u32 v5, v9, v6, 2
	ds_bpermute_b32 v9, v5, v8
	v_addc_co_u32_e64 v6, s[0:1], 0, v6, s[0:1]
	v_lshlrev_b32_e32 v6, 2, v6
	v_cmp_eq_u32_e64 s[0:1], 0, v3
	s_waitcnt lgkmcnt(0)
	v_add_f32_e32 v7, v8, v9
	ds_bpermute_b32 v8, v6, v7
	s_and_saveexec_b64 s[4:5], s[0:1]
	s_cbranch_execz .LBB322_8
; %bb.7:
	s_waitcnt lgkmcnt(0)
	v_add_f32_e32 v3, v7, v8
	v_lshrrev_b32_e32 v7, 4, v0
	v_and_b32_e32 v7, 60, v7
	ds_write_b32 v7, v3
.LBB322_8:
	s_or_b64 exec, exec, s[4:5]
	v_cmp_gt_u32_e64 s[0:1], 16, v0
	v_mov_b32_e32 v3, 0
	s_waitcnt lgkmcnt(0)
	s_barrier
	s_and_saveexec_b64 s[4:5], s[0:1]
	s_cbranch_execnz .LBB322_12
; %bb.9:
	s_or_b64 exec, exec, s[4:5]
	s_and_saveexec_b64 s[0:1], vcc
	s_cbranch_execnz .LBB322_13
.LBB322_10:
	s_or_b64 exec, exec, s[0:1]
	v_cmp_eq_u32_e32 vcc, 0, v0
	s_and_saveexec_b64 s[0:1], vcc
	s_cbranch_execnz .LBB322_14
.LBB322_11:
	s_endpgm
.LBB322_12:
	ds_read_b32 v3, v2
	s_or_b64 exec, exec, s[4:5]
	s_and_saveexec_b64 s[0:1], vcc
	s_cbranch_execz .LBB322_10
.LBB322_13:
	s_waitcnt lgkmcnt(0)
	ds_bpermute_b32 v1, v1, v3
	s_waitcnt lgkmcnt(0)
	v_add_f32_e32 v1, v3, v1
	ds_bpermute_b32 v2, v4, v1
	s_waitcnt lgkmcnt(0)
	v_add_f32_e32 v1, v1, v2
	;; [unrolled: 3-line block ×4, first 2 shown]
	s_or_b64 exec, exec, s[0:1]
	v_cmp_eq_u32_e32 vcc, 0, v0
	s_and_saveexec_b64 s[0:1], vcc
	s_cbranch_execz .LBB322_11
.LBB322_14:
	s_lshl_b64 s[0:1], s[2:3], 2
	s_add_u32 s0, s6, s0
	s_addc_u32 s1, s7, s1
	v_mov_b32_e32 v0, 0
	s_waitcnt lgkmcnt(0)
	global_store_dword v0, v3, s[0:1]
	s_endpgm
	.section	.rodata,"a",@progbits
	.p2align	6, 0x0
	.amdhsa_kernel _ZL24rocblas_dot_kernel_magsqIlLb1ELi1024ELi32ELb1EfPKPK16rocblas_bfloat16fEviT5_lT_liPT6_PT4_
		.amdhsa_group_segment_fixed_size 256
		.amdhsa_private_segment_fixed_size 0
		.amdhsa_kernarg_size 320
		.amdhsa_user_sgpr_count 6
		.amdhsa_user_sgpr_private_segment_buffer 1
		.amdhsa_user_sgpr_dispatch_ptr 0
		.amdhsa_user_sgpr_queue_ptr 0
		.amdhsa_user_sgpr_kernarg_segment_ptr 1
		.amdhsa_user_sgpr_dispatch_id 0
		.amdhsa_user_sgpr_flat_scratch_init 0
		.amdhsa_user_sgpr_kernarg_preload_length 0
		.amdhsa_user_sgpr_kernarg_preload_offset 0
		.amdhsa_user_sgpr_private_segment_size 0
		.amdhsa_uses_dynamic_stack 0
		.amdhsa_system_sgpr_private_segment_wavefront_offset 0
		.amdhsa_system_sgpr_workgroup_id_x 1
		.amdhsa_system_sgpr_workgroup_id_y 0
		.amdhsa_system_sgpr_workgroup_id_z 1
		.amdhsa_system_sgpr_workgroup_info 0
		.amdhsa_system_vgpr_workitem_id 0
		.amdhsa_next_free_vgpr 10
		.amdhsa_next_free_sgpr 20
		.amdhsa_accum_offset 12
		.amdhsa_reserve_vcc 1
		.amdhsa_reserve_flat_scratch 0
		.amdhsa_float_round_mode_32 0
		.amdhsa_float_round_mode_16_64 0
		.amdhsa_float_denorm_mode_32 3
		.amdhsa_float_denorm_mode_16_64 3
		.amdhsa_dx10_clamp 1
		.amdhsa_ieee_mode 1
		.amdhsa_fp16_overflow 0
		.amdhsa_tg_split 0
		.amdhsa_exception_fp_ieee_invalid_op 0
		.amdhsa_exception_fp_denorm_src 0
		.amdhsa_exception_fp_ieee_div_zero 0
		.amdhsa_exception_fp_ieee_overflow 0
		.amdhsa_exception_fp_ieee_underflow 0
		.amdhsa_exception_fp_ieee_inexact 0
		.amdhsa_exception_int_div_zero 0
	.end_amdhsa_kernel
	.section	.text._ZL24rocblas_dot_kernel_magsqIlLb1ELi1024ELi32ELb1EfPKPK16rocblas_bfloat16fEviT5_lT_liPT6_PT4_,"axG",@progbits,_ZL24rocblas_dot_kernel_magsqIlLb1ELi1024ELi32ELb1EfPKPK16rocblas_bfloat16fEviT5_lT_liPT6_PT4_,comdat
.Lfunc_end322:
	.size	_ZL24rocblas_dot_kernel_magsqIlLb1ELi1024ELi32ELb1EfPKPK16rocblas_bfloat16fEviT5_lT_liPT6_PT4_, .Lfunc_end322-_ZL24rocblas_dot_kernel_magsqIlLb1ELi1024ELi32ELb1EfPKPK16rocblas_bfloat16fEviT5_lT_liPT6_PT4_
                                        ; -- End function
	.section	.AMDGPU.csdata,"",@progbits
; Kernel info:
; codeLenInByte = 844
; NumSgprs: 24
; NumVgprs: 10
; NumAgprs: 0
; TotalNumVgprs: 10
; ScratchSize: 0
; MemoryBound: 0
; FloatMode: 240
; IeeeMode: 1
; LDSByteSize: 256 bytes/workgroup (compile time only)
; SGPRBlocks: 2
; VGPRBlocks: 1
; NumSGPRsForWavesPerEU: 24
; NumVGPRsForWavesPerEU: 10
; AccumOffset: 12
; Occupancy: 8
; WaveLimiterHint : 0
; COMPUTE_PGM_RSRC2:SCRATCH_EN: 0
; COMPUTE_PGM_RSRC2:USER_SGPR: 6
; COMPUTE_PGM_RSRC2:TRAP_HANDLER: 0
; COMPUTE_PGM_RSRC2:TGID_X_EN: 1
; COMPUTE_PGM_RSRC2:TGID_Y_EN: 0
; COMPUTE_PGM_RSRC2:TGID_Z_EN: 1
; COMPUTE_PGM_RSRC2:TIDIG_COMP_CNT: 0
; COMPUTE_PGM_RSRC3_GFX90A:ACCUM_OFFSET: 2
; COMPUTE_PGM_RSRC3_GFX90A:TG_SPLIT: 0
	.section	.text._ZL38rocblas_dot_kernel_gfx942_float_doubleIlLi1024EfPKPK16rocblas_bfloat16fEviT2_lT_lS5_lS6_lPT3_PT1_,"axG",@progbits,_ZL38rocblas_dot_kernel_gfx942_float_doubleIlLi1024EfPKPK16rocblas_bfloat16fEviT2_lT_lS5_lS6_lPT3_PT1_,comdat
	.globl	_ZL38rocblas_dot_kernel_gfx942_float_doubleIlLi1024EfPKPK16rocblas_bfloat16fEviT2_lT_lS5_lS6_lPT3_PT1_ ; -- Begin function _ZL38rocblas_dot_kernel_gfx942_float_doubleIlLi1024EfPKPK16rocblas_bfloat16fEviT2_lT_lS5_lS6_lPT3_PT1_
	.p2align	8
	.type	_ZL38rocblas_dot_kernel_gfx942_float_doubleIlLi1024EfPKPK16rocblas_bfloat16fEviT2_lT_lS5_lS6_lPT3_PT1_,@function
_ZL38rocblas_dot_kernel_gfx942_float_doubleIlLi1024EfPKPK16rocblas_bfloat16fEviT2_lT_lS5_lS6_lPT3_PT1_: ; @_ZL38rocblas_dot_kernel_gfx942_float_doubleIlLi1024EfPKPK16rocblas_bfloat16fEviT2_lT_lS5_lS6_lPT3_PT1_
; %bb.0:
	s_endpgm
	.section	.rodata,"a",@progbits
	.p2align	6, 0x0
	.amdhsa_kernel _ZL38rocblas_dot_kernel_gfx942_float_doubleIlLi1024EfPKPK16rocblas_bfloat16fEviT2_lT_lS5_lS6_lPT3_PT1_
		.amdhsa_group_segment_fixed_size 0
		.amdhsa_private_segment_fixed_size 0
		.amdhsa_kernarg_size 88
		.amdhsa_user_sgpr_count 6
		.amdhsa_user_sgpr_private_segment_buffer 1
		.amdhsa_user_sgpr_dispatch_ptr 0
		.amdhsa_user_sgpr_queue_ptr 0
		.amdhsa_user_sgpr_kernarg_segment_ptr 1
		.amdhsa_user_sgpr_dispatch_id 0
		.amdhsa_user_sgpr_flat_scratch_init 0
		.amdhsa_user_sgpr_kernarg_preload_length 0
		.amdhsa_user_sgpr_kernarg_preload_offset 0
		.amdhsa_user_sgpr_private_segment_size 0
		.amdhsa_uses_dynamic_stack 0
		.amdhsa_system_sgpr_private_segment_wavefront_offset 0
		.amdhsa_system_sgpr_workgroup_id_x 1
		.amdhsa_system_sgpr_workgroup_id_y 0
		.amdhsa_system_sgpr_workgroup_id_z 0
		.amdhsa_system_sgpr_workgroup_info 0
		.amdhsa_system_vgpr_workitem_id 0
		.amdhsa_next_free_vgpr 1
		.amdhsa_next_free_sgpr 0
		.amdhsa_accum_offset 4
		.amdhsa_reserve_vcc 0
		.amdhsa_reserve_flat_scratch 0
		.amdhsa_float_round_mode_32 0
		.amdhsa_float_round_mode_16_64 0
		.amdhsa_float_denorm_mode_32 3
		.amdhsa_float_denorm_mode_16_64 3
		.amdhsa_dx10_clamp 1
		.amdhsa_ieee_mode 1
		.amdhsa_fp16_overflow 0
		.amdhsa_tg_split 0
		.amdhsa_exception_fp_ieee_invalid_op 0
		.amdhsa_exception_fp_denorm_src 0
		.amdhsa_exception_fp_ieee_div_zero 0
		.amdhsa_exception_fp_ieee_overflow 0
		.amdhsa_exception_fp_ieee_underflow 0
		.amdhsa_exception_fp_ieee_inexact 0
		.amdhsa_exception_int_div_zero 0
	.end_amdhsa_kernel
	.section	.text._ZL38rocblas_dot_kernel_gfx942_float_doubleIlLi1024EfPKPK16rocblas_bfloat16fEviT2_lT_lS5_lS6_lPT3_PT1_,"axG",@progbits,_ZL38rocblas_dot_kernel_gfx942_float_doubleIlLi1024EfPKPK16rocblas_bfloat16fEviT2_lT_lS5_lS6_lPT3_PT1_,comdat
.Lfunc_end323:
	.size	_ZL38rocblas_dot_kernel_gfx942_float_doubleIlLi1024EfPKPK16rocblas_bfloat16fEviT2_lT_lS5_lS6_lPT3_PT1_, .Lfunc_end323-_ZL38rocblas_dot_kernel_gfx942_float_doubleIlLi1024EfPKPK16rocblas_bfloat16fEviT2_lT_lS5_lS6_lPT3_PT1_
                                        ; -- End function
	.section	.AMDGPU.csdata,"",@progbits
; Kernel info:
; codeLenInByte = 4
; NumSgprs: 4
; NumVgprs: 0
; NumAgprs: 0
; TotalNumVgprs: 0
; ScratchSize: 0
; MemoryBound: 0
; FloatMode: 240
; IeeeMode: 1
; LDSByteSize: 0 bytes/workgroup (compile time only)
; SGPRBlocks: 0
; VGPRBlocks: 0
; NumSGPRsForWavesPerEU: 4
; NumVGPRsForWavesPerEU: 1
; AccumOffset: 4
; Occupancy: 8
; WaveLimiterHint : 0
; COMPUTE_PGM_RSRC2:SCRATCH_EN: 0
; COMPUTE_PGM_RSRC2:USER_SGPR: 6
; COMPUTE_PGM_RSRC2:TRAP_HANDLER: 0
; COMPUTE_PGM_RSRC2:TGID_X_EN: 1
; COMPUTE_PGM_RSRC2:TGID_Y_EN: 0
; COMPUTE_PGM_RSRC2:TGID_Z_EN: 0
; COMPUTE_PGM_RSRC2:TIDIG_COMP_CNT: 0
; COMPUTE_PGM_RSRC3_GFX90A:ACCUM_OFFSET: 0
; COMPUTE_PGM_RSRC3_GFX90A:TG_SPLIT: 0
	.section	.text._ZL23rocblas_dot_kernel_inc1ILb0ELi512ELi4ELb1EfPKPK16rocblas_bfloat16fEviT4_llS5_lliPT5_PT3_,"axG",@progbits,_ZL23rocblas_dot_kernel_inc1ILb0ELi512ELi4ELb1EfPKPK16rocblas_bfloat16fEviT4_llS5_lliPT5_PT3_,comdat
	.globl	_ZL23rocblas_dot_kernel_inc1ILb0ELi512ELi4ELb1EfPKPK16rocblas_bfloat16fEviT4_llS5_lliPT5_PT3_ ; -- Begin function _ZL23rocblas_dot_kernel_inc1ILb0ELi512ELi4ELb1EfPKPK16rocblas_bfloat16fEviT4_llS5_lliPT5_PT3_
	.p2align	8
	.type	_ZL23rocblas_dot_kernel_inc1ILb0ELi512ELi4ELb1EfPKPK16rocblas_bfloat16fEviT4_llS5_lliPT5_PT3_,@function
_ZL23rocblas_dot_kernel_inc1ILb0ELi512ELi4ELb1EfPKPK16rocblas_bfloat16fEviT4_llS5_lliPT5_PT3_: ; @_ZL23rocblas_dot_kernel_inc1ILb0ELi512ELi4ELb1EfPKPK16rocblas_bfloat16fEviT4_llS5_lliPT5_PT3_
; %bb.0:
	s_mov_b32 s2, s7
	s_load_dword s18, s[4:5], 0x50
	s_load_dword s7, s[4:5], 0x0
	s_load_dwordx4 s[8:11], s[4:5], 0x40
	v_lshl_or_b32 v4, s6, 9, v0
	s_mov_b32 s3, 0
	v_mov_b32_e32 v1, 0
	s_waitcnt lgkmcnt(0)
	v_cmp_gt_i32_e32 vcc, s7, v4
	s_and_saveexec_b64 s[12:13], vcc
	s_cbranch_execz .LBB324_4
; %bb.1:
	s_load_dwordx4 s[20:23], s[4:5], 0x8
	s_load_dwordx4 s[24:27], s[4:5], 0x20
	s_lshl_b64 s[0:1], s[2:3], 3
	v_ashrrev_i32_e32 v5, 31, v4
	v_lshlrev_b64 v[2:3], 1, v[4:5]
	s_waitcnt lgkmcnt(0)
	s_add_u32 s4, s20, s0
	s_addc_u32 s5, s21, s1
	s_load_dwordx2 s[14:15], s[4:5], 0x0
	s_lshl_b64 s[16:17], s[22:23], 1
	s_mov_b64 s[4:5], 0
	v_mov_b32_e32 v1, 0
	s_waitcnt lgkmcnt(0)
	s_add_u32 s19, s14, s16
	s_addc_u32 s14, s15, s17
	s_add_u32 s0, s24, s0
	s_addc_u32 s1, s25, s1
	s_load_dwordx2 s[0:1], s[0:1], 0x0
	v_mov_b32_e32 v5, s14
	s_lshl_b64 s[14:15], s[26:27], 1
	s_waitcnt lgkmcnt(0)
	s_add_u32 s20, s0, s14
	s_addc_u32 s0, s1, s15
	s_lshl_b32 s14, s18, 9
	s_ashr_i32 s15, s14, 31
	s_lshl_b64 s[16:17], s[14:15], 1
	v_add_u32_e32 v4, s14, v4
	v_mov_b32_e32 v6, s0
	v_mov_b32_e32 v7, s17
	s_mov_b32 s15, s3
.LBB324_2:                              ; =>This Inner Loop Header: Depth=1
	v_add_co_u32_e32 v8, vcc, s20, v2
	v_addc_co_u32_e32 v9, vcc, v6, v3, vcc
	v_add_co_u32_e32 v10, vcc, s19, v2
	v_addc_co_u32_e32 v11, vcc, v5, v3, vcc
	global_load_ushort v12, v[8:9], off
	global_load_ushort v13, v[10:11], off
	s_add_i32 s17, s15, 1
	v_add_co_u32_e64 v2, s[0:1], s16, v2
	v_addc_co_u32_e64 v3, s[0:1], v3, v7, s[0:1]
	s_cmp_gt_u32 s15, 2
	v_cmp_le_i32_e32 vcc, s7, v4
	s_cselect_b64 s[0:1], -1, 0
	s_or_b64 s[0:1], s[0:1], vcc
	s_and_b64 s[0:1], exec, s[0:1]
	v_add_u32_e32 v4, s14, v4
	s_mov_b32 s15, s17
	s_or_b64 s[4:5], s[0:1], s[4:5]
	s_waitcnt vmcnt(1)
	v_lshlrev_b32_e32 v8, 16, v12
	s_waitcnt vmcnt(0)
	v_lshlrev_b32_e32 v9, 16, v13
	v_fmac_f32_e32 v1, v9, v8
	s_andn2_b64 exec, exec, s[4:5]
	s_cbranch_execnz .LBB324_2
; %bb.3:
	s_or_b64 exec, exec, s[4:5]
.LBB324_4:
	s_or_b64 exec, exec, s[12:13]
	v_and_b32_e32 v3, 63, v0
	v_cmp_gt_u32_e32 vcc, 64, v0
	v_lshlrev_b32_e32 v2, 2, v3
	s_and_saveexec_b64 s[0:1], vcc
	s_cbranch_execz .LBB324_6
; %bb.5:
	v_mov_b32_e32 v4, 0
	ds_write_b32 v2, v4
.LBB324_6:
	s_or_b64 exec, exec, s[0:1]
	v_mbcnt_lo_u32_b32 v4, -1, 0
	v_mbcnt_hi_u32_b32 v6, -1, v4
	v_and_b32_e32 v7, 63, v6
	v_cmp_gt_u32_e64 s[0:1], 32, v7
	v_cndmask_b32_e64 v4, 0, 1, s[0:1]
	v_lshlrev_b32_e32 v4, 5, v4
	v_add_lshl_u32 v4, v4, v6, 2
	ds_bpermute_b32 v4, v4, v1
	v_cmp_gt_u32_e64 s[0:1], 48, v7
	v_cndmask_b32_e64 v5, 0, 1, s[0:1]
	v_lshlrev_b32_e32 v5, 4, v5
	v_cmp_gt_u32_e64 s[0:1], 56, v7
	s_waitcnt lgkmcnt(0)
	v_add_f32_e32 v1, v1, v4
	v_add_lshl_u32 v4, v5, v6, 2
	ds_bpermute_b32 v4, v4, v1
	v_cndmask_b32_e64 v5, 0, 1, s[0:1]
	v_lshlrev_b32_e32 v5, 3, v5
	v_cmp_gt_u32_e64 s[0:1], 60, v7
	s_waitcnt lgkmcnt(0)
	v_add_f32_e32 v1, v1, v4
	v_add_lshl_u32 v4, v5, v6, 2
	ds_bpermute_b32 v4, v4, v1
	v_cndmask_b32_e64 v5, 0, 1, s[0:1]
	v_lshlrev_b32_e32 v5, 2, v5
	v_cmp_gt_u32_e64 s[0:1], 62, v7
	v_cndmask_b32_e64 v8, 0, 1, s[0:1]
	s_waitcnt lgkmcnt(0)
	v_add_f32_e32 v1, v1, v4
	v_add_lshl_u32 v4, v5, v6, 2
	ds_bpermute_b32 v5, v4, v1
	v_lshlrev_b32_e32 v8, 1, v8
	v_cmp_ne_u32_e64 s[0:1], 63, v7
	s_barrier
	s_waitcnt lgkmcnt(0)
	v_add_f32_e32 v1, v1, v5
	v_add_lshl_u32 v5, v8, v6, 2
	ds_bpermute_b32 v8, v5, v1
	v_addc_co_u32_e64 v6, s[0:1], 0, v6, s[0:1]
	v_lshlrev_b32_e32 v6, 2, v6
	v_cmp_eq_u32_e64 s[0:1], 0, v3
	s_waitcnt lgkmcnt(0)
	v_add_f32_e32 v1, v1, v8
	ds_bpermute_b32 v7, v6, v1
	s_and_saveexec_b64 s[4:5], s[0:1]
	s_cbranch_execz .LBB324_8
; %bb.7:
	v_lshrrev_b32_e32 v3, 4, v0
	s_waitcnt lgkmcnt(0)
	v_add_f32_e32 v1, v1, v7
	v_and_b32_e32 v3, 28, v3
	ds_write_b32 v3, v1
.LBB324_8:
	s_or_b64 exec, exec, s[4:5]
	v_cmp_gt_u32_e64 s[0:1], 8, v0
	v_mov_b32_e32 v1, 0
	s_waitcnt lgkmcnt(0)
	s_barrier
	s_and_saveexec_b64 s[4:5], s[0:1]
	s_cbranch_execnz .LBB324_12
; %bb.9:
	s_or_b64 exec, exec, s[4:5]
	s_and_saveexec_b64 s[0:1], vcc
	s_cbranch_execnz .LBB324_13
.LBB324_10:
	s_or_b64 exec, exec, s[0:1]
	v_cmp_eq_u32_e32 vcc, 0, v0
	s_and_saveexec_b64 s[0:1], vcc
	s_cbranch_execnz .LBB324_14
.LBB324_11:
	s_endpgm
.LBB324_12:
	ds_read_b32 v1, v2
	s_or_b64 exec, exec, s[4:5]
	s_and_saveexec_b64 s[0:1], vcc
	s_cbranch_execz .LBB324_10
.LBB324_13:
	s_waitcnt lgkmcnt(0)
	ds_bpermute_b32 v2, v4, v1
	s_waitcnt lgkmcnt(0)
	v_add_f32_e32 v1, v1, v2
	ds_bpermute_b32 v2, v5, v1
	s_waitcnt lgkmcnt(0)
	v_add_f32_e32 v1, v1, v2
	;; [unrolled: 3-line block ×3, first 2 shown]
	s_or_b64 exec, exec, s[0:1]
	v_cmp_eq_u32_e32 vcc, 0, v0
	s_and_saveexec_b64 s[0:1], vcc
	s_cbranch_execz .LBB324_11
.LBB324_14:
	s_cmp_lg_u32 s18, 1
	s_cbranch_scc0 .LBB324_16
; %bb.15:
	s_mul_hi_u32 s1, s18, s2
	s_mul_i32 s0, s18, s2
	s_lshl_b64 s[0:1], s[0:1], 2
	s_mov_b32 s7, 0
	s_add_u32 s4, s8, s0
	s_addc_u32 s5, s9, s1
	s_lshl_b64 s[0:1], s[6:7], 2
	s_add_u32 s0, s4, s0
	s_addc_u32 s1, s5, s1
	s_cbranch_execz .LBB324_17
	s_branch .LBB324_18
.LBB324_16:
                                        ; implicit-def: $sgpr0_sgpr1
.LBB324_17:
	s_lshl_b64 s[0:1], s[2:3], 2
	s_add_u32 s0, s10, s0
	s_addc_u32 s1, s11, s1
.LBB324_18:
	v_mov_b32_e32 v0, 0
	s_waitcnt lgkmcnt(0)
	global_store_dword v0, v1, s[0:1]
	s_endpgm
	.section	.rodata,"a",@progbits
	.p2align	6, 0x0
	.amdhsa_kernel _ZL23rocblas_dot_kernel_inc1ILb0ELi512ELi4ELb1EfPKPK16rocblas_bfloat16fEviT4_llS5_lliPT5_PT3_
		.amdhsa_group_segment_fixed_size 256
		.amdhsa_private_segment_fixed_size 0
		.amdhsa_kernarg_size 336
		.amdhsa_user_sgpr_count 6
		.amdhsa_user_sgpr_private_segment_buffer 1
		.amdhsa_user_sgpr_dispatch_ptr 0
		.amdhsa_user_sgpr_queue_ptr 0
		.amdhsa_user_sgpr_kernarg_segment_ptr 1
		.amdhsa_user_sgpr_dispatch_id 0
		.amdhsa_user_sgpr_flat_scratch_init 0
		.amdhsa_user_sgpr_kernarg_preload_length 0
		.amdhsa_user_sgpr_kernarg_preload_offset 0
		.amdhsa_user_sgpr_private_segment_size 0
		.amdhsa_uses_dynamic_stack 0
		.amdhsa_system_sgpr_private_segment_wavefront_offset 0
		.amdhsa_system_sgpr_workgroup_id_x 1
		.amdhsa_system_sgpr_workgroup_id_y 0
		.amdhsa_system_sgpr_workgroup_id_z 1
		.amdhsa_system_sgpr_workgroup_info 0
		.amdhsa_system_vgpr_workitem_id 0
		.amdhsa_next_free_vgpr 14
		.amdhsa_next_free_sgpr 28
		.amdhsa_accum_offset 16
		.amdhsa_reserve_vcc 1
		.amdhsa_reserve_flat_scratch 0
		.amdhsa_float_round_mode_32 0
		.amdhsa_float_round_mode_16_64 0
		.amdhsa_float_denorm_mode_32 3
		.amdhsa_float_denorm_mode_16_64 3
		.amdhsa_dx10_clamp 1
		.amdhsa_ieee_mode 1
		.amdhsa_fp16_overflow 0
		.amdhsa_tg_split 0
		.amdhsa_exception_fp_ieee_invalid_op 0
		.amdhsa_exception_fp_denorm_src 0
		.amdhsa_exception_fp_ieee_div_zero 0
		.amdhsa_exception_fp_ieee_overflow 0
		.amdhsa_exception_fp_ieee_underflow 0
		.amdhsa_exception_fp_ieee_inexact 0
		.amdhsa_exception_int_div_zero 0
	.end_amdhsa_kernel
	.section	.text._ZL23rocblas_dot_kernel_inc1ILb0ELi512ELi4ELb1EfPKPK16rocblas_bfloat16fEviT4_llS5_lliPT5_PT3_,"axG",@progbits,_ZL23rocblas_dot_kernel_inc1ILb0ELi512ELi4ELb1EfPKPK16rocblas_bfloat16fEviT4_llS5_lliPT5_PT3_,comdat
.Lfunc_end324:
	.size	_ZL23rocblas_dot_kernel_inc1ILb0ELi512ELi4ELb1EfPKPK16rocblas_bfloat16fEviT4_llS5_lliPT5_PT3_, .Lfunc_end324-_ZL23rocblas_dot_kernel_inc1ILb0ELi512ELi4ELb1EfPKPK16rocblas_bfloat16fEviT4_llS5_lliPT5_PT3_
                                        ; -- End function
	.section	.AMDGPU.csdata,"",@progbits
; Kernel info:
; codeLenInByte = 904
; NumSgprs: 32
; NumVgprs: 14
; NumAgprs: 0
; TotalNumVgprs: 14
; ScratchSize: 0
; MemoryBound: 0
; FloatMode: 240
; IeeeMode: 1
; LDSByteSize: 256 bytes/workgroup (compile time only)
; SGPRBlocks: 3
; VGPRBlocks: 1
; NumSGPRsForWavesPerEU: 32
; NumVGPRsForWavesPerEU: 14
; AccumOffset: 16
; Occupancy: 8
; WaveLimiterHint : 1
; COMPUTE_PGM_RSRC2:SCRATCH_EN: 0
; COMPUTE_PGM_RSRC2:USER_SGPR: 6
; COMPUTE_PGM_RSRC2:TRAP_HANDLER: 0
; COMPUTE_PGM_RSRC2:TGID_X_EN: 1
; COMPUTE_PGM_RSRC2:TGID_Y_EN: 0
; COMPUTE_PGM_RSRC2:TGID_Z_EN: 1
; COMPUTE_PGM_RSRC2:TIDIG_COMP_CNT: 0
; COMPUTE_PGM_RSRC3_GFX90A:ACCUM_OFFSET: 3
; COMPUTE_PGM_RSRC3_GFX90A:TG_SPLIT: 0
	.section	.text._ZL18rocblas_dot_kernelIlLb0ELi512ELi4ELb1EfPKPK16rocblas_bfloat16fEviT5_lT_lS5_lS6_liPT6_PT4_,"axG",@progbits,_ZL18rocblas_dot_kernelIlLb0ELi512ELi4ELb1EfPKPK16rocblas_bfloat16fEviT5_lT_lS5_lS6_liPT6_PT4_,comdat
	.globl	_ZL18rocblas_dot_kernelIlLb0ELi512ELi4ELb1EfPKPK16rocblas_bfloat16fEviT5_lT_lS5_lS6_liPT6_PT4_ ; -- Begin function _ZL18rocblas_dot_kernelIlLb0ELi512ELi4ELb1EfPKPK16rocblas_bfloat16fEviT5_lT_lS5_lS6_liPT6_PT4_
	.p2align	8
	.type	_ZL18rocblas_dot_kernelIlLb0ELi512ELi4ELb1EfPKPK16rocblas_bfloat16fEviT5_lT_lS5_lS6_liPT6_PT4_,@function
_ZL18rocblas_dot_kernelIlLb0ELi512ELi4ELb1EfPKPK16rocblas_bfloat16fEviT5_lT_lS5_lS6_liPT6_PT4_: ; @_ZL18rocblas_dot_kernelIlLb0ELi512ELi4ELb1EfPKPK16rocblas_bfloat16fEviT5_lT_lS5_lS6_liPT6_PT4_
; %bb.0:
	s_mov_b32 s16, s7
	s_load_dword s20, s[4:5], 0x60
	s_load_dword s7, s[4:5], 0x0
	s_load_dwordx4 s[8:11], s[4:5], 0x50
	v_lshl_or_b32 v4, s6, 9, v0
	s_mov_b32 s17, 0
	v_mov_b32_e32 v6, 0
	s_waitcnt lgkmcnt(0)
	v_cmp_gt_i32_e32 vcc, s7, v4
	s_and_saveexec_b64 s[18:19], vcc
	s_cbranch_execz .LBB325_4
; %bb.1:
	s_load_dwordx2 s[22:23], s[4:5], 0x8
	s_load_dwordx4 s[12:15], s[4:5], 0x10
	s_load_dwordx2 s[24:25], s[4:5], 0x28
	s_load_dwordx4 s[0:3], s[4:5], 0x30
	s_lshl_b64 s[4:5], s[16:17], 3
	s_waitcnt lgkmcnt(0)
	s_add_u32 s22, s22, s4
	s_addc_u32 s23, s23, s5
	s_load_dwordx2 s[22:23], s[22:23], 0x0
	s_add_u32 s4, s24, s4
	s_addc_u32 s5, s25, s5
	s_load_dwordx2 s[24:25], s[4:5], 0x0
	v_ashrrev_i32_e32 v5, 31, v4
	v_mad_u64_u32 v[2:3], s[4:5], s14, v4, 0
	s_lshl_b32 s21, s20, 9
	v_mul_lo_u32 v6, s15, v4
	v_mul_lo_u32 v7, s14, v5
	s_lshl_b64 s[4:5], s[12:13], 1
	v_add3_u32 v3, v3, v7, v6
	s_waitcnt lgkmcnt(0)
	s_add_u32 s4, s22, s4
	v_lshlrev_b64 v[2:3], 1, v[2:3]
	s_addc_u32 s5, s23, s5
	s_ashr_i32 s22, s21, 31
	v_mov_b32_e32 v6, s5
	v_add_co_u32_e32 v2, vcc, s4, v2
	s_mul_i32 s4, s14, s22
	s_mul_hi_u32 s5, s14, s21
	s_add_i32 s4, s5, s4
	s_mul_i32 s5, s15, s21
	s_add_i32 s5, s4, s5
	s_mul_i32 s4, s14, s21
	v_add_u32_e32 v1, s21, v4
	v_addc_co_u32_e32 v3, vcc, v6, v3, vcc
	s_lshl_b64 s[4:5], s[4:5], 1
	v_mul_lo_u32 v6, s3, v4
	v_mul_lo_u32 v7, s2, v5
	v_mad_u64_u32 v[4:5], s[12:13], s2, v4, 0
	s_lshl_b64 s[0:1], s[0:1], 1
	v_add3_u32 v5, v5, v7, v6
	s_add_u32 s0, s24, s0
	v_lshlrev_b64 v[4:5], 1, v[4:5]
	s_addc_u32 s1, s25, s1
	v_mov_b32_e32 v6, s1
	v_add_co_u32_e32 v4, vcc, s0, v4
	s_mul_i32 s0, s2, s22
	s_mul_hi_u32 s1, s2, s21
	s_add_i32 s0, s1, s0
	s_mul_i32 s1, s3, s21
	s_add_i32 s1, s0, s1
	s_mul_i32 s0, s2, s21
	s_lshl_b64 s[12:13], s[0:1], 1
	v_addc_co_u32_e32 v5, vcc, v6, v5, vcc
	s_mov_b64 s[2:3], 0
	v_mov_b32_e32 v6, 0
	v_mov_b32_e32 v7, s5
	v_mov_b32_e32 v8, s13
	s_mov_b32 s5, s17
.LBB325_2:                              ; =>This Inner Loop Header: Depth=1
	global_load_ushort v9, v[4:5], off
	global_load_ushort v10, v[2:3], off
	v_add_co_u32_e64 v2, s[0:1], s4, v2
	v_addc_co_u32_e64 v3, s[0:1], v3, v7, s[0:1]
	s_add_i32 s13, s5, 1
	v_add_co_u32_e64 v4, s[0:1], s12, v4
	v_addc_co_u32_e64 v5, s[0:1], v5, v8, s[0:1]
	s_cmp_gt_u32 s5, 2
	v_cmp_le_i32_e32 vcc, s7, v1
	s_cselect_b64 s[0:1], -1, 0
	s_or_b64 s[0:1], s[0:1], vcc
	s_and_b64 s[0:1], exec, s[0:1]
	v_add_u32_e32 v1, s21, v1
	s_mov_b32 s5, s13
	s_or_b64 s[2:3], s[0:1], s[2:3]
	s_waitcnt vmcnt(1)
	v_lshlrev_b32_e32 v9, 16, v9
	s_waitcnt vmcnt(0)
	v_lshlrev_b32_e32 v10, 16, v10
	v_fmac_f32_e32 v6, v10, v9
	s_andn2_b64 exec, exec, s[2:3]
	s_cbranch_execnz .LBB325_2
; %bb.3:
	s_or_b64 exec, exec, s[2:3]
.LBB325_4:
	s_or_b64 exec, exec, s[18:19]
	v_and_b32_e32 v2, 63, v0
	v_cmp_gt_u32_e32 vcc, 64, v0
	v_lshlrev_b32_e32 v1, 2, v2
	s_and_saveexec_b64 s[0:1], vcc
	s_cbranch_execz .LBB325_6
; %bb.5:
	v_mov_b32_e32 v3, 0
	ds_write_b32 v1, v3
.LBB325_6:
	s_or_b64 exec, exec, s[0:1]
	v_mbcnt_lo_u32_b32 v3, -1, 0
	v_mbcnt_hi_u32_b32 v5, -1, v3
	v_and_b32_e32 v7, 63, v5
	v_cmp_gt_u32_e64 s[0:1], 32, v7
	v_cndmask_b32_e64 v3, 0, 1, s[0:1]
	v_lshlrev_b32_e32 v3, 5, v3
	v_add_lshl_u32 v3, v3, v5, 2
	ds_bpermute_b32 v3, v3, v6
	v_cmp_gt_u32_e64 s[0:1], 48, v7
	v_cndmask_b32_e64 v4, 0, 1, s[0:1]
	v_lshlrev_b32_e32 v4, 4, v4
	v_add_lshl_u32 v4, v4, v5, 2
	s_waitcnt lgkmcnt(0)
	v_add_f32_e32 v3, v6, v3
	ds_bpermute_b32 v4, v4, v3
	v_cmp_gt_u32_e64 s[0:1], 56, v7
	v_cndmask_b32_e64 v6, 0, 1, s[0:1]
	v_lshlrev_b32_e32 v6, 3, v6
	v_cmp_gt_u32_e64 s[0:1], 60, v7
	s_waitcnt lgkmcnt(0)
	v_add_f32_e32 v3, v3, v4
	v_add_lshl_u32 v4, v6, v5, 2
	ds_bpermute_b32 v4, v4, v3
	v_cndmask_b32_e64 v6, 0, 1, s[0:1]
	v_lshlrev_b32_e32 v6, 2, v6
	v_cmp_gt_u32_e64 s[0:1], 62, v7
	v_cndmask_b32_e64 v8, 0, 1, s[0:1]
	s_waitcnt lgkmcnt(0)
	v_add_f32_e32 v4, v3, v4
	v_add_lshl_u32 v3, v6, v5, 2
	ds_bpermute_b32 v6, v3, v4
	v_lshlrev_b32_e32 v8, 1, v8
	v_cmp_ne_u32_e64 s[0:1], 63, v7
	s_waitcnt lgkmcnt(0)
	s_barrier
	v_add_f32_e32 v6, v4, v6
	v_add_lshl_u32 v4, v8, v5, 2
	ds_bpermute_b32 v8, v4, v6
	v_addc_co_u32_e64 v5, s[0:1], 0, v5, s[0:1]
	v_lshlrev_b32_e32 v5, 2, v5
	v_cmp_eq_u32_e64 s[0:1], 0, v2
	s_waitcnt lgkmcnt(0)
	v_add_f32_e32 v6, v6, v8
	ds_bpermute_b32 v7, v5, v6
	s_waitcnt lgkmcnt(0)
	s_and_saveexec_b64 s[2:3], s[0:1]
	s_cbranch_execz .LBB325_8
; %bb.7:
	v_add_f32_e32 v2, v6, v7
	v_lshrrev_b32_e32 v6, 4, v0
	v_and_b32_e32 v6, 28, v6
	ds_write_b32 v6, v2
.LBB325_8:
	s_or_b64 exec, exec, s[2:3]
	v_cmp_gt_u32_e64 s[0:1], 8, v0
	v_mov_b32_e32 v2, 0
	s_waitcnt lgkmcnt(0)
	s_barrier
	s_and_saveexec_b64 s[2:3], s[0:1]
	s_cbranch_execnz .LBB325_12
; %bb.9:
	s_or_b64 exec, exec, s[2:3]
	s_and_saveexec_b64 s[0:1], vcc
	s_cbranch_execnz .LBB325_13
.LBB325_10:
	s_or_b64 exec, exec, s[0:1]
	v_cmp_eq_u32_e32 vcc, 0, v0
	s_and_saveexec_b64 s[0:1], vcc
	s_cbranch_execnz .LBB325_14
.LBB325_11:
	s_endpgm
.LBB325_12:
	ds_read_b32 v2, v1
	s_or_b64 exec, exec, s[2:3]
	s_and_saveexec_b64 s[0:1], vcc
	s_cbranch_execz .LBB325_10
.LBB325_13:
	s_waitcnt lgkmcnt(0)
	ds_bpermute_b32 v1, v3, v2
	s_waitcnt lgkmcnt(0)
	v_add_f32_e32 v1, v2, v1
	ds_bpermute_b32 v2, v4, v1
	s_waitcnt lgkmcnt(0)
	v_add_f32_e32 v1, v1, v2
	;; [unrolled: 3-line block ×3, first 2 shown]
	s_or_b64 exec, exec, s[0:1]
	v_cmp_eq_u32_e32 vcc, 0, v0
	s_and_saveexec_b64 s[0:1], vcc
	s_cbranch_execz .LBB325_11
.LBB325_14:
	s_cmp_lg_u32 s20, 1
	s_cbranch_scc0 .LBB325_16
; %bb.15:
	s_mul_hi_u32 s1, s20, s16
	s_mul_i32 s0, s20, s16
	s_lshl_b64 s[0:1], s[0:1], 2
	s_mov_b32 s7, 0
	s_add_u32 s2, s8, s0
	s_addc_u32 s3, s9, s1
	s_lshl_b64 s[0:1], s[6:7], 2
	s_add_u32 s0, s2, s0
	s_addc_u32 s1, s3, s1
	s_cbranch_execz .LBB325_17
	s_branch .LBB325_18
.LBB325_16:
                                        ; implicit-def: $sgpr0_sgpr1
.LBB325_17:
	s_lshl_b64 s[0:1], s[16:17], 2
	s_add_u32 s0, s10, s0
	s_addc_u32 s1, s11, s1
.LBB325_18:
	v_mov_b32_e32 v0, 0
	s_waitcnt lgkmcnt(0)
	global_store_dword v0, v2, s[0:1]
	s_endpgm
	.section	.rodata,"a",@progbits
	.p2align	6, 0x0
	.amdhsa_kernel _ZL18rocblas_dot_kernelIlLb0ELi512ELi4ELb1EfPKPK16rocblas_bfloat16fEviT5_lT_lS5_lS6_liPT6_PT4_
		.amdhsa_group_segment_fixed_size 256
		.amdhsa_private_segment_fixed_size 0
		.amdhsa_kernarg_size 352
		.amdhsa_user_sgpr_count 6
		.amdhsa_user_sgpr_private_segment_buffer 1
		.amdhsa_user_sgpr_dispatch_ptr 0
		.amdhsa_user_sgpr_queue_ptr 0
		.amdhsa_user_sgpr_kernarg_segment_ptr 1
		.amdhsa_user_sgpr_dispatch_id 0
		.amdhsa_user_sgpr_flat_scratch_init 0
		.amdhsa_user_sgpr_kernarg_preload_length 0
		.amdhsa_user_sgpr_kernarg_preload_offset 0
		.amdhsa_user_sgpr_private_segment_size 0
		.amdhsa_uses_dynamic_stack 0
		.amdhsa_system_sgpr_private_segment_wavefront_offset 0
		.amdhsa_system_sgpr_workgroup_id_x 1
		.amdhsa_system_sgpr_workgroup_id_y 0
		.amdhsa_system_sgpr_workgroup_id_z 1
		.amdhsa_system_sgpr_workgroup_info 0
		.amdhsa_system_vgpr_workitem_id 0
		.amdhsa_next_free_vgpr 11
		.amdhsa_next_free_sgpr 26
		.amdhsa_accum_offset 12
		.amdhsa_reserve_vcc 1
		.amdhsa_reserve_flat_scratch 0
		.amdhsa_float_round_mode_32 0
		.amdhsa_float_round_mode_16_64 0
		.amdhsa_float_denorm_mode_32 3
		.amdhsa_float_denorm_mode_16_64 3
		.amdhsa_dx10_clamp 1
		.amdhsa_ieee_mode 1
		.amdhsa_fp16_overflow 0
		.amdhsa_tg_split 0
		.amdhsa_exception_fp_ieee_invalid_op 0
		.amdhsa_exception_fp_denorm_src 0
		.amdhsa_exception_fp_ieee_div_zero 0
		.amdhsa_exception_fp_ieee_overflow 0
		.amdhsa_exception_fp_ieee_underflow 0
		.amdhsa_exception_fp_ieee_inexact 0
		.amdhsa_exception_int_div_zero 0
	.end_amdhsa_kernel
	.section	.text._ZL18rocblas_dot_kernelIlLb0ELi512ELi4ELb1EfPKPK16rocblas_bfloat16fEviT5_lT_lS5_lS6_liPT6_PT4_,"axG",@progbits,_ZL18rocblas_dot_kernelIlLb0ELi512ELi4ELb1EfPKPK16rocblas_bfloat16fEviT5_lT_lS5_lS6_liPT6_PT4_,comdat
.Lfunc_end325:
	.size	_ZL18rocblas_dot_kernelIlLb0ELi512ELi4ELb1EfPKPK16rocblas_bfloat16fEviT5_lT_lS5_lS6_liPT6_PT4_, .Lfunc_end325-_ZL18rocblas_dot_kernelIlLb0ELi512ELi4ELb1EfPKPK16rocblas_bfloat16fEviT5_lT_lS5_lS6_liPT6_PT4_
                                        ; -- End function
	.section	.AMDGPU.csdata,"",@progbits
; Kernel info:
; codeLenInByte = 1060
; NumSgprs: 30
; NumVgprs: 11
; NumAgprs: 0
; TotalNumVgprs: 11
; ScratchSize: 0
; MemoryBound: 0
; FloatMode: 240
; IeeeMode: 1
; LDSByteSize: 256 bytes/workgroup (compile time only)
; SGPRBlocks: 3
; VGPRBlocks: 1
; NumSGPRsForWavesPerEU: 30
; NumVGPRsForWavesPerEU: 11
; AccumOffset: 12
; Occupancy: 8
; WaveLimiterHint : 0
; COMPUTE_PGM_RSRC2:SCRATCH_EN: 0
; COMPUTE_PGM_RSRC2:USER_SGPR: 6
; COMPUTE_PGM_RSRC2:TRAP_HANDLER: 0
; COMPUTE_PGM_RSRC2:TGID_X_EN: 1
; COMPUTE_PGM_RSRC2:TGID_Y_EN: 0
; COMPUTE_PGM_RSRC2:TGID_Z_EN: 1
; COMPUTE_PGM_RSRC2:TIDIG_COMP_CNT: 0
; COMPUTE_PGM_RSRC3_GFX90A:ACCUM_OFFSET: 2
; COMPUTE_PGM_RSRC3_GFX90A:TG_SPLIT: 0
	.section	.text._ZL24rocblas_dot_kernel_magsqIlLb0ELi512ELi4ELb1EfPKPK16rocblas_bfloat16fEviT5_lT_liPT6_PT4_,"axG",@progbits,_ZL24rocblas_dot_kernel_magsqIlLb0ELi512ELi4ELb1EfPKPK16rocblas_bfloat16fEviT5_lT_liPT6_PT4_,comdat
	.globl	_ZL24rocblas_dot_kernel_magsqIlLb0ELi512ELi4ELb1EfPKPK16rocblas_bfloat16fEviT5_lT_liPT6_PT4_ ; -- Begin function _ZL24rocblas_dot_kernel_magsqIlLb0ELi512ELi4ELb1EfPKPK16rocblas_bfloat16fEviT5_lT_liPT6_PT4_
	.p2align	8
	.type	_ZL24rocblas_dot_kernel_magsqIlLb0ELi512ELi4ELb1EfPKPK16rocblas_bfloat16fEviT5_lT_liPT6_PT4_,@function
_ZL24rocblas_dot_kernel_magsqIlLb0ELi512ELi4ELb1EfPKPK16rocblas_bfloat16fEviT5_lT_liPT6_PT4_: ; @_ZL24rocblas_dot_kernel_magsqIlLb0ELi512ELi4ELb1EfPKPK16rocblas_bfloat16fEviT5_lT_liPT6_PT4_
; %bb.0:
	s_mov_b32 s2, s7
	s_load_dword s7, s[4:5], 0x0
	s_load_dwordx4 s[8:11], s[4:5], 0x30
	s_load_dword s16, s[4:5], 0x40
	v_lshl_or_b32 v2, s6, 9, v0
	s_mov_b32 s3, 0
	s_waitcnt lgkmcnt(0)
	v_cmp_gt_i32_e32 vcc, s7, v2
	v_mov_b32_e32 v1, 0
	s_and_saveexec_b64 s[12:13], vcc
	s_cbranch_execz .LBB326_4
; %bb.1:
	s_load_dwordx2 s[0:1], s[4:5], 0x8
	s_load_dwordx4 s[20:23], s[4:5], 0x10
	s_lshl_b64 s[4:5], s[2:3], 3
	v_ashrrev_i32_e32 v1, 31, v2
	s_waitcnt lgkmcnt(0)
	s_add_u32 s0, s0, s4
	s_addc_u32 s1, s1, s5
	s_load_dwordx2 s[0:1], s[0:1], 0x0
	s_lshl_b32 s17, s16, 9
	v_add_u32_e32 v4, s17, v2
	v_mul_lo_u32 v5, s23, v2
	v_mul_lo_u32 v1, s22, v1
	v_mad_u64_u32 v[2:3], s[4:5], s22, v2, 0
	v_add3_u32 v3, v3, v1, v5
	s_lshl_b64 s[4:5], s[20:21], 1
	v_lshlrev_b64 v[2:3], 1, v[2:3]
	s_waitcnt lgkmcnt(0)
	s_add_u32 s0, s0, s4
	s_addc_u32 s1, s1, s5
	v_add_co_u32_e32 v2, vcc, s0, v2
	s_ashr_i32 s0, s17, 31
	v_mov_b32_e32 v1, s1
	s_mul_i32 s0, s22, s0
	s_mul_hi_u32 s1, s22, s17
	s_add_i32 s0, s1, s0
	s_mul_i32 s1, s23, s17
	s_add_i32 s1, s0, s1
	s_mul_i32 s0, s22, s17
	s_lshl_b64 s[14:15], s[0:1], 1
	v_addc_co_u32_e32 v3, vcc, v1, v3, vcc
	s_mov_b64 s[4:5], 0
	v_mov_b32_e32 v1, 0
	v_mov_b32_e32 v5, s15
	s_mov_b32 s15, s3
.LBB326_2:                              ; =>This Inner Loop Header: Depth=1
	global_load_ushort v6, v[2:3], off
	s_add_i32 s18, s15, 1
	v_add_co_u32_e64 v2, s[0:1], s14, v2
	v_addc_co_u32_e64 v3, s[0:1], v3, v5, s[0:1]
	s_cmp_gt_u32 s15, 2
	v_cmp_le_i32_e32 vcc, s7, v4
	s_cselect_b64 s[0:1], -1, 0
	s_or_b64 s[0:1], s[0:1], vcc
	s_and_b64 s[0:1], exec, s[0:1]
	v_add_u32_e32 v4, s17, v4
	s_mov_b32 s15, s18
	s_or_b64 s[4:5], s[0:1], s[4:5]
	s_waitcnt vmcnt(0)
	v_lshlrev_b32_e32 v6, 16, v6
	v_fmac_f32_e32 v1, v6, v6
	s_andn2_b64 exec, exec, s[4:5]
	s_cbranch_execnz .LBB326_2
; %bb.3:
	s_or_b64 exec, exec, s[4:5]
.LBB326_4:
	s_or_b64 exec, exec, s[12:13]
	v_and_b32_e32 v3, 63, v0
	v_cmp_gt_u32_e32 vcc, 64, v0
	v_lshlrev_b32_e32 v2, 2, v3
	s_and_saveexec_b64 s[0:1], vcc
	s_cbranch_execz .LBB326_6
; %bb.5:
	v_mov_b32_e32 v4, 0
	ds_write_b32 v2, v4
.LBB326_6:
	s_or_b64 exec, exec, s[0:1]
	v_mbcnt_lo_u32_b32 v4, -1, 0
	v_mbcnt_hi_u32_b32 v6, -1, v4
	v_and_b32_e32 v7, 63, v6
	v_cmp_gt_u32_e64 s[0:1], 32, v7
	v_cndmask_b32_e64 v4, 0, 1, s[0:1]
	v_lshlrev_b32_e32 v4, 5, v4
	v_add_lshl_u32 v4, v4, v6, 2
	ds_bpermute_b32 v4, v4, v1
	v_cmp_gt_u32_e64 s[0:1], 48, v7
	v_cndmask_b32_e64 v5, 0, 1, s[0:1]
	v_lshlrev_b32_e32 v5, 4, v5
	v_cmp_gt_u32_e64 s[0:1], 56, v7
	s_waitcnt lgkmcnt(0)
	v_add_f32_e32 v1, v1, v4
	v_add_lshl_u32 v4, v5, v6, 2
	ds_bpermute_b32 v4, v4, v1
	v_cndmask_b32_e64 v5, 0, 1, s[0:1]
	v_lshlrev_b32_e32 v5, 3, v5
	v_cmp_gt_u32_e64 s[0:1], 60, v7
	s_waitcnt lgkmcnt(0)
	v_add_f32_e32 v1, v1, v4
	v_add_lshl_u32 v4, v5, v6, 2
	ds_bpermute_b32 v4, v4, v1
	v_cndmask_b32_e64 v5, 0, 1, s[0:1]
	v_lshlrev_b32_e32 v5, 2, v5
	v_cmp_gt_u32_e64 s[0:1], 62, v7
	v_cndmask_b32_e64 v8, 0, 1, s[0:1]
	s_waitcnt lgkmcnt(0)
	v_add_f32_e32 v1, v1, v4
	v_add_lshl_u32 v4, v5, v6, 2
	ds_bpermute_b32 v5, v4, v1
	v_lshlrev_b32_e32 v8, 1, v8
	v_cmp_ne_u32_e64 s[0:1], 63, v7
	s_barrier
	s_waitcnt lgkmcnt(0)
	v_add_f32_e32 v1, v1, v5
	v_add_lshl_u32 v5, v8, v6, 2
	ds_bpermute_b32 v8, v5, v1
	v_addc_co_u32_e64 v6, s[0:1], 0, v6, s[0:1]
	v_lshlrev_b32_e32 v6, 2, v6
	v_cmp_eq_u32_e64 s[0:1], 0, v3
	s_waitcnt lgkmcnt(0)
	v_add_f32_e32 v1, v1, v8
	ds_bpermute_b32 v7, v6, v1
	s_and_saveexec_b64 s[4:5], s[0:1]
	s_cbranch_execz .LBB326_8
; %bb.7:
	v_lshrrev_b32_e32 v3, 4, v0
	s_waitcnt lgkmcnt(0)
	v_add_f32_e32 v1, v1, v7
	v_and_b32_e32 v3, 28, v3
	ds_write_b32 v3, v1
.LBB326_8:
	s_or_b64 exec, exec, s[4:5]
	v_cmp_gt_u32_e64 s[0:1], 8, v0
	v_mov_b32_e32 v1, 0
	s_waitcnt lgkmcnt(0)
	s_barrier
	s_and_saveexec_b64 s[4:5], s[0:1]
	s_cbranch_execnz .LBB326_12
; %bb.9:
	s_or_b64 exec, exec, s[4:5]
	s_and_saveexec_b64 s[0:1], vcc
	s_cbranch_execnz .LBB326_13
.LBB326_10:
	s_or_b64 exec, exec, s[0:1]
	v_cmp_eq_u32_e32 vcc, 0, v0
	s_and_saveexec_b64 s[0:1], vcc
	s_cbranch_execnz .LBB326_14
.LBB326_11:
	s_endpgm
.LBB326_12:
	ds_read_b32 v1, v2
	s_or_b64 exec, exec, s[4:5]
	s_and_saveexec_b64 s[0:1], vcc
	s_cbranch_execz .LBB326_10
.LBB326_13:
	s_waitcnt lgkmcnt(0)
	ds_bpermute_b32 v2, v4, v1
	s_waitcnt lgkmcnt(0)
	v_add_f32_e32 v1, v1, v2
	ds_bpermute_b32 v2, v5, v1
	s_waitcnt lgkmcnt(0)
	v_add_f32_e32 v1, v1, v2
	;; [unrolled: 3-line block ×3, first 2 shown]
	s_or_b64 exec, exec, s[0:1]
	v_cmp_eq_u32_e32 vcc, 0, v0
	s_and_saveexec_b64 s[0:1], vcc
	s_cbranch_execz .LBB326_11
.LBB326_14:
	s_cmp_lg_u32 s16, 1
	s_cbranch_scc0 .LBB326_16
; %bb.15:
	s_mul_hi_u32 s1, s16, s2
	s_mul_i32 s0, s16, s2
	s_lshl_b64 s[0:1], s[0:1], 2
	s_mov_b32 s7, 0
	s_add_u32 s4, s8, s0
	s_addc_u32 s5, s9, s1
	s_lshl_b64 s[0:1], s[6:7], 2
	s_add_u32 s0, s4, s0
	s_addc_u32 s1, s5, s1
	s_cbranch_execz .LBB326_17
	s_branch .LBB326_18
.LBB326_16:
                                        ; implicit-def: $sgpr0_sgpr1
.LBB326_17:
	s_lshl_b64 s[0:1], s[2:3], 2
	s_add_u32 s0, s10, s0
	s_addc_u32 s1, s11, s1
.LBB326_18:
	v_mov_b32_e32 v0, 0
	s_waitcnt lgkmcnt(0)
	global_store_dword v0, v1, s[0:1]
	s_endpgm
	.section	.rodata,"a",@progbits
	.p2align	6, 0x0
	.amdhsa_kernel _ZL24rocblas_dot_kernel_magsqIlLb0ELi512ELi4ELb1EfPKPK16rocblas_bfloat16fEviT5_lT_liPT6_PT4_
		.amdhsa_group_segment_fixed_size 256
		.amdhsa_private_segment_fixed_size 0
		.amdhsa_kernarg_size 320
		.amdhsa_user_sgpr_count 6
		.amdhsa_user_sgpr_private_segment_buffer 1
		.amdhsa_user_sgpr_dispatch_ptr 0
		.amdhsa_user_sgpr_queue_ptr 0
		.amdhsa_user_sgpr_kernarg_segment_ptr 1
		.amdhsa_user_sgpr_dispatch_id 0
		.amdhsa_user_sgpr_flat_scratch_init 0
		.amdhsa_user_sgpr_kernarg_preload_length 0
		.amdhsa_user_sgpr_kernarg_preload_offset 0
		.amdhsa_user_sgpr_private_segment_size 0
		.amdhsa_uses_dynamic_stack 0
		.amdhsa_system_sgpr_private_segment_wavefront_offset 0
		.amdhsa_system_sgpr_workgroup_id_x 1
		.amdhsa_system_sgpr_workgroup_id_y 0
		.amdhsa_system_sgpr_workgroup_id_z 1
		.amdhsa_system_sgpr_workgroup_info 0
		.amdhsa_system_vgpr_workitem_id 0
		.amdhsa_next_free_vgpr 9
		.amdhsa_next_free_sgpr 24
		.amdhsa_accum_offset 12
		.amdhsa_reserve_vcc 1
		.amdhsa_reserve_flat_scratch 0
		.amdhsa_float_round_mode_32 0
		.amdhsa_float_round_mode_16_64 0
		.amdhsa_float_denorm_mode_32 3
		.amdhsa_float_denorm_mode_16_64 3
		.amdhsa_dx10_clamp 1
		.amdhsa_ieee_mode 1
		.amdhsa_fp16_overflow 0
		.amdhsa_tg_split 0
		.amdhsa_exception_fp_ieee_invalid_op 0
		.amdhsa_exception_fp_denorm_src 0
		.amdhsa_exception_fp_ieee_div_zero 0
		.amdhsa_exception_fp_ieee_overflow 0
		.amdhsa_exception_fp_ieee_underflow 0
		.amdhsa_exception_fp_ieee_inexact 0
		.amdhsa_exception_int_div_zero 0
	.end_amdhsa_kernel
	.section	.text._ZL24rocblas_dot_kernel_magsqIlLb0ELi512ELi4ELb1EfPKPK16rocblas_bfloat16fEviT5_lT_liPT6_PT4_,"axG",@progbits,_ZL24rocblas_dot_kernel_magsqIlLb0ELi512ELi4ELb1EfPKPK16rocblas_bfloat16fEviT5_lT_liPT6_PT4_,comdat
.Lfunc_end326:
	.size	_ZL24rocblas_dot_kernel_magsqIlLb0ELi512ELi4ELb1EfPKPK16rocblas_bfloat16fEviT5_lT_liPT6_PT4_, .Lfunc_end326-_ZL24rocblas_dot_kernel_magsqIlLb0ELi512ELi4ELb1EfPKPK16rocblas_bfloat16fEviT5_lT_liPT6_PT4_
                                        ; -- End function
	.section	.AMDGPU.csdata,"",@progbits
; Kernel info:
; codeLenInByte = 900
; NumSgprs: 28
; NumVgprs: 9
; NumAgprs: 0
; TotalNumVgprs: 9
; ScratchSize: 0
; MemoryBound: 0
; FloatMode: 240
; IeeeMode: 1
; LDSByteSize: 256 bytes/workgroup (compile time only)
; SGPRBlocks: 3
; VGPRBlocks: 1
; NumSGPRsForWavesPerEU: 28
; NumVGPRsForWavesPerEU: 9
; AccumOffset: 12
; Occupancy: 8
; WaveLimiterHint : 0
; COMPUTE_PGM_RSRC2:SCRATCH_EN: 0
; COMPUTE_PGM_RSRC2:USER_SGPR: 6
; COMPUTE_PGM_RSRC2:TRAP_HANDLER: 0
; COMPUTE_PGM_RSRC2:TGID_X_EN: 1
; COMPUTE_PGM_RSRC2:TGID_Y_EN: 0
; COMPUTE_PGM_RSRC2:TGID_Z_EN: 1
; COMPUTE_PGM_RSRC2:TIDIG_COMP_CNT: 0
; COMPUTE_PGM_RSRC3_GFX90A:ACCUM_OFFSET: 2
; COMPUTE_PGM_RSRC3_GFX90A:TG_SPLIT: 0
	.section	.text._ZL28rocblas_dot_batched_4_kernelIlLi32ELi4ELb0EffPKDF16_EviT5_lT_lS2_lS3_liPT4_,"axG",@progbits,_ZL28rocblas_dot_batched_4_kernelIlLi32ELi4ELb0EffPKDF16_EviT5_lT_lS2_lS3_liPT4_,comdat
	.globl	_ZL28rocblas_dot_batched_4_kernelIlLi32ELi4ELb0EffPKDF16_EviT5_lT_lS2_lS3_liPT4_ ; -- Begin function _ZL28rocblas_dot_batched_4_kernelIlLi32ELi4ELb0EffPKDF16_EviT5_lT_lS2_lS3_liPT4_
	.p2align	8
	.type	_ZL28rocblas_dot_batched_4_kernelIlLi32ELi4ELb0EffPKDF16_EviT5_lT_lS2_lS3_liPT4_,@function
_ZL28rocblas_dot_batched_4_kernelIlLi32ELi4ELb0EffPKDF16_EviT5_lT_lS2_lS3_liPT4_: ; @_ZL28rocblas_dot_batched_4_kernelIlLi32ELi4ELb0EffPKDF16_EviT5_lT_lS2_lS3_liPT4_
; %bb.0:
	s_load_dword s0, s[4:5], 0x48
	v_bfe_u32 v1, v0, 10, 10
	v_lshl_add_u32 v2, s6, 2, v1
	s_waitcnt lgkmcnt(0)
	v_cmp_gt_u32_e32 vcc, s0, v2
	s_and_saveexec_b64 s[0:1], vcc
	s_cbranch_execz .LBB327_7
; %bb.1:
	s_load_dword s16, s[4:5], 0x0
	s_load_dwordx2 s[0:1], s[4:5], 0x50
	v_mov_b32_e32 v3, 0
	v_and_b32_e32 v6, 0x3ff, v0
	v_mov_b32_e32 v7, v3
	s_waitcnt lgkmcnt(0)
	v_cmp_gt_i32_e32 vcc, s16, v6
	s_and_saveexec_b64 s[2:3], vcc
	s_cbranch_execz .LBB327_5
; %bb.2:
	s_load_dwordx4 s[20:23], s[4:5], 0x10
	s_load_dwordx2 s[6:7], s[4:5], 0x8
	s_load_dwordx8 s[8:15], s[4:5], 0x20
	s_load_dwordx2 s[18:19], s[4:5], 0x40
	s_waitcnt lgkmcnt(0)
	v_mad_u64_u32 v[0:1], s[4:5], s22, v6, 0
	v_mov_b32_e32 v4, v1
	v_mad_u64_u32 v[4:5], s[4:5], s23, v6, v[4:5]
	v_mov_b32_e32 v1, v4
	;; [unrolled: 2-line block ×4, first 2 shown]
	v_lshlrev_b64 v[0:1], 1, v[0:1]
	v_lshlrev_b64 v[4:5], 1, v[4:5]
	s_lshl_b64 s[4:5], s[20:21], 1
	v_add_co_u32_e32 v0, vcc, v0, v4
	s_add_u32 s4, s6, s4
	v_addc_co_u32_e32 v1, vcc, v1, v5, vcc
	s_addc_u32 s5, s7, s5
	v_mov_b32_e32 v4, s5
	v_add_co_u32_e32 v0, vcc, s4, v0
	v_addc_co_u32_e32 v1, vcc, v4, v1, vcc
	v_mad_u64_u32 v[4:5], s[6:7], s14, v6, 0
	v_mov_b32_e32 v8, v5
	v_mad_u64_u32 v[8:9], s[6:7], s15, v6, v[8:9]
	v_mov_b32_e32 v5, v8
	;; [unrolled: 2-line block ×4, first 2 shown]
	s_lshl_b64 s[4:5], s[22:23], 6
	v_lshlrev_b64 v[4:5], 1, v[4:5]
	v_lshlrev_b64 v[8:9], 1, v[8:9]
	s_lshl_b64 s[6:7], s[12:13], 1
	v_add_co_u32_e32 v4, vcc, v4, v8
	s_add_u32 s6, s10, s6
	v_addc_co_u32_e32 v5, vcc, v5, v9, vcc
	s_addc_u32 s7, s11, s7
	v_mov_b32_e32 v7, s7
	v_add_co_u32_e32 v4, vcc, s6, v4
	s_lshl_b64 s[8:9], s[14:15], 6
	v_addc_co_u32_e32 v5, vcc, v7, v5, vcc
	s_mov_b64 s[6:7], 0
	v_mov_b32_e32 v7, 0
	v_mov_b32_e32 v8, s5
	;; [unrolled: 1-line block ×4, first 2 shown]
.LBB327_3:                              ; =>This Inner Loop Header: Depth=1
	global_load_ushort v11, v[0:1], off
	global_load_ushort v12, v[4:5], off
	v_add_co_u32_e32 v0, vcc, s4, v0
	v_addc_co_u32_e32 v1, vcc, v1, v8, vcc
	v_add_co_u32_e32 v4, vcc, s8, v4
	v_add_u32_e32 v10, 32, v10
	v_addc_co_u32_e32 v5, vcc, v5, v9, vcc
	v_cmp_le_i32_e32 vcc, s16, v10
	s_or_b64 s[6:7], vcc, s[6:7]
	s_waitcnt vmcnt(0)
	v_fma_mix_f32 v7, v11, v12, v7 op_sel_hi:[1,1,0]
	s_andn2_b64 exec, exec, s[6:7]
	s_cbranch_execnz .LBB327_3
; %bb.4:
	s_or_b64 exec, exec, s[6:7]
.LBB327_5:
	s_or_b64 exec, exec, s[2:3]
	v_mbcnt_lo_u32_b32 v0, -1, 0
	v_mbcnt_hi_u32_b32 v0, -1, v0
	v_and_b32_e32 v1, 63, v0
	v_cmp_gt_u32_e32 vcc, 48, v1
	v_cndmask_b32_e64 v4, 0, 1, vcc
	v_lshlrev_b32_e32 v4, 4, v4
	v_add_lshl_u32 v4, v4, v0, 2
	ds_bpermute_b32 v4, v4, v7
	v_cmp_gt_u32_e32 vcc, 56, v1
	v_cndmask_b32_e64 v5, 0, 1, vcc
	v_lshlrev_b32_e32 v5, 3, v5
	v_add_lshl_u32 v5, v5, v0, 2
	s_waitcnt lgkmcnt(0)
	v_add_f32_e32 v4, v7, v4
	ds_bpermute_b32 v5, v5, v4
	v_cmp_gt_u32_e32 vcc, 60, v1
	v_cndmask_b32_e64 v7, 0, 1, vcc
	v_lshlrev_b32_e32 v7, 2, v7
	v_cmp_gt_u32_e32 vcc, 62, v1
	s_waitcnt lgkmcnt(0)
	v_add_f32_e32 v4, v4, v5
	v_add_lshl_u32 v5, v7, v0, 2
	ds_bpermute_b32 v5, v5, v4
	v_cndmask_b32_e64 v7, 0, 1, vcc
	v_lshlrev_b32_e32 v7, 1, v7
	v_cmp_ne_u32_e32 vcc, 63, v1
	v_addc_co_u32_e32 v1, vcc, 0, v0, vcc
	s_waitcnt lgkmcnt(0)
	v_add_f32_e32 v4, v4, v5
	v_add_lshl_u32 v5, v7, v0, 2
	ds_bpermute_b32 v5, v5, v4
	v_lshlrev_b32_e32 v1, 2, v1
	v_cmp_eq_u32_e32 vcc, 0, v6
	s_waitcnt lgkmcnt(0)
	s_barrier
	v_add_f32_e32 v0, v4, v5
	ds_bpermute_b32 v1, v1, v0
	s_waitcnt lgkmcnt(0)
	s_and_b64 exec, exec, vcc
	s_cbranch_execz .LBB327_7
; %bb.6:
	v_lshlrev_b64 v[2:3], 2, v[2:3]
	v_mov_b32_e32 v4, s1
	v_add_co_u32_e32 v2, vcc, s0, v2
	v_addc_co_u32_e32 v3, vcc, v4, v3, vcc
	v_add_f32_e32 v0, v0, v1
	global_store_dword v[2:3], v0, off
.LBB327_7:
	s_endpgm
	.section	.rodata,"a",@progbits
	.p2align	6, 0x0
	.amdhsa_kernel _ZL28rocblas_dot_batched_4_kernelIlLi32ELi4ELb0EffPKDF16_EviT5_lT_lS2_lS3_liPT4_
		.amdhsa_group_segment_fixed_size 0
		.amdhsa_private_segment_fixed_size 0
		.amdhsa_kernarg_size 88
		.amdhsa_user_sgpr_count 6
		.amdhsa_user_sgpr_private_segment_buffer 1
		.amdhsa_user_sgpr_dispatch_ptr 0
		.amdhsa_user_sgpr_queue_ptr 0
		.amdhsa_user_sgpr_kernarg_segment_ptr 1
		.amdhsa_user_sgpr_dispatch_id 0
		.amdhsa_user_sgpr_flat_scratch_init 0
		.amdhsa_user_sgpr_kernarg_preload_length 0
		.amdhsa_user_sgpr_kernarg_preload_offset 0
		.amdhsa_user_sgpr_private_segment_size 0
		.amdhsa_uses_dynamic_stack 0
		.amdhsa_system_sgpr_private_segment_wavefront_offset 0
		.amdhsa_system_sgpr_workgroup_id_x 1
		.amdhsa_system_sgpr_workgroup_id_y 0
		.amdhsa_system_sgpr_workgroup_id_z 0
		.amdhsa_system_sgpr_workgroup_info 0
		.amdhsa_system_vgpr_workitem_id 1
		.amdhsa_next_free_vgpr 13
		.amdhsa_next_free_sgpr 24
		.amdhsa_accum_offset 16
		.amdhsa_reserve_vcc 1
		.amdhsa_reserve_flat_scratch 0
		.amdhsa_float_round_mode_32 0
		.amdhsa_float_round_mode_16_64 0
		.amdhsa_float_denorm_mode_32 3
		.amdhsa_float_denorm_mode_16_64 3
		.amdhsa_dx10_clamp 1
		.amdhsa_ieee_mode 1
		.amdhsa_fp16_overflow 0
		.amdhsa_tg_split 0
		.amdhsa_exception_fp_ieee_invalid_op 0
		.amdhsa_exception_fp_denorm_src 0
		.amdhsa_exception_fp_ieee_div_zero 0
		.amdhsa_exception_fp_ieee_overflow 0
		.amdhsa_exception_fp_ieee_underflow 0
		.amdhsa_exception_fp_ieee_inexact 0
		.amdhsa_exception_int_div_zero 0
	.end_amdhsa_kernel
	.section	.text._ZL28rocblas_dot_batched_4_kernelIlLi32ELi4ELb0EffPKDF16_EviT5_lT_lS2_lS3_liPT4_,"axG",@progbits,_ZL28rocblas_dot_batched_4_kernelIlLi32ELi4ELb0EffPKDF16_EviT5_lT_lS2_lS3_liPT4_,comdat
.Lfunc_end327:
	.size	_ZL28rocblas_dot_batched_4_kernelIlLi32ELi4ELb0EffPKDF16_EviT5_lT_lS2_lS3_liPT4_, .Lfunc_end327-_ZL28rocblas_dot_batched_4_kernelIlLi32ELi4ELb0EffPKDF16_EviT5_lT_lS2_lS3_liPT4_
                                        ; -- End function
	.section	.AMDGPU.csdata,"",@progbits
; Kernel info:
; codeLenInByte = 672
; NumSgprs: 28
; NumVgprs: 13
; NumAgprs: 0
; TotalNumVgprs: 13
; ScratchSize: 0
; MemoryBound: 0
; FloatMode: 240
; IeeeMode: 1
; LDSByteSize: 0 bytes/workgroup (compile time only)
; SGPRBlocks: 3
; VGPRBlocks: 1
; NumSGPRsForWavesPerEU: 28
; NumVGPRsForWavesPerEU: 13
; AccumOffset: 16
; Occupancy: 8
; WaveLimiterHint : 0
; COMPUTE_PGM_RSRC2:SCRATCH_EN: 0
; COMPUTE_PGM_RSRC2:USER_SGPR: 6
; COMPUTE_PGM_RSRC2:TRAP_HANDLER: 0
; COMPUTE_PGM_RSRC2:TGID_X_EN: 1
; COMPUTE_PGM_RSRC2:TGID_Y_EN: 0
; COMPUTE_PGM_RSRC2:TGID_Z_EN: 0
; COMPUTE_PGM_RSRC2:TIDIG_COMP_CNT: 1
; COMPUTE_PGM_RSRC3_GFX90A:ACCUM_OFFSET: 3
; COMPUTE_PGM_RSRC3_GFX90A:TG_SPLIT: 0
	.section	.text._ZL28rocblas_dot_batched_4_kernelIlLi64ELi4ELb0EffPKDF16_EviT5_lT_lS2_lS3_liPT4_,"axG",@progbits,_ZL28rocblas_dot_batched_4_kernelIlLi64ELi4ELb0EffPKDF16_EviT5_lT_lS2_lS3_liPT4_,comdat
	.globl	_ZL28rocblas_dot_batched_4_kernelIlLi64ELi4ELb0EffPKDF16_EviT5_lT_lS2_lS3_liPT4_ ; -- Begin function _ZL28rocblas_dot_batched_4_kernelIlLi64ELi4ELb0EffPKDF16_EviT5_lT_lS2_lS3_liPT4_
	.p2align	8
	.type	_ZL28rocblas_dot_batched_4_kernelIlLi64ELi4ELb0EffPKDF16_EviT5_lT_lS2_lS3_liPT4_,@function
_ZL28rocblas_dot_batched_4_kernelIlLi64ELi4ELb0EffPKDF16_EviT5_lT_lS2_lS3_liPT4_: ; @_ZL28rocblas_dot_batched_4_kernelIlLi64ELi4ELb0EffPKDF16_EviT5_lT_lS2_lS3_liPT4_
; %bb.0:
	s_load_dword s0, s[4:5], 0x48
	v_bfe_u32 v1, v0, 10, 10
	v_lshl_add_u32 v2, s6, 2, v1
	s_waitcnt lgkmcnt(0)
	v_cmp_gt_u32_e32 vcc, s0, v2
	s_and_saveexec_b64 s[0:1], vcc
	s_cbranch_execz .LBB328_7
; %bb.1:
	s_load_dword s16, s[4:5], 0x0
	s_load_dwordx2 s[0:1], s[4:5], 0x50
	v_mov_b32_e32 v3, 0
	v_and_b32_e32 v6, 0x3ff, v0
	v_mov_b32_e32 v7, v3
	s_waitcnt lgkmcnt(0)
	v_cmp_gt_i32_e32 vcc, s16, v6
	s_and_saveexec_b64 s[2:3], vcc
	s_cbranch_execz .LBB328_5
; %bb.2:
	s_load_dwordx4 s[20:23], s[4:5], 0x10
	s_load_dwordx2 s[6:7], s[4:5], 0x8
	s_load_dwordx8 s[8:15], s[4:5], 0x20
	s_load_dwordx2 s[18:19], s[4:5], 0x40
	s_waitcnt lgkmcnt(0)
	v_mad_u64_u32 v[0:1], s[4:5], s22, v6, 0
	v_mov_b32_e32 v4, v1
	v_mad_u64_u32 v[4:5], s[4:5], s23, v6, v[4:5]
	v_mov_b32_e32 v1, v4
	;; [unrolled: 2-line block ×4, first 2 shown]
	v_lshlrev_b64 v[0:1], 1, v[0:1]
	v_lshlrev_b64 v[4:5], 1, v[4:5]
	s_lshl_b64 s[4:5], s[20:21], 1
	v_add_co_u32_e32 v0, vcc, v0, v4
	s_add_u32 s4, s6, s4
	v_addc_co_u32_e32 v1, vcc, v1, v5, vcc
	s_addc_u32 s5, s7, s5
	v_mov_b32_e32 v4, s5
	v_add_co_u32_e32 v0, vcc, s4, v0
	v_addc_co_u32_e32 v1, vcc, v4, v1, vcc
	v_mad_u64_u32 v[4:5], s[6:7], s14, v6, 0
	v_mov_b32_e32 v8, v5
	v_mad_u64_u32 v[8:9], s[6:7], s15, v6, v[8:9]
	v_mov_b32_e32 v5, v8
	;; [unrolled: 2-line block ×4, first 2 shown]
	s_lshl_b64 s[4:5], s[22:23], 7
	v_lshlrev_b64 v[4:5], 1, v[4:5]
	v_lshlrev_b64 v[8:9], 1, v[8:9]
	s_lshl_b64 s[6:7], s[12:13], 1
	v_add_co_u32_e32 v4, vcc, v4, v8
	s_add_u32 s6, s10, s6
	v_addc_co_u32_e32 v5, vcc, v5, v9, vcc
	s_addc_u32 s7, s11, s7
	v_mov_b32_e32 v7, s7
	v_add_co_u32_e32 v4, vcc, s6, v4
	s_lshl_b64 s[8:9], s[14:15], 7
	v_addc_co_u32_e32 v5, vcc, v7, v5, vcc
	s_mov_b64 s[6:7], 0
	v_mov_b32_e32 v7, 0
	v_mov_b32_e32 v8, s5
	;; [unrolled: 1-line block ×4, first 2 shown]
.LBB328_3:                              ; =>This Inner Loop Header: Depth=1
	global_load_ushort v11, v[0:1], off
	global_load_ushort v12, v[4:5], off
	v_add_co_u32_e32 v0, vcc, s4, v0
	v_addc_co_u32_e32 v1, vcc, v1, v8, vcc
	v_add_co_u32_e32 v4, vcc, s8, v4
	v_add_u32_e32 v10, 64, v10
	v_addc_co_u32_e32 v5, vcc, v5, v9, vcc
	v_cmp_le_i32_e32 vcc, s16, v10
	s_or_b64 s[6:7], vcc, s[6:7]
	s_waitcnt vmcnt(0)
	v_fma_mix_f32 v7, v11, v12, v7 op_sel_hi:[1,1,0]
	s_andn2_b64 exec, exec, s[6:7]
	s_cbranch_execnz .LBB328_3
; %bb.4:
	s_or_b64 exec, exec, s[6:7]
.LBB328_5:
	s_or_b64 exec, exec, s[2:3]
	v_mbcnt_lo_u32_b32 v0, -1, 0
	v_mbcnt_hi_u32_b32 v0, -1, v0
	v_and_b32_e32 v1, 63, v0
	v_cmp_gt_u32_e32 vcc, 32, v1
	v_cndmask_b32_e64 v4, 0, 1, vcc
	v_lshlrev_b32_e32 v4, 5, v4
	v_add_lshl_u32 v4, v4, v0, 2
	ds_bpermute_b32 v4, v4, v7
	v_cmp_gt_u32_e32 vcc, 48, v1
	v_cndmask_b32_e64 v5, 0, 1, vcc
	v_lshlrev_b32_e32 v5, 4, v5
	v_add_lshl_u32 v5, v5, v0, 2
	s_waitcnt lgkmcnt(0)
	v_add_f32_e32 v4, v7, v4
	ds_bpermute_b32 v5, v5, v4
	v_cmp_gt_u32_e32 vcc, 56, v1
	v_cndmask_b32_e64 v7, 0, 1, vcc
	v_lshlrev_b32_e32 v7, 3, v7
	v_cmp_gt_u32_e32 vcc, 60, v1
	s_waitcnt lgkmcnt(0)
	v_add_f32_e32 v4, v4, v5
	v_add_lshl_u32 v5, v7, v0, 2
	ds_bpermute_b32 v5, v5, v4
	v_cndmask_b32_e64 v7, 0, 1, vcc
	v_lshlrev_b32_e32 v7, 2, v7
	v_cmp_gt_u32_e32 vcc, 62, v1
	s_waitcnt lgkmcnt(0)
	v_add_f32_e32 v4, v4, v5
	v_add_lshl_u32 v5, v7, v0, 2
	ds_bpermute_b32 v5, v5, v4
	v_cndmask_b32_e64 v7, 0, 1, vcc
	v_lshlrev_b32_e32 v7, 1, v7
	v_cmp_ne_u32_e32 vcc, 63, v1
	v_addc_co_u32_e32 v1, vcc, 0, v0, vcc
	s_waitcnt lgkmcnt(0)
	v_add_f32_e32 v4, v4, v5
	v_add_lshl_u32 v5, v7, v0, 2
	ds_bpermute_b32 v5, v5, v4
	v_lshlrev_b32_e32 v1, 2, v1
	v_cmp_eq_u32_e32 vcc, 0, v6
	s_barrier
	s_waitcnt lgkmcnt(0)
	v_add_f32_e32 v0, v4, v5
	ds_bpermute_b32 v1, v1, v0
	s_and_b64 exec, exec, vcc
	s_cbranch_execz .LBB328_7
; %bb.6:
	v_lshlrev_b64 v[2:3], 2, v[2:3]
	v_mov_b32_e32 v4, s1
	v_add_co_u32_e32 v2, vcc, s0, v2
	v_addc_co_u32_e32 v3, vcc, v4, v3, vcc
	s_waitcnt lgkmcnt(0)
	v_add_f32_e32 v0, v0, v1
	global_store_dword v[2:3], v0, off
.LBB328_7:
	s_endpgm
	.section	.rodata,"a",@progbits
	.p2align	6, 0x0
	.amdhsa_kernel _ZL28rocblas_dot_batched_4_kernelIlLi64ELi4ELb0EffPKDF16_EviT5_lT_lS2_lS3_liPT4_
		.amdhsa_group_segment_fixed_size 0
		.amdhsa_private_segment_fixed_size 0
		.amdhsa_kernarg_size 88
		.amdhsa_user_sgpr_count 6
		.amdhsa_user_sgpr_private_segment_buffer 1
		.amdhsa_user_sgpr_dispatch_ptr 0
		.amdhsa_user_sgpr_queue_ptr 0
		.amdhsa_user_sgpr_kernarg_segment_ptr 1
		.amdhsa_user_sgpr_dispatch_id 0
		.amdhsa_user_sgpr_flat_scratch_init 0
		.amdhsa_user_sgpr_kernarg_preload_length 0
		.amdhsa_user_sgpr_kernarg_preload_offset 0
		.amdhsa_user_sgpr_private_segment_size 0
		.amdhsa_uses_dynamic_stack 0
		.amdhsa_system_sgpr_private_segment_wavefront_offset 0
		.amdhsa_system_sgpr_workgroup_id_x 1
		.amdhsa_system_sgpr_workgroup_id_y 0
		.amdhsa_system_sgpr_workgroup_id_z 0
		.amdhsa_system_sgpr_workgroup_info 0
		.amdhsa_system_vgpr_workitem_id 1
		.amdhsa_next_free_vgpr 13
		.amdhsa_next_free_sgpr 24
		.amdhsa_accum_offset 16
		.amdhsa_reserve_vcc 1
		.amdhsa_reserve_flat_scratch 0
		.amdhsa_float_round_mode_32 0
		.amdhsa_float_round_mode_16_64 0
		.amdhsa_float_denorm_mode_32 3
		.amdhsa_float_denorm_mode_16_64 3
		.amdhsa_dx10_clamp 1
		.amdhsa_ieee_mode 1
		.amdhsa_fp16_overflow 0
		.amdhsa_tg_split 0
		.amdhsa_exception_fp_ieee_invalid_op 0
		.amdhsa_exception_fp_denorm_src 0
		.amdhsa_exception_fp_ieee_div_zero 0
		.amdhsa_exception_fp_ieee_overflow 0
		.amdhsa_exception_fp_ieee_underflow 0
		.amdhsa_exception_fp_ieee_inexact 0
		.amdhsa_exception_int_div_zero 0
	.end_amdhsa_kernel
	.section	.text._ZL28rocblas_dot_batched_4_kernelIlLi64ELi4ELb0EffPKDF16_EviT5_lT_lS2_lS3_liPT4_,"axG",@progbits,_ZL28rocblas_dot_batched_4_kernelIlLi64ELi4ELb0EffPKDF16_EviT5_lT_lS2_lS3_liPT4_,comdat
.Lfunc_end328:
	.size	_ZL28rocblas_dot_batched_4_kernelIlLi64ELi4ELb0EffPKDF16_EviT5_lT_lS2_lS3_liPT4_, .Lfunc_end328-_ZL28rocblas_dot_batched_4_kernelIlLi64ELi4ELb0EffPKDF16_EviT5_lT_lS2_lS3_liPT4_
                                        ; -- End function
	.section	.AMDGPU.csdata,"",@progbits
; Kernel info:
; codeLenInByte = 712
; NumSgprs: 28
; NumVgprs: 13
; NumAgprs: 0
; TotalNumVgprs: 13
; ScratchSize: 0
; MemoryBound: 0
; FloatMode: 240
; IeeeMode: 1
; LDSByteSize: 0 bytes/workgroup (compile time only)
; SGPRBlocks: 3
; VGPRBlocks: 1
; NumSGPRsForWavesPerEU: 28
; NumVGPRsForWavesPerEU: 13
; AccumOffset: 16
; Occupancy: 8
; WaveLimiterHint : 0
; COMPUTE_PGM_RSRC2:SCRATCH_EN: 0
; COMPUTE_PGM_RSRC2:USER_SGPR: 6
; COMPUTE_PGM_RSRC2:TRAP_HANDLER: 0
; COMPUTE_PGM_RSRC2:TGID_X_EN: 1
; COMPUTE_PGM_RSRC2:TGID_Y_EN: 0
; COMPUTE_PGM_RSRC2:TGID_Z_EN: 0
; COMPUTE_PGM_RSRC2:TIDIG_COMP_CNT: 1
; COMPUTE_PGM_RSRC3_GFX90A:ACCUM_OFFSET: 3
; COMPUTE_PGM_RSRC3_GFX90A:TG_SPLIT: 0
	.section	.text._ZL26rocblas_dot_kernel_inc1by2ILb1ELi1024ELi32ELb0EfPKDF16_fEviT4_llS2_lliPT5_PT3_,"axG",@progbits,_ZL26rocblas_dot_kernel_inc1by2ILb1ELi1024ELi32ELb0EfPKDF16_fEviT4_llS2_lliPT5_PT3_,comdat
	.globl	_ZL26rocblas_dot_kernel_inc1by2ILb1ELi1024ELi32ELb0EfPKDF16_fEviT4_llS2_lliPT5_PT3_ ; -- Begin function _ZL26rocblas_dot_kernel_inc1by2ILb1ELi1024ELi32ELb0EfPKDF16_fEviT4_llS2_lliPT5_PT3_
	.p2align	8
	.type	_ZL26rocblas_dot_kernel_inc1by2ILb1ELi1024ELi32ELb0EfPKDF16_fEviT4_llS2_lliPT5_PT3_,@function
_ZL26rocblas_dot_kernel_inc1by2ILb1ELi1024ELi32ELb0EfPKDF16_fEviT4_llS2_lliPT5_PT3_: ; @_ZL26rocblas_dot_kernel_inc1by2ILb1ELi1024ELi32ELb0EfPKDF16_fEviT4_llS2_lliPT5_PT3_
; %bb.0:
	s_mov_b32 s2, s7
	s_load_dword s24, s[4:5], 0x0
	s_load_dwordx2 s[18:19], s[4:5], 0x8
	s_load_dwordx4 s[12:15], s[4:5], 0x10
	s_load_dwordx2 s[16:17], s[4:5], 0x20
	s_load_dwordx2 s[6:7], s[4:5], 0x48
	s_load_dwordx4 s[8:11], s[4:5], 0x28
	v_lshlrev_b32_e32 v6, 1, v0
	s_waitcnt lgkmcnt(0)
	s_mul_i32 s0, s2, s15
	s_mul_hi_u32 s1, s2, s14
	s_add_i32 s15, s1, s0
	s_mul_i32 s0, s2, s11
	s_mul_hi_u32 s1, s2, s10
	s_add_i32 s4, s24, -1
	s_mov_b32 s3, 0
	s_mul_i32 s14, s2, s14
	s_add_i32 s11, s1, s0
	s_mul_i32 s10, s2, s10
	v_cmp_gt_i32_e32 vcc, s4, v6
	v_mov_b32_e32 v1, 0
	s_and_saveexec_b64 s[20:21], vcc
	s_cbranch_execz .LBB329_4
; %bb.1:
	s_lshl_b64 s[0:1], s[10:11], 1
	s_lshl_b64 s[22:23], s[8:9], 1
	s_add_u32 s5, s16, s22
	s_addc_u32 s22, s17, s23
	s_add_u32 s0, s5, s0
	v_lshlrev_b32_e32 v4, 2, v0
	s_addc_u32 s1, s22, s1
	v_mov_b32_e32 v3, s1
	v_add_co_u32_e32 v2, vcc, s0, v4
	s_lshl_b64 s[0:1], s[14:15], 1
	s_lshl_b64 s[22:23], s[12:13], 1
	s_add_u32 s5, s18, s22
	s_addc_u32 s22, s19, s23
	s_add_u32 s0, s5, s0
	v_addc_co_u32_e32 v3, vcc, 0, v3, vcc
	s_addc_u32 s1, s22, s1
	v_mov_b32_e32 v5, s1
	v_add_co_u32_e32 v4, vcc, s0, v4
	v_mov_b32_e32 v1, 0
	v_addc_co_u32_e32 v5, vcc, 0, v5, vcc
	s_mov_b64 s[22:23], 0
	s_mov_b32 s5, s3
.LBB329_2:                              ; =>This Inner Loop Header: Depth=1
	global_load_dword v7, v[2:3], off
	global_load_dword v10, v[4:5], off
	s_add_i32 s25, s5, 1
	v_add_u32_e32 v6, 0x800, v6
	s_cmp_gt_u32 s5, 30
	v_add_co_u32_e32 v2, vcc, 0x1000, v2
	v_cmp_le_i32_e64 s[0:1], s4, v6
	s_cselect_b64 s[26:27], -1, 0
	v_addc_co_u32_e32 v3, vcc, 0, v3, vcc
	s_or_b64 s[0:1], s[26:27], s[0:1]
	v_add_co_u32_e32 v4, vcc, 0x1000, v4
	s_and_b64 s[0:1], exec, s[0:1]
	s_mov_b32 s5, s25
	v_addc_co_u32_e32 v5, vcc, 0, v5, vcc
	s_or_b64 s[22:23], s[0:1], s[22:23]
	s_waitcnt vmcnt(1)
	v_cvt_f32_f16_sdwa v9, v7 dst_sel:DWORD dst_unused:UNUSED_PAD src0_sel:WORD_1
	v_cvt_f32_f16_e32 v8, v7
	s_waitcnt vmcnt(0)
	v_cvt_f32_f16_sdwa v11, v10 dst_sel:DWORD dst_unused:UNUSED_PAD src0_sel:WORD_1
	v_cvt_f32_f16_e32 v10, v10
	v_pk_mul_f32 v[8:9], v[8:9], v[10:11]
	v_add_f32_e32 v1, v1, v8
	v_add_f32_e32 v1, v1, v9
	s_andn2_b64 exec, exec, s[22:23]
	s_cbranch_execnz .LBB329_2
; %bb.3:
	s_or_b64 exec, exec, s[22:23]
.LBB329_4:
	s_or_b64 exec, exec, s[20:21]
	s_bitcmp1_b32 s24, 0
	s_cselect_b64 s[0:1], -1, 0
	v_cmp_eq_u32_e32 vcc, s4, v6
	s_and_b64 s[20:21], s[0:1], vcc
	s_and_saveexec_b64 s[0:1], s[20:21]
	s_cbranch_execz .LBB329_6
; %bb.5:
	s_lshl_b64 s[14:15], s[14:15], 1
	s_add_u32 s5, s18, s14
	s_addc_u32 s14, s19, s15
	s_lshl_b64 s[12:13], s[12:13], 1
	s_add_u32 s12, s5, s12
	s_addc_u32 s13, s14, s13
	;; [unrolled: 3-line block ×3, first 2 shown]
	s_lshl_b64 s[8:9], s[8:9], 1
	s_add_u32 s8, s5, s8
	s_mov_b32 s5, 0
	s_addc_u32 s9, s10, s9
	s_lshl_b64 s[4:5], s[4:5], 1
	s_add_u32 s8, s8, s4
	s_addc_u32 s9, s9, s5
	v_mov_b32_e32 v2, 0
	s_add_u32 s4, s12, s4
	s_addc_u32 s5, s13, s5
	global_load_ushort v3, v2, s[8:9]
	global_load_ushort v4, v2, s[4:5]
	s_waitcnt vmcnt(0)
	v_fma_mix_f32 v1, v3, v4, v1 op_sel_hi:[1,1,0]
.LBB329_6:
	s_or_b64 exec, exec, s[0:1]
	v_and_b32_e32 v3, 63, v0
	v_cmp_gt_u32_e32 vcc, 64, v0
	v_lshlrev_b32_e32 v2, 2, v3
	s_and_saveexec_b64 s[0:1], vcc
	s_cbranch_execz .LBB329_8
; %bb.7:
	v_mov_b32_e32 v4, 0
	ds_write_b32 v2, v4
.LBB329_8:
	s_or_b64 exec, exec, s[0:1]
	v_mbcnt_lo_u32_b32 v4, -1, 0
	v_mbcnt_hi_u32_b32 v6, -1, v4
	v_and_b32_e32 v7, 63, v6
	v_cmp_gt_u32_e64 s[0:1], 32, v7
	v_cndmask_b32_e64 v4, 0, 1, s[0:1]
	v_lshlrev_b32_e32 v4, 5, v4
	v_add_lshl_u32 v4, v4, v6, 2
	ds_bpermute_b32 v4, v4, v1
	v_cmp_gt_u32_e64 s[0:1], 48, v7
	v_cndmask_b32_e64 v5, 0, 1, s[0:1]
	v_lshlrev_b32_e32 v5, 4, v5
	v_cmp_gt_u32_e64 s[0:1], 56, v7
	s_waitcnt lgkmcnt(0)
	v_add_f32_e32 v1, v1, v4
	v_add_lshl_u32 v4, v5, v6, 2
	ds_bpermute_b32 v4, v4, v1
	v_cndmask_b32_e64 v5, 0, 1, s[0:1]
	v_lshlrev_b32_e32 v5, 3, v5
	v_cmp_gt_u32_e64 s[0:1], 60, v7
	v_cndmask_b32_e64 v8, 0, 1, s[0:1]
	s_waitcnt lgkmcnt(0)
	v_add_f32_e32 v4, v1, v4
	v_add_lshl_u32 v1, v5, v6, 2
	ds_bpermute_b32 v5, v1, v4
	v_lshlrev_b32_e32 v8, 2, v8
	v_cmp_gt_u32_e64 s[0:1], 62, v7
	v_cndmask_b32_e64 v9, 0, 1, s[0:1]
	v_lshlrev_b32_e32 v9, 1, v9
	s_waitcnt lgkmcnt(0)
	v_add_f32_e32 v5, v4, v5
	v_add_lshl_u32 v4, v8, v6, 2
	ds_bpermute_b32 v8, v4, v5
	v_cmp_ne_u32_e64 s[0:1], 63, v7
	s_waitcnt lgkmcnt(0)
	s_barrier
	v_add_f32_e32 v8, v5, v8
	v_add_lshl_u32 v5, v9, v6, 2
	ds_bpermute_b32 v9, v5, v8
	v_addc_co_u32_e64 v6, s[0:1], 0, v6, s[0:1]
	v_lshlrev_b32_e32 v6, 2, v6
	v_cmp_eq_u32_e64 s[0:1], 0, v3
	s_waitcnt lgkmcnt(0)
	v_add_f32_e32 v7, v8, v9
	ds_bpermute_b32 v8, v6, v7
	s_and_saveexec_b64 s[4:5], s[0:1]
	s_cbranch_execz .LBB329_10
; %bb.9:
	s_waitcnt lgkmcnt(0)
	v_add_f32_e32 v3, v7, v8
	v_lshrrev_b32_e32 v7, 4, v0
	v_and_b32_e32 v7, 60, v7
	ds_write_b32 v7, v3
.LBB329_10:
	s_or_b64 exec, exec, s[4:5]
	v_cmp_gt_u32_e64 s[0:1], 16, v0
	v_mov_b32_e32 v3, 0
	s_waitcnt lgkmcnt(0)
	s_barrier
	s_and_saveexec_b64 s[4:5], s[0:1]
	s_cbranch_execnz .LBB329_14
; %bb.11:
	s_or_b64 exec, exec, s[4:5]
	s_and_saveexec_b64 s[0:1], vcc
	s_cbranch_execnz .LBB329_15
.LBB329_12:
	s_or_b64 exec, exec, s[0:1]
	v_cmp_eq_u32_e32 vcc, 0, v0
	s_and_saveexec_b64 s[0:1], vcc
	s_cbranch_execnz .LBB329_16
.LBB329_13:
	s_endpgm
.LBB329_14:
	ds_read_b32 v3, v2
	s_or_b64 exec, exec, s[4:5]
	s_and_saveexec_b64 s[0:1], vcc
	s_cbranch_execz .LBB329_12
.LBB329_15:
	s_waitcnt lgkmcnt(0)
	ds_bpermute_b32 v1, v1, v3
	s_waitcnt lgkmcnt(0)
	v_add_f32_e32 v1, v3, v1
	ds_bpermute_b32 v2, v4, v1
	s_waitcnt lgkmcnt(0)
	v_add_f32_e32 v1, v1, v2
	;; [unrolled: 3-line block ×4, first 2 shown]
	s_or_b64 exec, exec, s[0:1]
	v_cmp_eq_u32_e32 vcc, 0, v0
	s_and_saveexec_b64 s[0:1], vcc
	s_cbranch_execz .LBB329_13
.LBB329_16:
	s_lshl_b64 s[0:1], s[2:3], 2
	s_add_u32 s0, s6, s0
	s_addc_u32 s1, s7, s1
	v_mov_b32_e32 v0, 0
	s_waitcnt lgkmcnt(0)
	global_store_dword v0, v3, s[0:1]
	s_endpgm
	.section	.rodata,"a",@progbits
	.p2align	6, 0x0
	.amdhsa_kernel _ZL26rocblas_dot_kernel_inc1by2ILb1ELi1024ELi32ELb0EfPKDF16_fEviT4_llS2_lliPT5_PT3_
		.amdhsa_group_segment_fixed_size 256
		.amdhsa_private_segment_fixed_size 0
		.amdhsa_kernarg_size 80
		.amdhsa_user_sgpr_count 6
		.amdhsa_user_sgpr_private_segment_buffer 1
		.amdhsa_user_sgpr_dispatch_ptr 0
		.amdhsa_user_sgpr_queue_ptr 0
		.amdhsa_user_sgpr_kernarg_segment_ptr 1
		.amdhsa_user_sgpr_dispatch_id 0
		.amdhsa_user_sgpr_flat_scratch_init 0
		.amdhsa_user_sgpr_kernarg_preload_length 0
		.amdhsa_user_sgpr_kernarg_preload_offset 0
		.amdhsa_user_sgpr_private_segment_size 0
		.amdhsa_uses_dynamic_stack 0
		.amdhsa_system_sgpr_private_segment_wavefront_offset 0
		.amdhsa_system_sgpr_workgroup_id_x 1
		.amdhsa_system_sgpr_workgroup_id_y 0
		.amdhsa_system_sgpr_workgroup_id_z 1
		.amdhsa_system_sgpr_workgroup_info 0
		.amdhsa_system_vgpr_workitem_id 0
		.amdhsa_next_free_vgpr 12
		.amdhsa_next_free_sgpr 28
		.amdhsa_accum_offset 12
		.amdhsa_reserve_vcc 1
		.amdhsa_reserve_flat_scratch 0
		.amdhsa_float_round_mode_32 0
		.amdhsa_float_round_mode_16_64 0
		.amdhsa_float_denorm_mode_32 3
		.amdhsa_float_denorm_mode_16_64 3
		.amdhsa_dx10_clamp 1
		.amdhsa_ieee_mode 1
		.amdhsa_fp16_overflow 0
		.amdhsa_tg_split 0
		.amdhsa_exception_fp_ieee_invalid_op 0
		.amdhsa_exception_fp_denorm_src 0
		.amdhsa_exception_fp_ieee_div_zero 0
		.amdhsa_exception_fp_ieee_overflow 0
		.amdhsa_exception_fp_ieee_underflow 0
		.amdhsa_exception_fp_ieee_inexact 0
		.amdhsa_exception_int_div_zero 0
	.end_amdhsa_kernel
	.section	.text._ZL26rocblas_dot_kernel_inc1by2ILb1ELi1024ELi32ELb0EfPKDF16_fEviT4_llS2_lliPT5_PT3_,"axG",@progbits,_ZL26rocblas_dot_kernel_inc1by2ILb1ELi1024ELi32ELb0EfPKDF16_fEviT4_llS2_lliPT5_PT3_,comdat
.Lfunc_end329:
	.size	_ZL26rocblas_dot_kernel_inc1by2ILb1ELi1024ELi32ELb0EfPKDF16_fEviT4_llS2_lliPT5_PT3_, .Lfunc_end329-_ZL26rocblas_dot_kernel_inc1by2ILb1ELi1024ELi32ELb0EfPKDF16_fEviT4_llS2_lliPT5_PT3_
                                        ; -- End function
	.section	.AMDGPU.csdata,"",@progbits
; Kernel info:
; codeLenInByte = 1032
; NumSgprs: 32
; NumVgprs: 12
; NumAgprs: 0
; TotalNumVgprs: 12
; ScratchSize: 0
; MemoryBound: 0
; FloatMode: 240
; IeeeMode: 1
; LDSByteSize: 256 bytes/workgroup (compile time only)
; SGPRBlocks: 3
; VGPRBlocks: 1
; NumSGPRsForWavesPerEU: 32
; NumVGPRsForWavesPerEU: 12
; AccumOffset: 12
; Occupancy: 8
; WaveLimiterHint : 0
; COMPUTE_PGM_RSRC2:SCRATCH_EN: 0
; COMPUTE_PGM_RSRC2:USER_SGPR: 6
; COMPUTE_PGM_RSRC2:TRAP_HANDLER: 0
; COMPUTE_PGM_RSRC2:TGID_X_EN: 1
; COMPUTE_PGM_RSRC2:TGID_Y_EN: 0
; COMPUTE_PGM_RSRC2:TGID_Z_EN: 1
; COMPUTE_PGM_RSRC2:TIDIG_COMP_CNT: 0
; COMPUTE_PGM_RSRC3_GFX90A:ACCUM_OFFSET: 2
; COMPUTE_PGM_RSRC3_GFX90A:TG_SPLIT: 0
	.section	.text._ZL18rocblas_dot_kernelIlLb1ELi1024ELi32ELb0EfPKDF16_fEviT5_lT_lS2_lS3_liPT6_PT4_,"axG",@progbits,_ZL18rocblas_dot_kernelIlLb1ELi1024ELi32ELb0EfPKDF16_fEviT5_lT_lS2_lS3_liPT6_PT4_,comdat
	.globl	_ZL18rocblas_dot_kernelIlLb1ELi1024ELi32ELb0EfPKDF16_fEviT5_lT_lS2_lS3_liPT6_PT4_ ; -- Begin function _ZL18rocblas_dot_kernelIlLb1ELi1024ELi32ELb0EfPKDF16_fEviT5_lT_lS2_lS3_liPT6_PT4_
	.p2align	8
	.type	_ZL18rocblas_dot_kernelIlLb1ELi1024ELi32ELb0EfPKDF16_fEviT5_lT_lS2_lS3_liPT6_PT4_,@function
_ZL18rocblas_dot_kernelIlLb1ELi1024ELi32ELb0EfPKDF16_fEviT5_lT_lS2_lS3_liPT6_PT4_: ; @_ZL18rocblas_dot_kernelIlLb1ELi1024ELi32ELb0EfPKDF16_fEviT5_lT_lS2_lS3_liPT6_PT4_
; %bb.0:
	s_mov_b32 s2, s7
	s_load_dword s18, s[4:5], 0x0
	s_load_dwordx2 s[6:7], s[4:5], 0x58
	s_mov_b32 s3, 0
	v_mov_b32_e32 v6, 0
	s_waitcnt lgkmcnt(0)
	v_cmp_gt_i32_e32 vcc, s18, v0
	s_and_saveexec_b64 s[16:17], vcc
	s_cbranch_execz .LBB330_4
; %bb.1:
	s_load_dword s19, s[4:5], 0x60
	s_load_dwordx2 s[0:1], s[4:5], 0x40
	s_load_dwordx8 s[8:15], s[4:5], 0x20
	s_load_dwordx2 s[24:25], s[4:5], 0x8
	s_load_dwordx4 s[20:23], s[4:5], 0x10
	s_waitcnt lgkmcnt(0)
	s_lshl_b32 s19, s19, 10
	s_mul_i32 s1, s1, s2
	s_mul_i32 s4, s9, s2
	s_mul_hi_u32 s5, s8, s2
	s_add_i32 s5, s5, s4
	s_mul_i32 s4, s8, s2
	v_mad_u64_u32 v[2:3], s[8:9], s22, v0, 0
	v_mov_b32_e32 v4, v3
	v_mad_u64_u32 v[4:5], s[8:9], s23, v0, v[4:5]
	s_lshl_b64 s[4:5], s[4:5], 1
	s_lshl_b64 s[8:9], s[20:21], 1
	s_add_u32 s8, s24, s8
	s_addc_u32 s9, s25, s9
	v_mov_b32_e32 v3, v4
	s_add_u32 s4, s8, s4
	v_lshlrev_b64 v[2:3], 1, v[2:3]
	s_addc_u32 s5, s9, s5
	v_mov_b32_e32 v4, s5
	v_add_co_u32_e32 v2, vcc, s4, v2
	s_ashr_i32 s20, s19, 31
	s_mul_hi_u32 s8, s0, s2
	v_addc_co_u32_e32 v3, vcc, v4, v3, vcc
	s_mul_i32 s4, s22, s20
	s_mul_hi_u32 s5, s22, s19
	s_add_i32 s1, s8, s1
	v_mad_u64_u32 v[4:5], s[8:9], s14, v0, 0
	s_add_i32 s4, s5, s4
	s_mul_i32 s5, s23, s19
	v_mov_b32_e32 v6, v5
	s_add_i32 s5, s4, s5
	s_mul_i32 s4, s22, s19
	s_mul_i32 s0, s0, s2
	v_mad_u64_u32 v[6:7], s[8:9], s15, v0, v[6:7]
	s_lshl_b64 s[4:5], s[4:5], 1
	s_lshl_b64 s[0:1], s[0:1], 1
	;; [unrolled: 1-line block ×3, first 2 shown]
	s_add_u32 s8, s10, s8
	s_addc_u32 s9, s11, s9
	v_mov_b32_e32 v5, v6
	s_add_u32 s0, s8, s0
	v_lshlrev_b64 v[4:5], 1, v[4:5]
	s_addc_u32 s1, s9, s1
	v_mov_b32_e32 v6, s1
	v_add_co_u32_e32 v4, vcc, s0, v4
	s_mul_i32 s0, s14, s20
	s_mul_hi_u32 s1, s14, s19
	s_add_i32 s0, s1, s0
	s_mul_i32 s1, s15, s19
	s_add_i32 s1, s0, s1
	s_mul_i32 s0, s14, s19
	s_lshl_b64 s[10:11], s[0:1], 1
	v_or_b32_e32 v1, s19, v0
	v_addc_co_u32_e32 v5, vcc, v6, v5, vcc
	s_mov_b64 s[8:9], 0
	v_mov_b32_e32 v6, 0
	v_mov_b32_e32 v7, s5
	;; [unrolled: 1-line block ×3, first 2 shown]
	s_mov_b32 s5, s3
.LBB330_2:                              ; =>This Inner Loop Header: Depth=1
	global_load_ushort v9, v[4:5], off
	global_load_ushort v10, v[2:3], off
	v_add_co_u32_e64 v2, s[0:1], s4, v2
	v_addc_co_u32_e64 v3, s[0:1], v3, v7, s[0:1]
	s_add_i32 s11, s5, 1
	v_add_co_u32_e64 v4, s[0:1], s10, v4
	v_addc_co_u32_e64 v5, s[0:1], v5, v8, s[0:1]
	s_cmp_gt_u32 s5, 30
	v_cmp_le_i32_e32 vcc, s18, v1
	s_cselect_b64 s[0:1], -1, 0
	s_or_b64 s[0:1], s[0:1], vcc
	s_and_b64 s[0:1], exec, s[0:1]
	v_add_u32_e32 v1, s19, v1
	s_mov_b32 s5, s11
	s_or_b64 s[8:9], s[0:1], s[8:9]
	s_waitcnt vmcnt(0)
	v_fma_mix_f32 v6, v9, v10, v6 op_sel_hi:[1,1,0]
	s_andn2_b64 exec, exec, s[8:9]
	s_cbranch_execnz .LBB330_2
; %bb.3:
	s_or_b64 exec, exec, s[8:9]
.LBB330_4:
	s_or_b64 exec, exec, s[16:17]
	v_and_b32_e32 v2, 63, v0
	v_cmp_gt_u32_e32 vcc, 64, v0
	v_lshlrev_b32_e32 v1, 2, v2
	s_and_saveexec_b64 s[0:1], vcc
	s_cbranch_execz .LBB330_6
; %bb.5:
	v_mov_b32_e32 v3, 0
	ds_write_b32 v1, v3
.LBB330_6:
	s_or_b64 exec, exec, s[0:1]
	v_mbcnt_lo_u32_b32 v3, -1, 0
	v_mbcnt_hi_u32_b32 v7, -1, v3
	v_and_b32_e32 v8, 63, v7
	v_cmp_gt_u32_e64 s[0:1], 32, v8
	v_cndmask_b32_e64 v3, 0, 1, s[0:1]
	v_lshlrev_b32_e32 v3, 5, v3
	v_add_lshl_u32 v3, v3, v7, 2
	ds_bpermute_b32 v3, v3, v6
	v_cmp_gt_u32_e64 s[0:1], 48, v8
	v_cndmask_b32_e64 v4, 0, 1, s[0:1]
	v_lshlrev_b32_e32 v4, 4, v4
	v_add_lshl_u32 v4, v4, v7, 2
	s_waitcnt lgkmcnt(0)
	v_add_f32_e32 v3, v6, v3
	ds_bpermute_b32 v4, v4, v3
	v_cmp_gt_u32_e64 s[0:1], 56, v8
	v_cndmask_b32_e64 v5, 0, 1, s[0:1]
	v_lshlrev_b32_e32 v5, 3, v5
	v_cmp_gt_u32_e64 s[0:1], 60, v8
	s_waitcnt lgkmcnt(0)
	v_add_f32_e32 v4, v3, v4
	v_add_lshl_u32 v3, v5, v7, 2
	ds_bpermute_b32 v5, v3, v4
	v_cndmask_b32_e64 v6, 0, 1, s[0:1]
	v_lshlrev_b32_e32 v6, 2, v6
	v_cmp_gt_u32_e64 s[0:1], 62, v8
	v_cndmask_b32_e64 v9, 0, 1, s[0:1]
	s_waitcnt lgkmcnt(0)
	v_add_f32_e32 v5, v4, v5
	v_add_lshl_u32 v4, v6, v7, 2
	ds_bpermute_b32 v6, v4, v5
	v_lshlrev_b32_e32 v9, 1, v9
	v_cmp_ne_u32_e64 s[0:1], 63, v8
	v_addc_co_u32_e64 v8, s[0:1], 0, v7, s[0:1]
	s_waitcnt lgkmcnt(0)
	v_add_f32_e32 v6, v5, v6
	v_add_lshl_u32 v5, v9, v7, 2
	ds_bpermute_b32 v9, v5, v6
	v_cmp_eq_u32_e64 s[0:1], 0, v2
	s_waitcnt lgkmcnt(0)
	s_barrier
	v_add_f32_e32 v7, v6, v9
	v_lshlrev_b32_e32 v6, 2, v8
	ds_bpermute_b32 v8, v6, v7
	s_and_saveexec_b64 s[4:5], s[0:1]
	s_cbranch_execz .LBB330_8
; %bb.7:
	s_waitcnt lgkmcnt(0)
	v_add_f32_e32 v2, v7, v8
	v_lshrrev_b32_e32 v7, 4, v0
	v_and_b32_e32 v7, 60, v7
	ds_write_b32 v7, v2
.LBB330_8:
	s_or_b64 exec, exec, s[4:5]
	v_cmp_gt_u32_e64 s[0:1], 16, v0
	v_mov_b32_e32 v2, 0
	s_waitcnt lgkmcnt(0)
	s_barrier
	s_and_saveexec_b64 s[4:5], s[0:1]
	s_cbranch_execnz .LBB330_12
; %bb.9:
	s_or_b64 exec, exec, s[4:5]
	s_and_saveexec_b64 s[0:1], vcc
	s_cbranch_execnz .LBB330_13
.LBB330_10:
	s_or_b64 exec, exec, s[0:1]
	v_cmp_eq_u32_e32 vcc, 0, v0
	s_and_saveexec_b64 s[0:1], vcc
	s_cbranch_execnz .LBB330_14
.LBB330_11:
	s_endpgm
.LBB330_12:
	ds_read_b32 v2, v1
	s_or_b64 exec, exec, s[4:5]
	s_and_saveexec_b64 s[0:1], vcc
	s_cbranch_execz .LBB330_10
.LBB330_13:
	s_waitcnt lgkmcnt(0)
	ds_bpermute_b32 v1, v3, v2
	s_waitcnt lgkmcnt(0)
	v_add_f32_e32 v1, v2, v1
	ds_bpermute_b32 v2, v4, v1
	s_waitcnt lgkmcnt(0)
	v_add_f32_e32 v1, v1, v2
	ds_bpermute_b32 v2, v5, v1
	s_waitcnt lgkmcnt(0)
	v_add_f32_e32 v1, v1, v2
	ds_bpermute_b32 v2, v6, v1
	s_waitcnt lgkmcnt(0)
	v_add_f32_e32 v2, v1, v2
	s_or_b64 exec, exec, s[0:1]
	v_cmp_eq_u32_e32 vcc, 0, v0
	s_and_saveexec_b64 s[0:1], vcc
	s_cbranch_execz .LBB330_11
.LBB330_14:
	s_lshl_b64 s[0:1], s[2:3], 2
	s_add_u32 s0, s6, s0
	s_addc_u32 s1, s7, s1
	v_mov_b32_e32 v0, 0
	s_waitcnt lgkmcnt(0)
	global_store_dword v0, v2, s[0:1]
	s_endpgm
	.section	.rodata,"a",@progbits
	.p2align	6, 0x0
	.amdhsa_kernel _ZL18rocblas_dot_kernelIlLb1ELi1024ELi32ELb0EfPKDF16_fEviT5_lT_lS2_lS3_liPT6_PT4_
		.amdhsa_group_segment_fixed_size 256
		.amdhsa_private_segment_fixed_size 0
		.amdhsa_kernarg_size 352
		.amdhsa_user_sgpr_count 6
		.amdhsa_user_sgpr_private_segment_buffer 1
		.amdhsa_user_sgpr_dispatch_ptr 0
		.amdhsa_user_sgpr_queue_ptr 0
		.amdhsa_user_sgpr_kernarg_segment_ptr 1
		.amdhsa_user_sgpr_dispatch_id 0
		.amdhsa_user_sgpr_flat_scratch_init 0
		.amdhsa_user_sgpr_kernarg_preload_length 0
		.amdhsa_user_sgpr_kernarg_preload_offset 0
		.amdhsa_user_sgpr_private_segment_size 0
		.amdhsa_uses_dynamic_stack 0
		.amdhsa_system_sgpr_private_segment_wavefront_offset 0
		.amdhsa_system_sgpr_workgroup_id_x 1
		.amdhsa_system_sgpr_workgroup_id_y 0
		.amdhsa_system_sgpr_workgroup_id_z 1
		.amdhsa_system_sgpr_workgroup_info 0
		.amdhsa_system_vgpr_workitem_id 0
		.amdhsa_next_free_vgpr 11
		.amdhsa_next_free_sgpr 26
		.amdhsa_accum_offset 12
		.amdhsa_reserve_vcc 1
		.amdhsa_reserve_flat_scratch 0
		.amdhsa_float_round_mode_32 0
		.amdhsa_float_round_mode_16_64 0
		.amdhsa_float_denorm_mode_32 3
		.amdhsa_float_denorm_mode_16_64 3
		.amdhsa_dx10_clamp 1
		.amdhsa_ieee_mode 1
		.amdhsa_fp16_overflow 0
		.amdhsa_tg_split 0
		.amdhsa_exception_fp_ieee_invalid_op 0
		.amdhsa_exception_fp_denorm_src 0
		.amdhsa_exception_fp_ieee_div_zero 0
		.amdhsa_exception_fp_ieee_overflow 0
		.amdhsa_exception_fp_ieee_underflow 0
		.amdhsa_exception_fp_ieee_inexact 0
		.amdhsa_exception_int_div_zero 0
	.end_amdhsa_kernel
	.section	.text._ZL18rocblas_dot_kernelIlLb1ELi1024ELi32ELb0EfPKDF16_fEviT5_lT_lS2_lS3_liPT6_PT4_,"axG",@progbits,_ZL18rocblas_dot_kernelIlLb1ELi1024ELi32ELb0EfPKDF16_fEviT5_lT_lS2_lS3_liPT6_PT4_,comdat
.Lfunc_end330:
	.size	_ZL18rocblas_dot_kernelIlLb1ELi1024ELi32ELb0EfPKDF16_fEviT5_lT_lS2_lS3_liPT6_PT4_, .Lfunc_end330-_ZL18rocblas_dot_kernelIlLb1ELi1024ELi32ELb0EfPKDF16_fEviT5_lT_lS2_lS3_liPT6_PT4_
                                        ; -- End function
	.section	.AMDGPU.csdata,"",@progbits
; Kernel info:
; codeLenInByte = 1004
; NumSgprs: 30
; NumVgprs: 11
; NumAgprs: 0
; TotalNumVgprs: 11
; ScratchSize: 0
; MemoryBound: 0
; FloatMode: 240
; IeeeMode: 1
; LDSByteSize: 256 bytes/workgroup (compile time only)
; SGPRBlocks: 3
; VGPRBlocks: 1
; NumSGPRsForWavesPerEU: 30
; NumVGPRsForWavesPerEU: 11
; AccumOffset: 12
; Occupancy: 8
; WaveLimiterHint : 0
; COMPUTE_PGM_RSRC2:SCRATCH_EN: 0
; COMPUTE_PGM_RSRC2:USER_SGPR: 6
; COMPUTE_PGM_RSRC2:TRAP_HANDLER: 0
; COMPUTE_PGM_RSRC2:TGID_X_EN: 1
; COMPUTE_PGM_RSRC2:TGID_Y_EN: 0
; COMPUTE_PGM_RSRC2:TGID_Z_EN: 1
; COMPUTE_PGM_RSRC2:TIDIG_COMP_CNT: 0
; COMPUTE_PGM_RSRC3_GFX90A:ACCUM_OFFSET: 2
; COMPUTE_PGM_RSRC3_GFX90A:TG_SPLIT: 0
	.section	.text._ZL24rocblas_dot_kernel_magsqIlLb1ELi1024ELi32ELb0EfPKDF16_fEviT5_lT_liPT6_PT4_,"axG",@progbits,_ZL24rocblas_dot_kernel_magsqIlLb1ELi1024ELi32ELb0EfPKDF16_fEviT5_lT_liPT6_PT4_,comdat
	.globl	_ZL24rocblas_dot_kernel_magsqIlLb1ELi1024ELi32ELb0EfPKDF16_fEviT5_lT_liPT6_PT4_ ; -- Begin function _ZL24rocblas_dot_kernel_magsqIlLb1ELi1024ELi32ELb0EfPKDF16_fEviT5_lT_liPT6_PT4_
	.p2align	8
	.type	_ZL24rocblas_dot_kernel_magsqIlLb1ELi1024ELi32ELb0EfPKDF16_fEviT5_lT_liPT6_PT4_,@function
_ZL24rocblas_dot_kernel_magsqIlLb1ELi1024ELi32ELb0EfPKDF16_fEviT5_lT_liPT6_PT4_: ; @_ZL24rocblas_dot_kernel_magsqIlLb1ELi1024ELi32ELb0EfPKDF16_fEviT5_lT_liPT6_PT4_
; %bb.0:
	s_mov_b32 s2, s7
	s_load_dword s12, s[4:5], 0x0
	s_load_dwordx2 s[6:7], s[4:5], 0x38
	s_mov_b32 s3, 0
	v_mov_b32_e32 v1, 0
	s_waitcnt lgkmcnt(0)
	v_cmp_gt_i32_e32 vcc, s12, v0
	s_and_saveexec_b64 s[8:9], vcc
	s_cbranch_execz .LBB331_4
; %bb.1:
	s_load_dword s13, s[4:5], 0x40
	s_load_dwordx2 s[0:1], s[4:5], 0x20
	s_load_dwordx2 s[10:11], s[4:5], 0x8
	s_load_dwordx4 s[16:19], s[4:5], 0x10
	s_waitcnt lgkmcnt(0)
	s_lshl_b32 s13, s13, 10
	s_mul_i32 s1, s1, s2
	s_mul_hi_u32 s4, s0, s2
	s_add_i32 s1, s4, s1
	v_mad_u64_u32 v[2:3], s[4:5], s18, v0, 0
	v_mov_b32_e32 v6, v3
	s_mul_i32 s0, s0, s2
	v_mad_u64_u32 v[6:7], s[4:5], s19, v0, v[6:7]
	s_lshl_b64 s[0:1], s[0:1], 1
	s_lshl_b64 s[4:5], s[16:17], 1
	s_add_u32 s4, s10, s4
	v_mov_b32_e32 v3, v6
	s_addc_u32 s5, s11, s5
	v_lshlrev_b64 v[2:3], 1, v[2:3]
	s_add_u32 s0, s4, s0
	s_addc_u32 s1, s5, s1
	v_add_co_u32_e32 v2, vcc, s0, v2
	s_ashr_i32 s0, s13, 31
	v_mov_b32_e32 v1, s1
	s_mul_i32 s0, s18, s0
	s_mul_hi_u32 s1, s18, s13
	s_add_i32 s0, s1, s0
	s_mul_i32 s1, s19, s13
	s_add_i32 s1, s0, s1
	s_mul_i32 s0, s18, s13
	s_lshl_b64 s[10:11], s[0:1], 1
	v_or_b32_e32 v4, s13, v0
	v_addc_co_u32_e32 v3, vcc, v1, v3, vcc
	s_mov_b64 s[4:5], 0
	v_mov_b32_e32 v1, 0
	v_mov_b32_e32 v5, s11
	s_mov_b32 s11, s3
.LBB331_2:                              ; =>This Inner Loop Header: Depth=1
	global_load_ushort v6, v[2:3], off
	s_add_i32 s14, s11, 1
	v_add_co_u32_e64 v2, s[0:1], s10, v2
	v_addc_co_u32_e64 v3, s[0:1], v3, v5, s[0:1]
	s_cmp_gt_u32 s11, 30
	v_cmp_le_i32_e32 vcc, s12, v4
	s_cselect_b64 s[0:1], -1, 0
	s_or_b64 s[0:1], s[0:1], vcc
	s_and_b64 s[0:1], exec, s[0:1]
	v_add_u32_e32 v4, s13, v4
	s_mov_b32 s11, s14
	s_or_b64 s[4:5], s[0:1], s[4:5]
	s_waitcnt vmcnt(0)
	v_fma_mix_f32 v1, v6, v6, v1 op_sel_hi:[1,1,0]
	s_andn2_b64 exec, exec, s[4:5]
	s_cbranch_execnz .LBB331_2
; %bb.3:
	s_or_b64 exec, exec, s[4:5]
.LBB331_4:
	s_or_b64 exec, exec, s[8:9]
	v_and_b32_e32 v3, 63, v0
	v_cmp_gt_u32_e32 vcc, 64, v0
	v_lshlrev_b32_e32 v2, 2, v3
	s_and_saveexec_b64 s[0:1], vcc
	s_cbranch_execz .LBB331_6
; %bb.5:
	v_mov_b32_e32 v4, 0
	ds_write_b32 v2, v4
.LBB331_6:
	s_or_b64 exec, exec, s[0:1]
	v_mbcnt_lo_u32_b32 v4, -1, 0
	v_mbcnt_hi_u32_b32 v6, -1, v4
	v_and_b32_e32 v7, 63, v6
	v_cmp_gt_u32_e64 s[0:1], 32, v7
	v_cndmask_b32_e64 v4, 0, 1, s[0:1]
	v_lshlrev_b32_e32 v4, 5, v4
	v_add_lshl_u32 v4, v4, v6, 2
	ds_bpermute_b32 v4, v4, v1
	v_cmp_gt_u32_e64 s[0:1], 48, v7
	v_cndmask_b32_e64 v5, 0, 1, s[0:1]
	v_lshlrev_b32_e32 v5, 4, v5
	v_cmp_gt_u32_e64 s[0:1], 56, v7
	s_waitcnt lgkmcnt(0)
	v_add_f32_e32 v1, v1, v4
	v_add_lshl_u32 v4, v5, v6, 2
	ds_bpermute_b32 v4, v4, v1
	v_cndmask_b32_e64 v5, 0, 1, s[0:1]
	v_lshlrev_b32_e32 v5, 3, v5
	v_cmp_gt_u32_e64 s[0:1], 60, v7
	v_cndmask_b32_e64 v8, 0, 1, s[0:1]
	s_waitcnt lgkmcnt(0)
	v_add_f32_e32 v4, v1, v4
	v_add_lshl_u32 v1, v5, v6, 2
	ds_bpermute_b32 v5, v1, v4
	v_lshlrev_b32_e32 v8, 2, v8
	v_cmp_gt_u32_e64 s[0:1], 62, v7
	v_cndmask_b32_e64 v9, 0, 1, s[0:1]
	v_lshlrev_b32_e32 v9, 1, v9
	s_waitcnt lgkmcnt(0)
	v_add_f32_e32 v5, v4, v5
	v_add_lshl_u32 v4, v8, v6, 2
	ds_bpermute_b32 v8, v4, v5
	v_cmp_ne_u32_e64 s[0:1], 63, v7
	s_waitcnt lgkmcnt(0)
	s_barrier
	v_add_f32_e32 v8, v5, v8
	v_add_lshl_u32 v5, v9, v6, 2
	ds_bpermute_b32 v9, v5, v8
	v_addc_co_u32_e64 v6, s[0:1], 0, v6, s[0:1]
	v_lshlrev_b32_e32 v6, 2, v6
	v_cmp_eq_u32_e64 s[0:1], 0, v3
	s_waitcnt lgkmcnt(0)
	v_add_f32_e32 v7, v8, v9
	ds_bpermute_b32 v8, v6, v7
	s_and_saveexec_b64 s[4:5], s[0:1]
	s_cbranch_execz .LBB331_8
; %bb.7:
	s_waitcnt lgkmcnt(0)
	v_add_f32_e32 v3, v7, v8
	v_lshrrev_b32_e32 v7, 4, v0
	v_and_b32_e32 v7, 60, v7
	ds_write_b32 v7, v3
.LBB331_8:
	s_or_b64 exec, exec, s[4:5]
	v_cmp_gt_u32_e64 s[0:1], 16, v0
	v_mov_b32_e32 v3, 0
	s_waitcnt lgkmcnt(0)
	s_barrier
	s_and_saveexec_b64 s[4:5], s[0:1]
	s_cbranch_execnz .LBB331_12
; %bb.9:
	s_or_b64 exec, exec, s[4:5]
	s_and_saveexec_b64 s[0:1], vcc
	s_cbranch_execnz .LBB331_13
.LBB331_10:
	s_or_b64 exec, exec, s[0:1]
	v_cmp_eq_u32_e32 vcc, 0, v0
	s_and_saveexec_b64 s[0:1], vcc
	s_cbranch_execnz .LBB331_14
.LBB331_11:
	s_endpgm
.LBB331_12:
	ds_read_b32 v3, v2
	s_or_b64 exec, exec, s[4:5]
	s_and_saveexec_b64 s[0:1], vcc
	s_cbranch_execz .LBB331_10
.LBB331_13:
	s_waitcnt lgkmcnt(0)
	ds_bpermute_b32 v1, v1, v3
	s_waitcnt lgkmcnt(0)
	v_add_f32_e32 v1, v3, v1
	ds_bpermute_b32 v2, v4, v1
	s_waitcnt lgkmcnt(0)
	v_add_f32_e32 v1, v1, v2
	;; [unrolled: 3-line block ×4, first 2 shown]
	s_or_b64 exec, exec, s[0:1]
	v_cmp_eq_u32_e32 vcc, 0, v0
	s_and_saveexec_b64 s[0:1], vcc
	s_cbranch_execz .LBB331_11
.LBB331_14:
	s_lshl_b64 s[0:1], s[2:3], 2
	s_add_u32 s0, s6, s0
	s_addc_u32 s1, s7, s1
	v_mov_b32_e32 v0, 0
	s_waitcnt lgkmcnt(0)
	global_store_dword v0, v3, s[0:1]
	s_endpgm
	.section	.rodata,"a",@progbits
	.p2align	6, 0x0
	.amdhsa_kernel _ZL24rocblas_dot_kernel_magsqIlLb1ELi1024ELi32ELb0EfPKDF16_fEviT5_lT_liPT6_PT4_
		.amdhsa_group_segment_fixed_size 256
		.amdhsa_private_segment_fixed_size 0
		.amdhsa_kernarg_size 320
		.amdhsa_user_sgpr_count 6
		.amdhsa_user_sgpr_private_segment_buffer 1
		.amdhsa_user_sgpr_dispatch_ptr 0
		.amdhsa_user_sgpr_queue_ptr 0
		.amdhsa_user_sgpr_kernarg_segment_ptr 1
		.amdhsa_user_sgpr_dispatch_id 0
		.amdhsa_user_sgpr_flat_scratch_init 0
		.amdhsa_user_sgpr_kernarg_preload_length 0
		.amdhsa_user_sgpr_kernarg_preload_offset 0
		.amdhsa_user_sgpr_private_segment_size 0
		.amdhsa_uses_dynamic_stack 0
		.amdhsa_system_sgpr_private_segment_wavefront_offset 0
		.amdhsa_system_sgpr_workgroup_id_x 1
		.amdhsa_system_sgpr_workgroup_id_y 0
		.amdhsa_system_sgpr_workgroup_id_z 1
		.amdhsa_system_sgpr_workgroup_info 0
		.amdhsa_system_vgpr_workitem_id 0
		.amdhsa_next_free_vgpr 10
		.amdhsa_next_free_sgpr 20
		.amdhsa_accum_offset 12
		.amdhsa_reserve_vcc 1
		.amdhsa_reserve_flat_scratch 0
		.amdhsa_float_round_mode_32 0
		.amdhsa_float_round_mode_16_64 0
		.amdhsa_float_denorm_mode_32 3
		.amdhsa_float_denorm_mode_16_64 3
		.amdhsa_dx10_clamp 1
		.amdhsa_ieee_mode 1
		.amdhsa_fp16_overflow 0
		.amdhsa_tg_split 0
		.amdhsa_exception_fp_ieee_invalid_op 0
		.amdhsa_exception_fp_denorm_src 0
		.amdhsa_exception_fp_ieee_div_zero 0
		.amdhsa_exception_fp_ieee_overflow 0
		.amdhsa_exception_fp_ieee_underflow 0
		.amdhsa_exception_fp_ieee_inexact 0
		.amdhsa_exception_int_div_zero 0
	.end_amdhsa_kernel
	.section	.text._ZL24rocblas_dot_kernel_magsqIlLb1ELi1024ELi32ELb0EfPKDF16_fEviT5_lT_liPT6_PT4_,"axG",@progbits,_ZL24rocblas_dot_kernel_magsqIlLb1ELi1024ELi32ELb0EfPKDF16_fEviT5_lT_liPT6_PT4_,comdat
.Lfunc_end331:
	.size	_ZL24rocblas_dot_kernel_magsqIlLb1ELi1024ELi32ELb0EfPKDF16_fEviT5_lT_liPT6_PT4_, .Lfunc_end331-_ZL24rocblas_dot_kernel_magsqIlLb1ELi1024ELi32ELb0EfPKDF16_fEviT5_lT_liPT6_PT4_
                                        ; -- End function
	.section	.AMDGPU.csdata,"",@progbits
; Kernel info:
; codeLenInByte = 856
; NumSgprs: 24
; NumVgprs: 10
; NumAgprs: 0
; TotalNumVgprs: 10
; ScratchSize: 0
; MemoryBound: 0
; FloatMode: 240
; IeeeMode: 1
; LDSByteSize: 256 bytes/workgroup (compile time only)
; SGPRBlocks: 2
; VGPRBlocks: 1
; NumSGPRsForWavesPerEU: 24
; NumVGPRsForWavesPerEU: 10
; AccumOffset: 12
; Occupancy: 8
; WaveLimiterHint : 0
; COMPUTE_PGM_RSRC2:SCRATCH_EN: 0
; COMPUTE_PGM_RSRC2:USER_SGPR: 6
; COMPUTE_PGM_RSRC2:TRAP_HANDLER: 0
; COMPUTE_PGM_RSRC2:TGID_X_EN: 1
; COMPUTE_PGM_RSRC2:TGID_Y_EN: 0
; COMPUTE_PGM_RSRC2:TGID_Z_EN: 1
; COMPUTE_PGM_RSRC2:TIDIG_COMP_CNT: 0
; COMPUTE_PGM_RSRC3_GFX90A:ACCUM_OFFSET: 2
; COMPUTE_PGM_RSRC3_GFX90A:TG_SPLIT: 0
	.section	.text._ZL23rocblas_dot_kernel_inc1ILb0ELi512ELi4ELb0EfPKDF16_fEviT4_llS2_lliPT5_PT3_,"axG",@progbits,_ZL23rocblas_dot_kernel_inc1ILb0ELi512ELi4ELb0EfPKDF16_fEviT4_llS2_lliPT5_PT3_,comdat
	.globl	_ZL23rocblas_dot_kernel_inc1ILb0ELi512ELi4ELb0EfPKDF16_fEviT4_llS2_lliPT5_PT3_ ; -- Begin function _ZL23rocblas_dot_kernel_inc1ILb0ELi512ELi4ELb0EfPKDF16_fEviT4_llS2_lliPT5_PT3_
	.p2align	8
	.type	_ZL23rocblas_dot_kernel_inc1ILb0ELi512ELi4ELb0EfPKDF16_fEviT4_llS2_lliPT5_PT3_,@function
_ZL23rocblas_dot_kernel_inc1ILb0ELi512ELi4ELb0EfPKDF16_fEviT4_llS2_lliPT5_PT3_: ; @_ZL23rocblas_dot_kernel_inc1ILb0ELi512ELi4ELb0EfPKDF16_fEviT4_llS2_lliPT5_PT3_
; %bb.0:
	s_mov_b32 s2, s7
	s_load_dword s18, s[4:5], 0x50
	s_load_dword s7, s[4:5], 0x0
	s_load_dwordx4 s[8:11], s[4:5], 0x40
	v_lshl_or_b32 v2, s6, 9, v0
	s_mov_b32 s3, 0
	v_mov_b32_e32 v1, 0
	s_waitcnt lgkmcnt(0)
	v_cmp_gt_i32_e32 vcc, s7, v2
	s_and_saveexec_b64 s[12:13], vcc
	s_cbranch_execz .LBB332_4
; %bb.1:
	s_load_dwordx4 s[20:23], s[4:5], 0x10
	s_load_dwordx2 s[0:1], s[4:5], 0x8
	s_load_dwordx2 s[14:15], s[4:5], 0x20
	s_load_dwordx4 s[24:27], s[4:5], 0x28
	v_ashrrev_i32_e32 v3, 31, v2
	s_waitcnt lgkmcnt(0)
	s_mul_i32 s4, s2, s23
	s_mul_hi_u32 s5, s2, s22
	s_add_i32 s5, s5, s4
	s_mul_i32 s4, s2, s22
	s_lshl_b64 s[4:5], s[4:5], 1
	s_add_u32 s4, s0, s4
	s_addc_u32 s5, s1, s5
	s_lshl_b64 s[0:1], s[20:21], 1
	s_add_u32 s19, s4, s0
	s_addc_u32 s21, s5, s1
	s_mul_i32 s0, s2, s27
	s_mul_hi_u32 s1, s2, s26
	s_add_i32 s1, s1, s0
	s_mul_i32 s0, s2, s26
	s_lshl_b64 s[0:1], s[0:1], 1
	s_add_u32 s4, s14, s0
	s_addc_u32 s5, s15, s1
	s_lshl_b64 s[0:1], s[24:25], 1
	s_add_u32 s20, s4, s0
	s_addc_u32 s0, s5, s1
	s_lshl_b32 s4, s18, 9
	s_ashr_i32 s5, s4, 31
	s_lshl_b64 s[16:17], s[4:5], 1
	v_add_u32_e32 v4, s4, v2
	v_lshlrev_b64 v[2:3], 1, v[2:3]
	s_mov_b64 s[14:15], 0
	v_mov_b32_e32 v1, 0
	v_mov_b32_e32 v5, s0
	;; [unrolled: 1-line block ×4, first 2 shown]
	s_mov_b32 s5, s3
.LBB332_2:                              ; =>This Inner Loop Header: Depth=1
	v_add_co_u32_e32 v8, vcc, s20, v2
	v_addc_co_u32_e32 v9, vcc, v5, v3, vcc
	v_add_co_u32_e32 v10, vcc, s19, v2
	v_addc_co_u32_e32 v11, vcc, v6, v3, vcc
	global_load_ushort v12, v[8:9], off
	global_load_ushort v13, v[10:11], off
	s_add_i32 s17, s5, 1
	v_add_co_u32_e64 v2, s[0:1], s16, v2
	v_addc_co_u32_e64 v3, s[0:1], v3, v7, s[0:1]
	s_cmp_gt_u32 s5, 2
	v_cmp_le_i32_e32 vcc, s7, v4
	s_cselect_b64 s[0:1], -1, 0
	s_or_b64 s[0:1], s[0:1], vcc
	s_and_b64 s[0:1], exec, s[0:1]
	v_add_u32_e32 v4, s4, v4
	s_mov_b32 s5, s17
	s_or_b64 s[14:15], s[0:1], s[14:15]
	s_waitcnt vmcnt(0)
	v_fma_mix_f32 v1, v12, v13, v1 op_sel_hi:[1,1,0]
	s_andn2_b64 exec, exec, s[14:15]
	s_cbranch_execnz .LBB332_2
; %bb.3:
	s_or_b64 exec, exec, s[14:15]
.LBB332_4:
	s_or_b64 exec, exec, s[12:13]
	v_and_b32_e32 v3, 63, v0
	v_cmp_gt_u32_e32 vcc, 64, v0
	v_lshlrev_b32_e32 v2, 2, v3
	s_and_saveexec_b64 s[0:1], vcc
	s_cbranch_execz .LBB332_6
; %bb.5:
	v_mov_b32_e32 v4, 0
	ds_write_b32 v2, v4
.LBB332_6:
	s_or_b64 exec, exec, s[0:1]
	v_mbcnt_lo_u32_b32 v4, -1, 0
	v_mbcnt_hi_u32_b32 v6, -1, v4
	v_and_b32_e32 v7, 63, v6
	v_cmp_gt_u32_e64 s[0:1], 32, v7
	v_cndmask_b32_e64 v4, 0, 1, s[0:1]
	v_lshlrev_b32_e32 v4, 5, v4
	v_add_lshl_u32 v4, v4, v6, 2
	ds_bpermute_b32 v4, v4, v1
	v_cmp_gt_u32_e64 s[0:1], 48, v7
	v_cndmask_b32_e64 v5, 0, 1, s[0:1]
	v_lshlrev_b32_e32 v5, 4, v5
	v_cmp_gt_u32_e64 s[0:1], 56, v7
	s_waitcnt lgkmcnt(0)
	v_add_f32_e32 v1, v1, v4
	v_add_lshl_u32 v4, v5, v6, 2
	ds_bpermute_b32 v4, v4, v1
	v_cndmask_b32_e64 v5, 0, 1, s[0:1]
	v_lshlrev_b32_e32 v5, 3, v5
	v_cmp_gt_u32_e64 s[0:1], 60, v7
	s_waitcnt lgkmcnt(0)
	v_add_f32_e32 v1, v1, v4
	v_add_lshl_u32 v4, v5, v6, 2
	ds_bpermute_b32 v4, v4, v1
	v_cndmask_b32_e64 v5, 0, 1, s[0:1]
	v_lshlrev_b32_e32 v5, 2, v5
	v_cmp_gt_u32_e64 s[0:1], 62, v7
	v_cndmask_b32_e64 v8, 0, 1, s[0:1]
	s_waitcnt lgkmcnt(0)
	v_add_f32_e32 v1, v1, v4
	v_add_lshl_u32 v4, v5, v6, 2
	ds_bpermute_b32 v5, v4, v1
	v_lshlrev_b32_e32 v8, 1, v8
	v_cmp_ne_u32_e64 s[0:1], 63, v7
	s_barrier
	s_waitcnt lgkmcnt(0)
	v_add_f32_e32 v1, v1, v5
	v_add_lshl_u32 v5, v8, v6, 2
	ds_bpermute_b32 v8, v5, v1
	v_addc_co_u32_e64 v6, s[0:1], 0, v6, s[0:1]
	v_lshlrev_b32_e32 v6, 2, v6
	v_cmp_eq_u32_e64 s[0:1], 0, v3
	s_waitcnt lgkmcnt(0)
	v_add_f32_e32 v1, v1, v8
	ds_bpermute_b32 v7, v6, v1
	s_and_saveexec_b64 s[4:5], s[0:1]
	s_cbranch_execz .LBB332_8
; %bb.7:
	v_lshrrev_b32_e32 v3, 4, v0
	s_waitcnt lgkmcnt(0)
	v_add_f32_e32 v1, v1, v7
	v_and_b32_e32 v3, 28, v3
	ds_write_b32 v3, v1
.LBB332_8:
	s_or_b64 exec, exec, s[4:5]
	v_cmp_gt_u32_e64 s[0:1], 8, v0
	v_mov_b32_e32 v1, 0
	s_waitcnt lgkmcnt(0)
	s_barrier
	s_and_saveexec_b64 s[4:5], s[0:1]
	s_cbranch_execnz .LBB332_12
; %bb.9:
	s_or_b64 exec, exec, s[4:5]
	s_and_saveexec_b64 s[0:1], vcc
	s_cbranch_execnz .LBB332_13
.LBB332_10:
	s_or_b64 exec, exec, s[0:1]
	v_cmp_eq_u32_e32 vcc, 0, v0
	s_and_saveexec_b64 s[0:1], vcc
	s_cbranch_execnz .LBB332_14
.LBB332_11:
	s_endpgm
.LBB332_12:
	ds_read_b32 v1, v2
	s_or_b64 exec, exec, s[4:5]
	s_and_saveexec_b64 s[0:1], vcc
	s_cbranch_execz .LBB332_10
.LBB332_13:
	s_waitcnt lgkmcnt(0)
	ds_bpermute_b32 v2, v4, v1
	s_waitcnt lgkmcnt(0)
	v_add_f32_e32 v1, v1, v2
	ds_bpermute_b32 v2, v5, v1
	s_waitcnt lgkmcnt(0)
	v_add_f32_e32 v1, v1, v2
	ds_bpermute_b32 v2, v6, v1
	s_waitcnt lgkmcnt(0)
	v_add_f32_e32 v1, v1, v2
	s_or_b64 exec, exec, s[0:1]
	v_cmp_eq_u32_e32 vcc, 0, v0
	s_and_saveexec_b64 s[0:1], vcc
	s_cbranch_execz .LBB332_11
.LBB332_14:
	s_cmp_lg_u32 s18, 1
	s_cbranch_scc0 .LBB332_16
; %bb.15:
	s_mul_hi_u32 s1, s18, s2
	s_mul_i32 s0, s18, s2
	s_lshl_b64 s[0:1], s[0:1], 2
	s_mov_b32 s7, 0
	s_add_u32 s4, s8, s0
	s_addc_u32 s5, s9, s1
	s_lshl_b64 s[0:1], s[6:7], 2
	s_add_u32 s0, s4, s0
	s_addc_u32 s1, s5, s1
	s_cbranch_execz .LBB332_17
	s_branch .LBB332_18
.LBB332_16:
                                        ; implicit-def: $sgpr0_sgpr1
.LBB332_17:
	s_lshl_b64 s[0:1], s[2:3], 2
	s_add_u32 s0, s10, s0
	s_addc_u32 s1, s11, s1
.LBB332_18:
	v_mov_b32_e32 v0, 0
	s_waitcnt lgkmcnt(0)
	global_store_dword v0, v1, s[0:1]
	s_endpgm
	.section	.rodata,"a",@progbits
	.p2align	6, 0x0
	.amdhsa_kernel _ZL23rocblas_dot_kernel_inc1ILb0ELi512ELi4ELb0EfPKDF16_fEviT4_llS2_lliPT5_PT3_
		.amdhsa_group_segment_fixed_size 256
		.amdhsa_private_segment_fixed_size 0
		.amdhsa_kernarg_size 336
		.amdhsa_user_sgpr_count 6
		.amdhsa_user_sgpr_private_segment_buffer 1
		.amdhsa_user_sgpr_dispatch_ptr 0
		.amdhsa_user_sgpr_queue_ptr 0
		.amdhsa_user_sgpr_kernarg_segment_ptr 1
		.amdhsa_user_sgpr_dispatch_id 0
		.amdhsa_user_sgpr_flat_scratch_init 0
		.amdhsa_user_sgpr_kernarg_preload_length 0
		.amdhsa_user_sgpr_kernarg_preload_offset 0
		.amdhsa_user_sgpr_private_segment_size 0
		.amdhsa_uses_dynamic_stack 0
		.amdhsa_system_sgpr_private_segment_wavefront_offset 0
		.amdhsa_system_sgpr_workgroup_id_x 1
		.amdhsa_system_sgpr_workgroup_id_y 0
		.amdhsa_system_sgpr_workgroup_id_z 1
		.amdhsa_system_sgpr_workgroup_info 0
		.amdhsa_system_vgpr_workitem_id 0
		.amdhsa_next_free_vgpr 14
		.amdhsa_next_free_sgpr 28
		.amdhsa_accum_offset 16
		.amdhsa_reserve_vcc 1
		.amdhsa_reserve_flat_scratch 0
		.amdhsa_float_round_mode_32 0
		.amdhsa_float_round_mode_16_64 0
		.amdhsa_float_denorm_mode_32 3
		.amdhsa_float_denorm_mode_16_64 3
		.amdhsa_dx10_clamp 1
		.amdhsa_ieee_mode 1
		.amdhsa_fp16_overflow 0
		.amdhsa_tg_split 0
		.amdhsa_exception_fp_ieee_invalid_op 0
		.amdhsa_exception_fp_denorm_src 0
		.amdhsa_exception_fp_ieee_div_zero 0
		.amdhsa_exception_fp_ieee_overflow 0
		.amdhsa_exception_fp_ieee_underflow 0
		.amdhsa_exception_fp_ieee_inexact 0
		.amdhsa_exception_int_div_zero 0
	.end_amdhsa_kernel
	.section	.text._ZL23rocblas_dot_kernel_inc1ILb0ELi512ELi4ELb0EfPKDF16_fEviT4_llS2_lliPT5_PT3_,"axG",@progbits,_ZL23rocblas_dot_kernel_inc1ILb0ELi512ELi4ELb0EfPKDF16_fEviT4_llS2_lliPT5_PT3_,comdat
.Lfunc_end332:
	.size	_ZL23rocblas_dot_kernel_inc1ILb0ELi512ELi4ELb0EfPKDF16_fEviT4_llS2_lliPT5_PT3_, .Lfunc_end332-_ZL23rocblas_dot_kernel_inc1ILb0ELi512ELi4ELb0EfPKDF16_fEviT4_llS2_lliPT5_PT3_
                                        ; -- End function
	.section	.AMDGPU.csdata,"",@progbits
; Kernel info:
; codeLenInByte = 924
; NumSgprs: 32
; NumVgprs: 14
; NumAgprs: 0
; TotalNumVgprs: 14
; ScratchSize: 0
; MemoryBound: 0
; FloatMode: 240
; IeeeMode: 1
; LDSByteSize: 256 bytes/workgroup (compile time only)
; SGPRBlocks: 3
; VGPRBlocks: 1
; NumSGPRsForWavesPerEU: 32
; NumVGPRsForWavesPerEU: 14
; AccumOffset: 16
; Occupancy: 8
; WaveLimiterHint : 0
; COMPUTE_PGM_RSRC2:SCRATCH_EN: 0
; COMPUTE_PGM_RSRC2:USER_SGPR: 6
; COMPUTE_PGM_RSRC2:TRAP_HANDLER: 0
; COMPUTE_PGM_RSRC2:TGID_X_EN: 1
; COMPUTE_PGM_RSRC2:TGID_Y_EN: 0
; COMPUTE_PGM_RSRC2:TGID_Z_EN: 1
; COMPUTE_PGM_RSRC2:TIDIG_COMP_CNT: 0
; COMPUTE_PGM_RSRC3_GFX90A:ACCUM_OFFSET: 3
; COMPUTE_PGM_RSRC3_GFX90A:TG_SPLIT: 0
	.section	.text._ZL18rocblas_dot_kernelIlLb0ELi512ELi4ELb0EfPKDF16_fEviT5_lT_lS2_lS3_liPT6_PT4_,"axG",@progbits,_ZL18rocblas_dot_kernelIlLb0ELi512ELi4ELb0EfPKDF16_fEviT5_lT_lS2_lS3_liPT6_PT4_,comdat
	.globl	_ZL18rocblas_dot_kernelIlLb0ELi512ELi4ELb0EfPKDF16_fEviT5_lT_lS2_lS3_liPT6_PT4_ ; -- Begin function _ZL18rocblas_dot_kernelIlLb0ELi512ELi4ELb0EfPKDF16_fEviT5_lT_lS2_lS3_liPT6_PT4_
	.p2align	8
	.type	_ZL18rocblas_dot_kernelIlLb0ELi512ELi4ELb0EfPKDF16_fEviT5_lT_lS2_lS3_liPT6_PT4_,@function
_ZL18rocblas_dot_kernelIlLb0ELi512ELi4ELb0EfPKDF16_fEviT5_lT_lS2_lS3_liPT6_PT4_: ; @_ZL18rocblas_dot_kernelIlLb0ELi512ELi4ELb0EfPKDF16_fEviT5_lT_lS2_lS3_liPT6_PT4_
; %bb.0:
	s_mov_b32 s2, s7
	s_load_dword s22, s[4:5], 0x60
	s_load_dword s7, s[4:5], 0x0
	s_load_dwordx4 s[16:19], s[4:5], 0x50
	v_lshl_or_b32 v4, s6, 9, v0
	s_mov_b32 s3, 0
	v_mov_b32_e32 v6, 0
	s_waitcnt lgkmcnt(0)
	v_cmp_gt_i32_e32 vcc, s7, v4
	s_and_saveexec_b64 s[20:21], vcc
	s_cbranch_execz .LBB333_4
; %bb.1:
	s_load_dwordx8 s[8:15], s[4:5], 0x20
	s_load_dwordx2 s[0:1], s[4:5], 0x8
	s_load_dwordx4 s[24:27], s[4:5], 0x10
	s_load_dwordx2 s[28:29], s[4:5], 0x40
	s_lshl_b32 s23, s22, 9
	v_ashrrev_i32_e32 v5, 31, v4
	v_add_u32_e32 v1, s23, v4
	s_waitcnt lgkmcnt(0)
	v_mad_u64_u32 v[2:3], s[4:5], s26, v4, 0
	s_mul_i32 s4, s9, s2
	s_mul_hi_u32 s5, s8, s2
	s_add_i32 s5, s5, s4
	s_mul_i32 s4, s8, s2
	s_lshl_b64 s[4:5], s[4:5], 1
	s_lshl_b64 s[8:9], s[24:25], 1
	s_add_u32 s0, s0, s8
	v_mul_lo_u32 v6, s27, v4
	v_mul_lo_u32 v7, s26, v5
	s_addc_u32 s1, s1, s9
	v_add3_u32 v3, v3, v7, v6
	s_add_u32 s0, s0, s4
	v_lshlrev_b64 v[2:3], 1, v[2:3]
	s_addc_u32 s1, s1, s5
	s_ashr_i32 s24, s23, 31
	v_mov_b32_e32 v6, s1
	v_add_co_u32_e32 v2, vcc, s0, v2
	s_mul_i32 s0, s26, s24
	s_mul_hi_u32 s1, s26, s23
	s_add_i32 s0, s1, s0
	s_mul_i32 s1, s27, s23
	s_add_i32 s1, s0, s1
	s_mul_i32 s0, s26, s23
	v_addc_co_u32_e32 v3, vcc, v6, v3, vcc
	s_lshl_b64 s[4:5], s[0:1], 1
	v_mul_lo_u32 v6, s15, v4
	v_mul_lo_u32 v7, s14, v5
	v_mad_u64_u32 v[4:5], s[0:1], s14, v4, 0
	s_mul_i32 s0, s29, s2
	s_mul_hi_u32 s1, s28, s2
	s_add_i32 s1, s1, s0
	s_mul_i32 s0, s28, s2
	s_lshl_b64 s[0:1], s[0:1], 1
	s_lshl_b64 s[8:9], s[12:13], 1
	s_add_u32 s8, s10, s8
	s_addc_u32 s9, s11, s9
	v_add3_u32 v5, v5, v7, v6
	s_add_u32 s0, s8, s0
	v_lshlrev_b64 v[4:5], 1, v[4:5]
	s_addc_u32 s1, s9, s1
	v_mov_b32_e32 v6, s1
	v_add_co_u32_e32 v4, vcc, s0, v4
	s_mul_i32 s0, s14, s24
	s_mul_hi_u32 s1, s14, s23
	s_add_i32 s0, s1, s0
	s_mul_i32 s1, s15, s23
	s_add_i32 s1, s0, s1
	s_mul_i32 s0, s14, s23
	s_lshl_b64 s[10:11], s[0:1], 1
	v_addc_co_u32_e32 v5, vcc, v6, v5, vcc
	s_mov_b64 s[8:9], 0
	v_mov_b32_e32 v6, 0
	v_mov_b32_e32 v7, s5
	v_mov_b32_e32 v8, s11
	s_mov_b32 s5, s3
.LBB333_2:                              ; =>This Inner Loop Header: Depth=1
	global_load_ushort v9, v[4:5], off
	global_load_ushort v10, v[2:3], off
	v_add_co_u32_e64 v2, s[0:1], s4, v2
	v_addc_co_u32_e64 v3, s[0:1], v3, v7, s[0:1]
	s_add_i32 s11, s5, 1
	v_add_co_u32_e64 v4, s[0:1], s10, v4
	v_addc_co_u32_e64 v5, s[0:1], v5, v8, s[0:1]
	s_cmp_gt_u32 s5, 2
	v_cmp_le_i32_e32 vcc, s7, v1
	s_cselect_b64 s[0:1], -1, 0
	s_or_b64 s[0:1], s[0:1], vcc
	s_and_b64 s[0:1], exec, s[0:1]
	v_add_u32_e32 v1, s23, v1
	s_mov_b32 s5, s11
	s_or_b64 s[8:9], s[0:1], s[8:9]
	s_waitcnt vmcnt(0)
	v_fma_mix_f32 v6, v9, v10, v6 op_sel_hi:[1,1,0]
	s_andn2_b64 exec, exec, s[8:9]
	s_cbranch_execnz .LBB333_2
; %bb.3:
	s_or_b64 exec, exec, s[8:9]
.LBB333_4:
	s_or_b64 exec, exec, s[20:21]
	v_and_b32_e32 v2, 63, v0
	v_cmp_gt_u32_e32 vcc, 64, v0
	v_lshlrev_b32_e32 v1, 2, v2
	s_and_saveexec_b64 s[0:1], vcc
	s_cbranch_execz .LBB333_6
; %bb.5:
	v_mov_b32_e32 v3, 0
	ds_write_b32 v1, v3
.LBB333_6:
	s_or_b64 exec, exec, s[0:1]
	v_mbcnt_lo_u32_b32 v3, -1, 0
	v_mbcnt_hi_u32_b32 v5, -1, v3
	v_and_b32_e32 v7, 63, v5
	v_cmp_gt_u32_e64 s[0:1], 32, v7
	v_cndmask_b32_e64 v3, 0, 1, s[0:1]
	v_lshlrev_b32_e32 v3, 5, v3
	v_add_lshl_u32 v3, v3, v5, 2
	ds_bpermute_b32 v3, v3, v6
	v_cmp_gt_u32_e64 s[0:1], 48, v7
	v_cndmask_b32_e64 v4, 0, 1, s[0:1]
	v_lshlrev_b32_e32 v4, 4, v4
	v_add_lshl_u32 v4, v4, v5, 2
	s_waitcnt lgkmcnt(0)
	v_add_f32_e32 v3, v6, v3
	ds_bpermute_b32 v4, v4, v3
	v_cmp_gt_u32_e64 s[0:1], 56, v7
	v_cndmask_b32_e64 v6, 0, 1, s[0:1]
	v_lshlrev_b32_e32 v6, 3, v6
	v_cmp_gt_u32_e64 s[0:1], 60, v7
	s_waitcnt lgkmcnt(0)
	v_add_f32_e32 v3, v3, v4
	v_add_lshl_u32 v4, v6, v5, 2
	ds_bpermute_b32 v4, v4, v3
	v_cndmask_b32_e64 v6, 0, 1, s[0:1]
	v_lshlrev_b32_e32 v6, 2, v6
	v_cmp_gt_u32_e64 s[0:1], 62, v7
	v_cndmask_b32_e64 v8, 0, 1, s[0:1]
	s_waitcnt lgkmcnt(0)
	v_add_f32_e32 v4, v3, v4
	v_add_lshl_u32 v3, v6, v5, 2
	ds_bpermute_b32 v6, v3, v4
	v_lshlrev_b32_e32 v8, 1, v8
	v_cmp_ne_u32_e64 s[0:1], 63, v7
	s_waitcnt lgkmcnt(0)
	s_barrier
	v_add_f32_e32 v6, v4, v6
	v_add_lshl_u32 v4, v8, v5, 2
	ds_bpermute_b32 v8, v4, v6
	v_addc_co_u32_e64 v5, s[0:1], 0, v5, s[0:1]
	v_lshlrev_b32_e32 v5, 2, v5
	v_cmp_eq_u32_e64 s[0:1], 0, v2
	s_waitcnt lgkmcnt(0)
	v_add_f32_e32 v6, v6, v8
	ds_bpermute_b32 v7, v5, v6
	s_waitcnt lgkmcnt(0)
	s_and_saveexec_b64 s[4:5], s[0:1]
	s_cbranch_execz .LBB333_8
; %bb.7:
	v_add_f32_e32 v2, v6, v7
	v_lshrrev_b32_e32 v6, 4, v0
	v_and_b32_e32 v6, 28, v6
	ds_write_b32 v6, v2
.LBB333_8:
	s_or_b64 exec, exec, s[4:5]
	v_cmp_gt_u32_e64 s[0:1], 8, v0
	v_mov_b32_e32 v2, 0
	s_waitcnt lgkmcnt(0)
	s_barrier
	s_and_saveexec_b64 s[4:5], s[0:1]
	s_cbranch_execnz .LBB333_12
; %bb.9:
	s_or_b64 exec, exec, s[4:5]
	s_and_saveexec_b64 s[0:1], vcc
	s_cbranch_execnz .LBB333_13
.LBB333_10:
	s_or_b64 exec, exec, s[0:1]
	v_cmp_eq_u32_e32 vcc, 0, v0
	s_and_saveexec_b64 s[0:1], vcc
	s_cbranch_execnz .LBB333_14
.LBB333_11:
	s_endpgm
.LBB333_12:
	ds_read_b32 v2, v1
	s_or_b64 exec, exec, s[4:5]
	s_and_saveexec_b64 s[0:1], vcc
	s_cbranch_execz .LBB333_10
.LBB333_13:
	s_waitcnt lgkmcnt(0)
	ds_bpermute_b32 v1, v3, v2
	s_waitcnt lgkmcnt(0)
	v_add_f32_e32 v1, v2, v1
	ds_bpermute_b32 v2, v4, v1
	s_waitcnt lgkmcnt(0)
	v_add_f32_e32 v1, v1, v2
	;; [unrolled: 3-line block ×3, first 2 shown]
	s_or_b64 exec, exec, s[0:1]
	v_cmp_eq_u32_e32 vcc, 0, v0
	s_and_saveexec_b64 s[0:1], vcc
	s_cbranch_execz .LBB333_11
.LBB333_14:
	s_cmp_lg_u32 s22, 1
	s_cbranch_scc0 .LBB333_16
; %bb.15:
	s_mul_hi_u32 s1, s22, s2
	s_mul_i32 s0, s22, s2
	s_lshl_b64 s[0:1], s[0:1], 2
	s_mov_b32 s7, 0
	s_add_u32 s4, s16, s0
	s_addc_u32 s5, s17, s1
	s_lshl_b64 s[0:1], s[6:7], 2
	s_add_u32 s0, s4, s0
	s_addc_u32 s1, s5, s1
	s_cbranch_execz .LBB333_17
	s_branch .LBB333_18
.LBB333_16:
                                        ; implicit-def: $sgpr0_sgpr1
.LBB333_17:
	s_lshl_b64 s[0:1], s[2:3], 2
	s_add_u32 s0, s18, s0
	s_addc_u32 s1, s19, s1
.LBB333_18:
	v_mov_b32_e32 v0, 0
	s_waitcnt lgkmcnt(0)
	global_store_dword v0, v2, s[0:1]
	s_endpgm
	.section	.rodata,"a",@progbits
	.p2align	6, 0x0
	.amdhsa_kernel _ZL18rocblas_dot_kernelIlLb0ELi512ELi4ELb0EfPKDF16_fEviT5_lT_lS2_lS3_liPT6_PT4_
		.amdhsa_group_segment_fixed_size 256
		.amdhsa_private_segment_fixed_size 0
		.amdhsa_kernarg_size 352
		.amdhsa_user_sgpr_count 6
		.amdhsa_user_sgpr_private_segment_buffer 1
		.amdhsa_user_sgpr_dispatch_ptr 0
		.amdhsa_user_sgpr_queue_ptr 0
		.amdhsa_user_sgpr_kernarg_segment_ptr 1
		.amdhsa_user_sgpr_dispatch_id 0
		.amdhsa_user_sgpr_flat_scratch_init 0
		.amdhsa_user_sgpr_kernarg_preload_length 0
		.amdhsa_user_sgpr_kernarg_preload_offset 0
		.amdhsa_user_sgpr_private_segment_size 0
		.amdhsa_uses_dynamic_stack 0
		.amdhsa_system_sgpr_private_segment_wavefront_offset 0
		.amdhsa_system_sgpr_workgroup_id_x 1
		.amdhsa_system_sgpr_workgroup_id_y 0
		.amdhsa_system_sgpr_workgroup_id_z 1
		.amdhsa_system_sgpr_workgroup_info 0
		.amdhsa_system_vgpr_workitem_id 0
		.amdhsa_next_free_vgpr 11
		.amdhsa_next_free_sgpr 30
		.amdhsa_accum_offset 12
		.amdhsa_reserve_vcc 1
		.amdhsa_reserve_flat_scratch 0
		.amdhsa_float_round_mode_32 0
		.amdhsa_float_round_mode_16_64 0
		.amdhsa_float_denorm_mode_32 3
		.amdhsa_float_denorm_mode_16_64 3
		.amdhsa_dx10_clamp 1
		.amdhsa_ieee_mode 1
		.amdhsa_fp16_overflow 0
		.amdhsa_tg_split 0
		.amdhsa_exception_fp_ieee_invalid_op 0
		.amdhsa_exception_fp_denorm_src 0
		.amdhsa_exception_fp_ieee_div_zero 0
		.amdhsa_exception_fp_ieee_overflow 0
		.amdhsa_exception_fp_ieee_underflow 0
		.amdhsa_exception_fp_ieee_inexact 0
		.amdhsa_exception_int_div_zero 0
	.end_amdhsa_kernel
	.section	.text._ZL18rocblas_dot_kernelIlLb0ELi512ELi4ELb0EfPKDF16_fEviT5_lT_lS2_lS3_liPT6_PT4_,"axG",@progbits,_ZL18rocblas_dot_kernelIlLb0ELi512ELi4ELb0EfPKDF16_fEviT5_lT_lS2_lS3_liPT6_PT4_,comdat
.Lfunc_end333:
	.size	_ZL18rocblas_dot_kernelIlLb0ELi512ELi4ELb0EfPKDF16_fEviT5_lT_lS2_lS3_liPT6_PT4_, .Lfunc_end333-_ZL18rocblas_dot_kernelIlLb0ELi512ELi4ELb0EfPKDF16_fEviT5_lT_lS2_lS3_liPT6_PT4_
                                        ; -- End function
	.section	.AMDGPU.csdata,"",@progbits
; Kernel info:
; codeLenInByte = 1068
; NumSgprs: 34
; NumVgprs: 11
; NumAgprs: 0
; TotalNumVgprs: 11
; ScratchSize: 0
; MemoryBound: 0
; FloatMode: 240
; IeeeMode: 1
; LDSByteSize: 256 bytes/workgroup (compile time only)
; SGPRBlocks: 4
; VGPRBlocks: 1
; NumSGPRsForWavesPerEU: 34
; NumVGPRsForWavesPerEU: 11
; AccumOffset: 12
; Occupancy: 8
; WaveLimiterHint : 0
; COMPUTE_PGM_RSRC2:SCRATCH_EN: 0
; COMPUTE_PGM_RSRC2:USER_SGPR: 6
; COMPUTE_PGM_RSRC2:TRAP_HANDLER: 0
; COMPUTE_PGM_RSRC2:TGID_X_EN: 1
; COMPUTE_PGM_RSRC2:TGID_Y_EN: 0
; COMPUTE_PGM_RSRC2:TGID_Z_EN: 1
; COMPUTE_PGM_RSRC2:TIDIG_COMP_CNT: 0
; COMPUTE_PGM_RSRC3_GFX90A:ACCUM_OFFSET: 2
; COMPUTE_PGM_RSRC3_GFX90A:TG_SPLIT: 0
	.section	.text._ZL24rocblas_dot_kernel_magsqIlLb0ELi512ELi4ELb0EfPKDF16_fEviT5_lT_liPT6_PT4_,"axG",@progbits,_ZL24rocblas_dot_kernel_magsqIlLb0ELi512ELi4ELb0EfPKDF16_fEviT5_lT_liPT6_PT4_,comdat
	.globl	_ZL24rocblas_dot_kernel_magsqIlLb0ELi512ELi4ELb0EfPKDF16_fEviT5_lT_liPT6_PT4_ ; -- Begin function _ZL24rocblas_dot_kernel_magsqIlLb0ELi512ELi4ELb0EfPKDF16_fEviT5_lT_liPT6_PT4_
	.p2align	8
	.type	_ZL24rocblas_dot_kernel_magsqIlLb0ELi512ELi4ELb0EfPKDF16_fEviT5_lT_liPT6_PT4_,@function
_ZL24rocblas_dot_kernel_magsqIlLb0ELi512ELi4ELb0EfPKDF16_fEviT5_lT_liPT6_PT4_: ; @_ZL24rocblas_dot_kernel_magsqIlLb0ELi512ELi4ELb0EfPKDF16_fEviT5_lT_liPT6_PT4_
; %bb.0:
	s_mov_b32 s2, s7
	s_load_dword s7, s[4:5], 0x0
	s_load_dwordx4 s[8:11], s[4:5], 0x30
	s_load_dword s16, s[4:5], 0x40
	v_lshl_or_b32 v2, s6, 9, v0
	s_mov_b32 s3, 0
	s_waitcnt lgkmcnt(0)
	v_cmp_gt_i32_e32 vcc, s7, v2
	v_mov_b32_e32 v1, 0
	s_and_saveexec_b64 s[12:13], vcc
	s_cbranch_execz .LBB334_4
; %bb.1:
	s_load_dwordx2 s[0:1], s[4:5], 0x8
	s_load_dwordx4 s[20:23], s[4:5], 0x10
	s_load_dwordx2 s[14:15], s[4:5], 0x20
	s_lshl_b32 s17, s16, 9
	v_add_u32_e32 v4, s17, v2
	v_ashrrev_i32_e32 v1, 31, v2
	s_waitcnt lgkmcnt(0)
	v_mul_lo_u32 v5, s23, v2
	v_mad_u64_u32 v[2:3], s[4:5], s22, v2, 0
	s_mul_i32 s4, s15, s2
	s_mul_hi_u32 s5, s14, s2
	s_add_i32 s5, s5, s4
	s_mul_i32 s4, s14, s2
	s_lshl_b64 s[4:5], s[4:5], 1
	s_lshl_b64 s[14:15], s[20:21], 1
	v_mul_lo_u32 v1, s22, v1
	s_add_u32 s0, s0, s14
	v_add3_u32 v3, v3, v1, v5
	s_addc_u32 s1, s1, s15
	v_lshlrev_b64 v[2:3], 1, v[2:3]
	s_add_u32 s0, s0, s4
	s_addc_u32 s1, s1, s5
	v_add_co_u32_e32 v2, vcc, s0, v2
	s_ashr_i32 s0, s17, 31
	v_mov_b32_e32 v1, s1
	s_mul_i32 s0, s22, s0
	s_mul_hi_u32 s1, s22, s17
	s_add_i32 s0, s1, s0
	s_mul_i32 s1, s23, s17
	s_add_i32 s1, s0, s1
	s_mul_i32 s0, s22, s17
	s_lshl_b64 s[14:15], s[0:1], 1
	v_addc_co_u32_e32 v3, vcc, v1, v3, vcc
	s_mov_b64 s[4:5], 0
	v_mov_b32_e32 v1, 0
	v_mov_b32_e32 v5, s15
	s_mov_b32 s15, s3
.LBB334_2:                              ; =>This Inner Loop Header: Depth=1
	global_load_ushort v6, v[2:3], off
	s_add_i32 s18, s15, 1
	v_add_co_u32_e64 v2, s[0:1], s14, v2
	v_addc_co_u32_e64 v3, s[0:1], v3, v5, s[0:1]
	s_cmp_gt_u32 s15, 2
	v_cmp_le_i32_e32 vcc, s7, v4
	s_cselect_b64 s[0:1], -1, 0
	s_or_b64 s[0:1], s[0:1], vcc
	s_and_b64 s[0:1], exec, s[0:1]
	v_add_u32_e32 v4, s17, v4
	s_mov_b32 s15, s18
	s_or_b64 s[4:5], s[0:1], s[4:5]
	s_waitcnt vmcnt(0)
	v_fma_mix_f32 v1, v6, v6, v1 op_sel_hi:[1,1,0]
	s_andn2_b64 exec, exec, s[4:5]
	s_cbranch_execnz .LBB334_2
; %bb.3:
	s_or_b64 exec, exec, s[4:5]
.LBB334_4:
	s_or_b64 exec, exec, s[12:13]
	v_and_b32_e32 v3, 63, v0
	v_cmp_gt_u32_e32 vcc, 64, v0
	v_lshlrev_b32_e32 v2, 2, v3
	s_and_saveexec_b64 s[0:1], vcc
	s_cbranch_execz .LBB334_6
; %bb.5:
	v_mov_b32_e32 v4, 0
	ds_write_b32 v2, v4
.LBB334_6:
	s_or_b64 exec, exec, s[0:1]
	v_mbcnt_lo_u32_b32 v4, -1, 0
	v_mbcnt_hi_u32_b32 v6, -1, v4
	v_and_b32_e32 v7, 63, v6
	v_cmp_gt_u32_e64 s[0:1], 32, v7
	v_cndmask_b32_e64 v4, 0, 1, s[0:1]
	v_lshlrev_b32_e32 v4, 5, v4
	v_add_lshl_u32 v4, v4, v6, 2
	ds_bpermute_b32 v4, v4, v1
	v_cmp_gt_u32_e64 s[0:1], 48, v7
	v_cndmask_b32_e64 v5, 0, 1, s[0:1]
	v_lshlrev_b32_e32 v5, 4, v5
	v_cmp_gt_u32_e64 s[0:1], 56, v7
	s_waitcnt lgkmcnt(0)
	v_add_f32_e32 v1, v1, v4
	v_add_lshl_u32 v4, v5, v6, 2
	ds_bpermute_b32 v4, v4, v1
	v_cndmask_b32_e64 v5, 0, 1, s[0:1]
	v_lshlrev_b32_e32 v5, 3, v5
	v_cmp_gt_u32_e64 s[0:1], 60, v7
	s_waitcnt lgkmcnt(0)
	v_add_f32_e32 v1, v1, v4
	v_add_lshl_u32 v4, v5, v6, 2
	ds_bpermute_b32 v4, v4, v1
	v_cndmask_b32_e64 v5, 0, 1, s[0:1]
	v_lshlrev_b32_e32 v5, 2, v5
	v_cmp_gt_u32_e64 s[0:1], 62, v7
	v_cndmask_b32_e64 v8, 0, 1, s[0:1]
	s_waitcnt lgkmcnt(0)
	v_add_f32_e32 v1, v1, v4
	v_add_lshl_u32 v4, v5, v6, 2
	ds_bpermute_b32 v5, v4, v1
	v_lshlrev_b32_e32 v8, 1, v8
	v_cmp_ne_u32_e64 s[0:1], 63, v7
	s_barrier
	s_waitcnt lgkmcnt(0)
	v_add_f32_e32 v1, v1, v5
	v_add_lshl_u32 v5, v8, v6, 2
	ds_bpermute_b32 v8, v5, v1
	v_addc_co_u32_e64 v6, s[0:1], 0, v6, s[0:1]
	v_lshlrev_b32_e32 v6, 2, v6
	v_cmp_eq_u32_e64 s[0:1], 0, v3
	s_waitcnt lgkmcnt(0)
	v_add_f32_e32 v1, v1, v8
	ds_bpermute_b32 v7, v6, v1
	s_and_saveexec_b64 s[4:5], s[0:1]
	s_cbranch_execz .LBB334_8
; %bb.7:
	v_lshrrev_b32_e32 v3, 4, v0
	s_waitcnt lgkmcnt(0)
	v_add_f32_e32 v1, v1, v7
	v_and_b32_e32 v3, 28, v3
	ds_write_b32 v3, v1
.LBB334_8:
	s_or_b64 exec, exec, s[4:5]
	v_cmp_gt_u32_e64 s[0:1], 8, v0
	v_mov_b32_e32 v1, 0
	s_waitcnt lgkmcnt(0)
	s_barrier
	s_and_saveexec_b64 s[4:5], s[0:1]
	s_cbranch_execnz .LBB334_12
; %bb.9:
	s_or_b64 exec, exec, s[4:5]
	s_and_saveexec_b64 s[0:1], vcc
	s_cbranch_execnz .LBB334_13
.LBB334_10:
	s_or_b64 exec, exec, s[0:1]
	v_cmp_eq_u32_e32 vcc, 0, v0
	s_and_saveexec_b64 s[0:1], vcc
	s_cbranch_execnz .LBB334_14
.LBB334_11:
	s_endpgm
.LBB334_12:
	ds_read_b32 v1, v2
	s_or_b64 exec, exec, s[4:5]
	s_and_saveexec_b64 s[0:1], vcc
	s_cbranch_execz .LBB334_10
.LBB334_13:
	s_waitcnt lgkmcnt(0)
	ds_bpermute_b32 v2, v4, v1
	s_waitcnt lgkmcnt(0)
	v_add_f32_e32 v1, v1, v2
	ds_bpermute_b32 v2, v5, v1
	s_waitcnt lgkmcnt(0)
	v_add_f32_e32 v1, v1, v2
	;; [unrolled: 3-line block ×3, first 2 shown]
	s_or_b64 exec, exec, s[0:1]
	v_cmp_eq_u32_e32 vcc, 0, v0
	s_and_saveexec_b64 s[0:1], vcc
	s_cbranch_execz .LBB334_11
.LBB334_14:
	s_cmp_lg_u32 s16, 1
	s_cbranch_scc0 .LBB334_16
; %bb.15:
	s_mul_hi_u32 s1, s16, s2
	s_mul_i32 s0, s16, s2
	s_lshl_b64 s[0:1], s[0:1], 2
	s_mov_b32 s7, 0
	s_add_u32 s4, s8, s0
	s_addc_u32 s5, s9, s1
	s_lshl_b64 s[0:1], s[6:7], 2
	s_add_u32 s0, s4, s0
	s_addc_u32 s1, s5, s1
	s_cbranch_execz .LBB334_17
	s_branch .LBB334_18
.LBB334_16:
                                        ; implicit-def: $sgpr0_sgpr1
.LBB334_17:
	s_lshl_b64 s[0:1], s[2:3], 2
	s_add_u32 s0, s10, s0
	s_addc_u32 s1, s11, s1
.LBB334_18:
	v_mov_b32_e32 v0, 0
	s_waitcnt lgkmcnt(0)
	global_store_dword v0, v1, s[0:1]
	s_endpgm
	.section	.rodata,"a",@progbits
	.p2align	6, 0x0
	.amdhsa_kernel _ZL24rocblas_dot_kernel_magsqIlLb0ELi512ELi4ELb0EfPKDF16_fEviT5_lT_liPT6_PT4_
		.amdhsa_group_segment_fixed_size 256
		.amdhsa_private_segment_fixed_size 0
		.amdhsa_kernarg_size 320
		.amdhsa_user_sgpr_count 6
		.amdhsa_user_sgpr_private_segment_buffer 1
		.amdhsa_user_sgpr_dispatch_ptr 0
		.amdhsa_user_sgpr_queue_ptr 0
		.amdhsa_user_sgpr_kernarg_segment_ptr 1
		.amdhsa_user_sgpr_dispatch_id 0
		.amdhsa_user_sgpr_flat_scratch_init 0
		.amdhsa_user_sgpr_kernarg_preload_length 0
		.amdhsa_user_sgpr_kernarg_preload_offset 0
		.amdhsa_user_sgpr_private_segment_size 0
		.amdhsa_uses_dynamic_stack 0
		.amdhsa_system_sgpr_private_segment_wavefront_offset 0
		.amdhsa_system_sgpr_workgroup_id_x 1
		.amdhsa_system_sgpr_workgroup_id_y 0
		.amdhsa_system_sgpr_workgroup_id_z 1
		.amdhsa_system_sgpr_workgroup_info 0
		.amdhsa_system_vgpr_workitem_id 0
		.amdhsa_next_free_vgpr 9
		.amdhsa_next_free_sgpr 24
		.amdhsa_accum_offset 12
		.amdhsa_reserve_vcc 1
		.amdhsa_reserve_flat_scratch 0
		.amdhsa_float_round_mode_32 0
		.amdhsa_float_round_mode_16_64 0
		.amdhsa_float_denorm_mode_32 3
		.amdhsa_float_denorm_mode_16_64 3
		.amdhsa_dx10_clamp 1
		.amdhsa_ieee_mode 1
		.amdhsa_fp16_overflow 0
		.amdhsa_tg_split 0
		.amdhsa_exception_fp_ieee_invalid_op 0
		.amdhsa_exception_fp_denorm_src 0
		.amdhsa_exception_fp_ieee_div_zero 0
		.amdhsa_exception_fp_ieee_overflow 0
		.amdhsa_exception_fp_ieee_underflow 0
		.amdhsa_exception_fp_ieee_inexact 0
		.amdhsa_exception_int_div_zero 0
	.end_amdhsa_kernel
	.section	.text._ZL24rocblas_dot_kernel_magsqIlLb0ELi512ELi4ELb0EfPKDF16_fEviT5_lT_liPT6_PT4_,"axG",@progbits,_ZL24rocblas_dot_kernel_magsqIlLb0ELi512ELi4ELb0EfPKDF16_fEviT5_lT_liPT6_PT4_,comdat
.Lfunc_end334:
	.size	_ZL24rocblas_dot_kernel_magsqIlLb0ELi512ELi4ELb0EfPKDF16_fEviT5_lT_liPT6_PT4_, .Lfunc_end334-_ZL24rocblas_dot_kernel_magsqIlLb0ELi512ELi4ELb0EfPKDF16_fEviT5_lT_liPT6_PT4_
                                        ; -- End function
	.section	.AMDGPU.csdata,"",@progbits
; Kernel info:
; codeLenInByte = 912
; NumSgprs: 28
; NumVgprs: 9
; NumAgprs: 0
; TotalNumVgprs: 9
; ScratchSize: 0
; MemoryBound: 0
; FloatMode: 240
; IeeeMode: 1
; LDSByteSize: 256 bytes/workgroup (compile time only)
; SGPRBlocks: 3
; VGPRBlocks: 1
; NumSGPRsForWavesPerEU: 28
; NumVGPRsForWavesPerEU: 9
; AccumOffset: 12
; Occupancy: 8
; WaveLimiterHint : 0
; COMPUTE_PGM_RSRC2:SCRATCH_EN: 0
; COMPUTE_PGM_RSRC2:USER_SGPR: 6
; COMPUTE_PGM_RSRC2:TRAP_HANDLER: 0
; COMPUTE_PGM_RSRC2:TGID_X_EN: 1
; COMPUTE_PGM_RSRC2:TGID_Y_EN: 0
; COMPUTE_PGM_RSRC2:TGID_Z_EN: 1
; COMPUTE_PGM_RSRC2:TIDIG_COMP_CNT: 0
; COMPUTE_PGM_RSRC3_GFX90A:ACCUM_OFFSET: 2
; COMPUTE_PGM_RSRC3_GFX90A:TG_SPLIT: 0
	.section	.text._ZL28rocblas_dot_batched_4_kernelIlLi32ELi4ELb0EffPKPKDF16_EviT5_lT_lS4_lS5_liPT4_,"axG",@progbits,_ZL28rocblas_dot_batched_4_kernelIlLi32ELi4ELb0EffPKPKDF16_EviT5_lT_lS4_lS5_liPT4_,comdat
	.globl	_ZL28rocblas_dot_batched_4_kernelIlLi32ELi4ELb0EffPKPKDF16_EviT5_lT_lS4_lS5_liPT4_ ; -- Begin function _ZL28rocblas_dot_batched_4_kernelIlLi32ELi4ELb0EffPKPKDF16_EviT5_lT_lS4_lS5_liPT4_
	.p2align	8
	.type	_ZL28rocblas_dot_batched_4_kernelIlLi32ELi4ELb0EffPKPKDF16_EviT5_lT_lS4_lS5_liPT4_,@function
_ZL28rocblas_dot_batched_4_kernelIlLi32ELi4ELb0EffPKPKDF16_EviT5_lT_lS4_lS5_liPT4_: ; @_ZL28rocblas_dot_batched_4_kernelIlLi32ELi4ELb0EffPKPKDF16_EviT5_lT_lS4_lS5_liPT4_
; %bb.0:
	s_load_dword s0, s[4:5], 0x48
	v_bfe_u32 v1, v0, 10, 10
	v_lshl_add_u32 v2, s6, 2, v1
	s_waitcnt lgkmcnt(0)
	v_cmp_gt_u32_e32 vcc, s0, v2
	s_and_saveexec_b64 s[0:1], vcc
	s_cbranch_execz .LBB335_7
; %bb.1:
	s_load_dword s14, s[4:5], 0x0
	s_load_dwordx2 s[8:9], s[4:5], 0x50
	v_mov_b32_e32 v3, 0
	v_and_b32_e32 v6, 0x3ff, v0
	v_mov_b32_e32 v7, v3
	s_waitcnt lgkmcnt(0)
	v_cmp_gt_i32_e32 vcc, s14, v6
	s_and_saveexec_b64 s[10:11], vcc
	s_cbranch_execz .LBB335_5
; %bb.2:
	s_load_dwordx2 s[6:7], s[4:5], 0x8
	s_load_dwordx2 s[12:13], s[4:5], 0x28
	v_lshlrev_b64 v[0:1], 3, v[2:3]
	s_load_dwordx4 s[0:3], s[4:5], 0x10
	s_waitcnt lgkmcnt(0)
	v_mov_b32_e32 v5, s7
	v_add_co_u32_e32 v4, vcc, s6, v0
	v_addc_co_u32_e32 v5, vcc, v5, v1, vcc
	global_load_dwordx2 v[4:5], v[4:5], off
	v_mov_b32_e32 v7, s13
	v_add_co_u32_e32 v0, vcc, s12, v0
	v_addc_co_u32_e32 v1, vcc, v7, v1, vcc
	global_load_dwordx2 v[10:11], v[0:1], off
	s_load_dwordx4 s[4:7], s[4:5], 0x30
	v_mad_u64_u32 v[0:1], s[16:17], s2, v6, 0
	v_mov_b32_e32 v14, v1
	s_lshl_b64 s[16:17], s[0:1], 1
	s_lshl_b64 s[0:1], s[2:3], 6
	s_waitcnt lgkmcnt(0)
	v_mad_u64_u32 v[12:13], s[18:19], s6, v6, 0
	v_mad_u64_u32 v[14:15], s[2:3], s3, v6, v[14:15]
	v_mov_b32_e32 v16, v13
	v_mov_b32_e32 v1, v14
	v_mad_u64_u32 v[16:17], s[2:3], s7, v6, v[16:17]
	v_lshlrev_b64 v[0:1], 1, v[0:1]
	v_mov_b32_e32 v18, s17
	v_mov_b32_e32 v13, v16
	v_add_co_u32_e32 v0, vcc, s16, v0
	s_lshl_b64 s[18:19], s[4:5], 1
	v_lshlrev_b64 v[12:13], 1, v[12:13]
	v_addc_co_u32_e32 v1, vcc, v1, v18, vcc
	v_mov_b32_e32 v19, s19
	v_add_co_u32_e32 v12, vcc, s18, v12
	v_addc_co_u32_e32 v13, vcc, v13, v19, vcc
	s_lshl_b64 s[4:5], s[6:7], 6
	s_mov_b64 s[12:13], 0
	v_mov_b32_e32 v7, 0
	v_mov_b32_e32 v8, s1
	;; [unrolled: 1-line block ×3, first 2 shown]
	s_waitcnt vmcnt(1)
	v_add_co_u32_e32 v0, vcc, v4, v0
	v_addc_co_u32_e32 v1, vcc, v5, v1, vcc
	s_waitcnt vmcnt(0)
	v_add_co_u32_e32 v4, vcc, v10, v12
	v_addc_co_u32_e32 v5, vcc, v11, v13, vcc
	v_mov_b32_e32 v10, v6
.LBB335_3:                              ; =>This Inner Loop Header: Depth=1
	global_load_ushort v11, v[0:1], off
	global_load_ushort v12, v[4:5], off
	v_add_co_u32_e32 v0, vcc, s0, v0
	v_addc_co_u32_e32 v1, vcc, v1, v8, vcc
	v_add_co_u32_e32 v4, vcc, s4, v4
	v_add_u32_e32 v10, 32, v10
	v_addc_co_u32_e32 v5, vcc, v5, v9, vcc
	v_cmp_le_i32_e32 vcc, s14, v10
	s_or_b64 s[12:13], vcc, s[12:13]
	s_waitcnt vmcnt(0)
	v_fma_mix_f32 v7, v11, v12, v7 op_sel_hi:[1,1,0]
	s_andn2_b64 exec, exec, s[12:13]
	s_cbranch_execnz .LBB335_3
; %bb.4:
	s_or_b64 exec, exec, s[12:13]
.LBB335_5:
	s_or_b64 exec, exec, s[10:11]
	v_mbcnt_lo_u32_b32 v0, -1, 0
	v_mbcnt_hi_u32_b32 v0, -1, v0
	v_and_b32_e32 v1, 63, v0
	v_cmp_gt_u32_e32 vcc, 48, v1
	v_cndmask_b32_e64 v4, 0, 1, vcc
	v_lshlrev_b32_e32 v4, 4, v4
	v_add_lshl_u32 v4, v4, v0, 2
	ds_bpermute_b32 v4, v4, v7
	v_cmp_gt_u32_e32 vcc, 56, v1
	v_cndmask_b32_e64 v5, 0, 1, vcc
	v_lshlrev_b32_e32 v5, 3, v5
	v_add_lshl_u32 v5, v5, v0, 2
	s_waitcnt lgkmcnt(0)
	v_add_f32_e32 v4, v7, v4
	ds_bpermute_b32 v5, v5, v4
	v_cmp_gt_u32_e32 vcc, 60, v1
	v_cndmask_b32_e64 v7, 0, 1, vcc
	v_lshlrev_b32_e32 v7, 2, v7
	v_cmp_gt_u32_e32 vcc, 62, v1
	s_waitcnt lgkmcnt(0)
	v_add_f32_e32 v4, v4, v5
	v_add_lshl_u32 v5, v7, v0, 2
	ds_bpermute_b32 v5, v5, v4
	v_cndmask_b32_e64 v7, 0, 1, vcc
	v_lshlrev_b32_e32 v7, 1, v7
	v_cmp_ne_u32_e32 vcc, 63, v1
	v_addc_co_u32_e32 v1, vcc, 0, v0, vcc
	s_waitcnt lgkmcnt(0)
	v_add_f32_e32 v4, v4, v5
	v_add_lshl_u32 v5, v7, v0, 2
	ds_bpermute_b32 v5, v5, v4
	v_lshlrev_b32_e32 v1, 2, v1
	v_cmp_eq_u32_e32 vcc, 0, v6
	s_waitcnt lgkmcnt(0)
	s_barrier
	v_add_f32_e32 v0, v4, v5
	ds_bpermute_b32 v1, v1, v0
	s_waitcnt lgkmcnt(0)
	s_and_b64 exec, exec, vcc
	s_cbranch_execz .LBB335_7
; %bb.6:
	v_lshlrev_b64 v[2:3], 2, v[2:3]
	v_mov_b32_e32 v4, s9
	v_add_co_u32_e32 v2, vcc, s8, v2
	v_addc_co_u32_e32 v3, vcc, v4, v3, vcc
	v_add_f32_e32 v0, v0, v1
	global_store_dword v[2:3], v0, off
.LBB335_7:
	s_endpgm
	.section	.rodata,"a",@progbits
	.p2align	6, 0x0
	.amdhsa_kernel _ZL28rocblas_dot_batched_4_kernelIlLi32ELi4ELb0EffPKPKDF16_EviT5_lT_lS4_lS5_liPT4_
		.amdhsa_group_segment_fixed_size 0
		.amdhsa_private_segment_fixed_size 0
		.amdhsa_kernarg_size 88
		.amdhsa_user_sgpr_count 6
		.amdhsa_user_sgpr_private_segment_buffer 1
		.amdhsa_user_sgpr_dispatch_ptr 0
		.amdhsa_user_sgpr_queue_ptr 0
		.amdhsa_user_sgpr_kernarg_segment_ptr 1
		.amdhsa_user_sgpr_dispatch_id 0
		.amdhsa_user_sgpr_flat_scratch_init 0
		.amdhsa_user_sgpr_kernarg_preload_length 0
		.amdhsa_user_sgpr_kernarg_preload_offset 0
		.amdhsa_user_sgpr_private_segment_size 0
		.amdhsa_uses_dynamic_stack 0
		.amdhsa_system_sgpr_private_segment_wavefront_offset 0
		.amdhsa_system_sgpr_workgroup_id_x 1
		.amdhsa_system_sgpr_workgroup_id_y 0
		.amdhsa_system_sgpr_workgroup_id_z 0
		.amdhsa_system_sgpr_workgroup_info 0
		.amdhsa_system_vgpr_workitem_id 1
		.amdhsa_next_free_vgpr 20
		.amdhsa_next_free_sgpr 20
		.amdhsa_accum_offset 20
		.amdhsa_reserve_vcc 1
		.amdhsa_reserve_flat_scratch 0
		.amdhsa_float_round_mode_32 0
		.amdhsa_float_round_mode_16_64 0
		.amdhsa_float_denorm_mode_32 3
		.amdhsa_float_denorm_mode_16_64 3
		.amdhsa_dx10_clamp 1
		.amdhsa_ieee_mode 1
		.amdhsa_fp16_overflow 0
		.amdhsa_tg_split 0
		.amdhsa_exception_fp_ieee_invalid_op 0
		.amdhsa_exception_fp_denorm_src 0
		.amdhsa_exception_fp_ieee_div_zero 0
		.amdhsa_exception_fp_ieee_overflow 0
		.amdhsa_exception_fp_ieee_underflow 0
		.amdhsa_exception_fp_ieee_inexact 0
		.amdhsa_exception_int_div_zero 0
	.end_amdhsa_kernel
	.section	.text._ZL28rocblas_dot_batched_4_kernelIlLi32ELi4ELb0EffPKPKDF16_EviT5_lT_lS4_lS5_liPT4_,"axG",@progbits,_ZL28rocblas_dot_batched_4_kernelIlLi32ELi4ELb0EffPKPKDF16_EviT5_lT_lS4_lS5_liPT4_,comdat
.Lfunc_end335:
	.size	_ZL28rocblas_dot_batched_4_kernelIlLi32ELi4ELb0EffPKPKDF16_EviT5_lT_lS4_lS5_liPT4_, .Lfunc_end335-_ZL28rocblas_dot_batched_4_kernelIlLi32ELi4ELb0EffPKPKDF16_EviT5_lT_lS4_lS5_liPT4_
                                        ; -- End function
	.section	.AMDGPU.csdata,"",@progbits
; Kernel info:
; codeLenInByte = 652
; NumSgprs: 24
; NumVgprs: 20
; NumAgprs: 0
; TotalNumVgprs: 20
; ScratchSize: 0
; MemoryBound: 0
; FloatMode: 240
; IeeeMode: 1
; LDSByteSize: 0 bytes/workgroup (compile time only)
; SGPRBlocks: 2
; VGPRBlocks: 2
; NumSGPRsForWavesPerEU: 24
; NumVGPRsForWavesPerEU: 20
; AccumOffset: 20
; Occupancy: 8
; WaveLimiterHint : 0
; COMPUTE_PGM_RSRC2:SCRATCH_EN: 0
; COMPUTE_PGM_RSRC2:USER_SGPR: 6
; COMPUTE_PGM_RSRC2:TRAP_HANDLER: 0
; COMPUTE_PGM_RSRC2:TGID_X_EN: 1
; COMPUTE_PGM_RSRC2:TGID_Y_EN: 0
; COMPUTE_PGM_RSRC2:TGID_Z_EN: 0
; COMPUTE_PGM_RSRC2:TIDIG_COMP_CNT: 1
; COMPUTE_PGM_RSRC3_GFX90A:ACCUM_OFFSET: 4
; COMPUTE_PGM_RSRC3_GFX90A:TG_SPLIT: 0
	.section	.text._ZL28rocblas_dot_batched_4_kernelIlLi64ELi4ELb0EffPKPKDF16_EviT5_lT_lS4_lS5_liPT4_,"axG",@progbits,_ZL28rocblas_dot_batched_4_kernelIlLi64ELi4ELb0EffPKPKDF16_EviT5_lT_lS4_lS5_liPT4_,comdat
	.globl	_ZL28rocblas_dot_batched_4_kernelIlLi64ELi4ELb0EffPKPKDF16_EviT5_lT_lS4_lS5_liPT4_ ; -- Begin function _ZL28rocblas_dot_batched_4_kernelIlLi64ELi4ELb0EffPKPKDF16_EviT5_lT_lS4_lS5_liPT4_
	.p2align	8
	.type	_ZL28rocblas_dot_batched_4_kernelIlLi64ELi4ELb0EffPKPKDF16_EviT5_lT_lS4_lS5_liPT4_,@function
_ZL28rocblas_dot_batched_4_kernelIlLi64ELi4ELb0EffPKPKDF16_EviT5_lT_lS4_lS5_liPT4_: ; @_ZL28rocblas_dot_batched_4_kernelIlLi64ELi4ELb0EffPKPKDF16_EviT5_lT_lS4_lS5_liPT4_
; %bb.0:
	s_load_dword s0, s[4:5], 0x48
	v_bfe_u32 v1, v0, 10, 10
	v_lshl_add_u32 v2, s6, 2, v1
	s_waitcnt lgkmcnt(0)
	v_cmp_gt_u32_e32 vcc, s0, v2
	s_and_saveexec_b64 s[0:1], vcc
	s_cbranch_execz .LBB336_7
; %bb.1:
	s_load_dword s14, s[4:5], 0x0
	s_load_dwordx2 s[8:9], s[4:5], 0x50
	v_mov_b32_e32 v3, 0
	v_and_b32_e32 v6, 0x3ff, v0
	v_mov_b32_e32 v7, v3
	s_waitcnt lgkmcnt(0)
	v_cmp_gt_i32_e32 vcc, s14, v6
	s_and_saveexec_b64 s[10:11], vcc
	s_cbranch_execz .LBB336_5
; %bb.2:
	s_load_dwordx2 s[6:7], s[4:5], 0x8
	s_load_dwordx2 s[12:13], s[4:5], 0x28
	v_lshlrev_b64 v[0:1], 3, v[2:3]
	s_load_dwordx4 s[0:3], s[4:5], 0x10
	s_waitcnt lgkmcnt(0)
	v_mov_b32_e32 v5, s7
	v_add_co_u32_e32 v4, vcc, s6, v0
	v_addc_co_u32_e32 v5, vcc, v5, v1, vcc
	global_load_dwordx2 v[4:5], v[4:5], off
	v_mov_b32_e32 v7, s13
	v_add_co_u32_e32 v0, vcc, s12, v0
	v_addc_co_u32_e32 v1, vcc, v7, v1, vcc
	global_load_dwordx2 v[10:11], v[0:1], off
	s_load_dwordx4 s[4:7], s[4:5], 0x30
	v_mad_u64_u32 v[0:1], s[16:17], s2, v6, 0
	v_mov_b32_e32 v14, v1
	s_lshl_b64 s[16:17], s[0:1], 1
	s_lshl_b64 s[0:1], s[2:3], 7
	s_waitcnt lgkmcnt(0)
	v_mad_u64_u32 v[12:13], s[18:19], s6, v6, 0
	v_mad_u64_u32 v[14:15], s[2:3], s3, v6, v[14:15]
	v_mov_b32_e32 v16, v13
	v_mov_b32_e32 v1, v14
	v_mad_u64_u32 v[16:17], s[2:3], s7, v6, v[16:17]
	v_lshlrev_b64 v[0:1], 1, v[0:1]
	v_mov_b32_e32 v18, s17
	v_mov_b32_e32 v13, v16
	v_add_co_u32_e32 v0, vcc, s16, v0
	s_lshl_b64 s[18:19], s[4:5], 1
	v_lshlrev_b64 v[12:13], 1, v[12:13]
	v_addc_co_u32_e32 v1, vcc, v1, v18, vcc
	v_mov_b32_e32 v19, s19
	v_add_co_u32_e32 v12, vcc, s18, v12
	v_addc_co_u32_e32 v13, vcc, v13, v19, vcc
	s_lshl_b64 s[4:5], s[6:7], 7
	s_mov_b64 s[12:13], 0
	v_mov_b32_e32 v7, 0
	v_mov_b32_e32 v8, s1
	v_mov_b32_e32 v9, s5
	s_waitcnt vmcnt(1)
	v_add_co_u32_e32 v0, vcc, v4, v0
	v_addc_co_u32_e32 v1, vcc, v5, v1, vcc
	s_waitcnt vmcnt(0)
	v_add_co_u32_e32 v4, vcc, v10, v12
	v_addc_co_u32_e32 v5, vcc, v11, v13, vcc
	v_mov_b32_e32 v10, v6
.LBB336_3:                              ; =>This Inner Loop Header: Depth=1
	global_load_ushort v11, v[0:1], off
	global_load_ushort v12, v[4:5], off
	v_add_co_u32_e32 v0, vcc, s0, v0
	v_addc_co_u32_e32 v1, vcc, v1, v8, vcc
	v_add_co_u32_e32 v4, vcc, s4, v4
	v_add_u32_e32 v10, 64, v10
	v_addc_co_u32_e32 v5, vcc, v5, v9, vcc
	v_cmp_le_i32_e32 vcc, s14, v10
	s_or_b64 s[12:13], vcc, s[12:13]
	s_waitcnt vmcnt(0)
	v_fma_mix_f32 v7, v11, v12, v7 op_sel_hi:[1,1,0]
	s_andn2_b64 exec, exec, s[12:13]
	s_cbranch_execnz .LBB336_3
; %bb.4:
	s_or_b64 exec, exec, s[12:13]
.LBB336_5:
	s_or_b64 exec, exec, s[10:11]
	v_mbcnt_lo_u32_b32 v0, -1, 0
	v_mbcnt_hi_u32_b32 v0, -1, v0
	v_and_b32_e32 v1, 63, v0
	v_cmp_gt_u32_e32 vcc, 32, v1
	v_cndmask_b32_e64 v4, 0, 1, vcc
	v_lshlrev_b32_e32 v4, 5, v4
	v_add_lshl_u32 v4, v4, v0, 2
	ds_bpermute_b32 v4, v4, v7
	v_cmp_gt_u32_e32 vcc, 48, v1
	v_cndmask_b32_e64 v5, 0, 1, vcc
	v_lshlrev_b32_e32 v5, 4, v5
	v_add_lshl_u32 v5, v5, v0, 2
	s_waitcnt lgkmcnt(0)
	v_add_f32_e32 v4, v7, v4
	ds_bpermute_b32 v5, v5, v4
	v_cmp_gt_u32_e32 vcc, 56, v1
	v_cndmask_b32_e64 v7, 0, 1, vcc
	v_lshlrev_b32_e32 v7, 3, v7
	v_cmp_gt_u32_e32 vcc, 60, v1
	s_waitcnt lgkmcnt(0)
	v_add_f32_e32 v4, v4, v5
	v_add_lshl_u32 v5, v7, v0, 2
	ds_bpermute_b32 v5, v5, v4
	v_cndmask_b32_e64 v7, 0, 1, vcc
	v_lshlrev_b32_e32 v7, 2, v7
	v_cmp_gt_u32_e32 vcc, 62, v1
	s_waitcnt lgkmcnt(0)
	v_add_f32_e32 v4, v4, v5
	v_add_lshl_u32 v5, v7, v0, 2
	ds_bpermute_b32 v5, v5, v4
	v_cndmask_b32_e64 v7, 0, 1, vcc
	v_lshlrev_b32_e32 v7, 1, v7
	v_cmp_ne_u32_e32 vcc, 63, v1
	v_addc_co_u32_e32 v1, vcc, 0, v0, vcc
	s_waitcnt lgkmcnt(0)
	v_add_f32_e32 v4, v4, v5
	v_add_lshl_u32 v5, v7, v0, 2
	ds_bpermute_b32 v5, v5, v4
	v_lshlrev_b32_e32 v1, 2, v1
	v_cmp_eq_u32_e32 vcc, 0, v6
	s_barrier
	s_waitcnt lgkmcnt(0)
	v_add_f32_e32 v0, v4, v5
	ds_bpermute_b32 v1, v1, v0
	s_and_b64 exec, exec, vcc
	s_cbranch_execz .LBB336_7
; %bb.6:
	v_lshlrev_b64 v[2:3], 2, v[2:3]
	v_mov_b32_e32 v4, s9
	v_add_co_u32_e32 v2, vcc, s8, v2
	v_addc_co_u32_e32 v3, vcc, v4, v3, vcc
	s_waitcnt lgkmcnt(0)
	v_add_f32_e32 v0, v0, v1
	global_store_dword v[2:3], v0, off
.LBB336_7:
	s_endpgm
	.section	.rodata,"a",@progbits
	.p2align	6, 0x0
	.amdhsa_kernel _ZL28rocblas_dot_batched_4_kernelIlLi64ELi4ELb0EffPKPKDF16_EviT5_lT_lS4_lS5_liPT4_
		.amdhsa_group_segment_fixed_size 0
		.amdhsa_private_segment_fixed_size 0
		.amdhsa_kernarg_size 88
		.amdhsa_user_sgpr_count 6
		.amdhsa_user_sgpr_private_segment_buffer 1
		.amdhsa_user_sgpr_dispatch_ptr 0
		.amdhsa_user_sgpr_queue_ptr 0
		.amdhsa_user_sgpr_kernarg_segment_ptr 1
		.amdhsa_user_sgpr_dispatch_id 0
		.amdhsa_user_sgpr_flat_scratch_init 0
		.amdhsa_user_sgpr_kernarg_preload_length 0
		.amdhsa_user_sgpr_kernarg_preload_offset 0
		.amdhsa_user_sgpr_private_segment_size 0
		.amdhsa_uses_dynamic_stack 0
		.amdhsa_system_sgpr_private_segment_wavefront_offset 0
		.amdhsa_system_sgpr_workgroup_id_x 1
		.amdhsa_system_sgpr_workgroup_id_y 0
		.amdhsa_system_sgpr_workgroup_id_z 0
		.amdhsa_system_sgpr_workgroup_info 0
		.amdhsa_system_vgpr_workitem_id 1
		.amdhsa_next_free_vgpr 20
		.amdhsa_next_free_sgpr 20
		.amdhsa_accum_offset 20
		.amdhsa_reserve_vcc 1
		.amdhsa_reserve_flat_scratch 0
		.amdhsa_float_round_mode_32 0
		.amdhsa_float_round_mode_16_64 0
		.amdhsa_float_denorm_mode_32 3
		.amdhsa_float_denorm_mode_16_64 3
		.amdhsa_dx10_clamp 1
		.amdhsa_ieee_mode 1
		.amdhsa_fp16_overflow 0
		.amdhsa_tg_split 0
		.amdhsa_exception_fp_ieee_invalid_op 0
		.amdhsa_exception_fp_denorm_src 0
		.amdhsa_exception_fp_ieee_div_zero 0
		.amdhsa_exception_fp_ieee_overflow 0
		.amdhsa_exception_fp_ieee_underflow 0
		.amdhsa_exception_fp_ieee_inexact 0
		.amdhsa_exception_int_div_zero 0
	.end_amdhsa_kernel
	.section	.text._ZL28rocblas_dot_batched_4_kernelIlLi64ELi4ELb0EffPKPKDF16_EviT5_lT_lS4_lS5_liPT4_,"axG",@progbits,_ZL28rocblas_dot_batched_4_kernelIlLi64ELi4ELb0EffPKPKDF16_EviT5_lT_lS4_lS5_liPT4_,comdat
.Lfunc_end336:
	.size	_ZL28rocblas_dot_batched_4_kernelIlLi64ELi4ELb0EffPKPKDF16_EviT5_lT_lS4_lS5_liPT4_, .Lfunc_end336-_ZL28rocblas_dot_batched_4_kernelIlLi64ELi4ELb0EffPKPKDF16_EviT5_lT_lS4_lS5_liPT4_
                                        ; -- End function
	.section	.AMDGPU.csdata,"",@progbits
; Kernel info:
; codeLenInByte = 692
; NumSgprs: 24
; NumVgprs: 20
; NumAgprs: 0
; TotalNumVgprs: 20
; ScratchSize: 0
; MemoryBound: 0
; FloatMode: 240
; IeeeMode: 1
; LDSByteSize: 0 bytes/workgroup (compile time only)
; SGPRBlocks: 2
; VGPRBlocks: 2
; NumSGPRsForWavesPerEU: 24
; NumVGPRsForWavesPerEU: 20
; AccumOffset: 20
; Occupancy: 8
; WaveLimiterHint : 0
; COMPUTE_PGM_RSRC2:SCRATCH_EN: 0
; COMPUTE_PGM_RSRC2:USER_SGPR: 6
; COMPUTE_PGM_RSRC2:TRAP_HANDLER: 0
; COMPUTE_PGM_RSRC2:TGID_X_EN: 1
; COMPUTE_PGM_RSRC2:TGID_Y_EN: 0
; COMPUTE_PGM_RSRC2:TGID_Z_EN: 0
; COMPUTE_PGM_RSRC2:TIDIG_COMP_CNT: 1
; COMPUTE_PGM_RSRC3_GFX90A:ACCUM_OFFSET: 4
; COMPUTE_PGM_RSRC3_GFX90A:TG_SPLIT: 0
	.section	.text._ZL26rocblas_dot_kernel_inc1by2ILb1ELi1024ELi32ELb0EfPKPKDF16_fEviT4_llS4_lliPT5_PT3_,"axG",@progbits,_ZL26rocblas_dot_kernel_inc1by2ILb1ELi1024ELi32ELb0EfPKPKDF16_fEviT4_llS4_lliPT5_PT3_,comdat
	.globl	_ZL26rocblas_dot_kernel_inc1by2ILb1ELi1024ELi32ELb0EfPKPKDF16_fEviT4_llS4_lliPT5_PT3_ ; -- Begin function _ZL26rocblas_dot_kernel_inc1by2ILb1ELi1024ELi32ELb0EfPKPKDF16_fEviT4_llS4_lliPT5_PT3_
	.p2align	8
	.type	_ZL26rocblas_dot_kernel_inc1by2ILb1ELi1024ELi32ELb0EfPKPKDF16_fEviT4_llS4_lliPT5_PT3_,@function
_ZL26rocblas_dot_kernel_inc1by2ILb1ELi1024ELi32ELb0EfPKPKDF16_fEviT4_llS4_lliPT5_PT3_: ; @_ZL26rocblas_dot_kernel_inc1by2ILb1ELi1024ELi32ELb0EfPKPKDF16_fEviT4_llS4_lliPT5_PT3_
; %bb.0:
	s_load_dword s20, s[4:5], 0x0
	s_load_dwordx4 s[0:3], s[4:5], 0x8
	s_load_dwordx2 s[12:13], s[4:5], 0x48
	s_load_dwordx4 s[8:11], s[4:5], 0x20
	s_mov_b32 s6, s7
	s_mov_b32 s7, 0
	s_lshl_b64 s[14:15], s[6:7], 3
	s_waitcnt lgkmcnt(0)
	s_add_u32 s0, s0, s14
	s_addc_u32 s1, s1, s15
	s_load_dwordx2 s[4:5], s[0:1], 0x0
	s_add_u32 s0, s8, s14
	s_addc_u32 s1, s9, s15
	s_load_dwordx2 s[14:15], s[0:1], 0x0
	v_lshlrev_b32_e32 v6, 1, v0
	s_add_i32 s8, s20, -1
	v_cmp_gt_i32_e32 vcc, s8, v6
	v_mov_b32_e32 v1, 0
	s_and_saveexec_b64 s[16:17], vcc
	s_cbranch_execz .LBB337_4
; %bb.1:
	s_lshl_b64 s[0:1], s[10:11], 1
	s_waitcnt lgkmcnt(0)
	s_add_u32 s0, s14, s0
	v_lshlrev_b32_e32 v4, 2, v0
	s_addc_u32 s1, s15, s1
	v_mov_b32_e32 v3, s1
	v_add_co_u32_e32 v2, vcc, s0, v4
	s_lshl_b64 s[0:1], s[2:3], 1
	s_add_u32 s0, s4, s0
	v_addc_co_u32_e32 v3, vcc, 0, v3, vcc
	s_addc_u32 s1, s5, s1
	v_mov_b32_e32 v5, s1
	v_add_co_u32_e32 v4, vcc, s0, v4
	v_mov_b32_e32 v1, 0
	v_addc_co_u32_e32 v5, vcc, 0, v5, vcc
	s_mov_b64 s[18:19], 0
	s_mov_b32 s9, s7
.LBB337_2:                              ; =>This Inner Loop Header: Depth=1
	global_load_dword v7, v[2:3], off
	global_load_dword v10, v[4:5], off
	s_add_i32 s21, s9, 1
	v_add_u32_e32 v6, 0x800, v6
	s_cmp_gt_u32 s9, 30
	v_add_co_u32_e32 v2, vcc, 0x1000, v2
	v_cmp_le_i32_e64 s[0:1], s8, v6
	s_cselect_b64 s[22:23], -1, 0
	v_addc_co_u32_e32 v3, vcc, 0, v3, vcc
	s_or_b64 s[0:1], s[22:23], s[0:1]
	v_add_co_u32_e32 v4, vcc, 0x1000, v4
	s_and_b64 s[0:1], exec, s[0:1]
	s_mov_b32 s9, s21
	v_addc_co_u32_e32 v5, vcc, 0, v5, vcc
	s_or_b64 s[18:19], s[0:1], s[18:19]
	s_waitcnt vmcnt(1)
	v_cvt_f32_f16_sdwa v9, v7 dst_sel:DWORD dst_unused:UNUSED_PAD src0_sel:WORD_1
	v_cvt_f32_f16_e32 v8, v7
	s_waitcnt vmcnt(0)
	v_cvt_f32_f16_sdwa v11, v10 dst_sel:DWORD dst_unused:UNUSED_PAD src0_sel:WORD_1
	v_cvt_f32_f16_e32 v10, v10
	v_pk_mul_f32 v[8:9], v[8:9], v[10:11]
	v_add_f32_e32 v1, v1, v8
	v_add_f32_e32 v1, v1, v9
	s_andn2_b64 exec, exec, s[18:19]
	s_cbranch_execnz .LBB337_2
; %bb.3:
	s_or_b64 exec, exec, s[18:19]
.LBB337_4:
	s_or_b64 exec, exec, s[16:17]
	s_bitcmp1_b32 s20, 0
	s_cselect_b64 s[0:1], -1, 0
	v_cmp_eq_u32_e32 vcc, s8, v6
	s_and_b64 s[16:17], s[0:1], vcc
	s_and_saveexec_b64 s[0:1], s[16:17]
	s_cbranch_execz .LBB337_6
; %bb.5:
	s_lshl_b64 s[2:3], s[2:3], 1
	s_waitcnt lgkmcnt(0)
	s_add_u32 s16, s4, s2
	s_addc_u32 s17, s5, s3
	s_lshl_b64 s[2:3], s[10:11], 1
	s_add_u32 s4, s14, s2
	s_mov_b32 s9, 0
	s_addc_u32 s5, s15, s3
	s_lshl_b64 s[2:3], s[8:9], 1
	s_add_u32 s4, s4, s2
	s_addc_u32 s5, s5, s3
	v_mov_b32_e32 v2, 0
	s_add_u32 s2, s16, s2
	s_addc_u32 s3, s17, s3
	global_load_ushort v3, v2, s[4:5]
	global_load_ushort v4, v2, s[2:3]
	s_waitcnt vmcnt(0)
	v_fma_mix_f32 v1, v3, v4, v1 op_sel_hi:[1,1,0]
.LBB337_6:
	s_or_b64 exec, exec, s[0:1]
	v_and_b32_e32 v3, 63, v0
	v_cmp_gt_u32_e32 vcc, 64, v0
	v_lshlrev_b32_e32 v2, 2, v3
	s_and_saveexec_b64 s[0:1], vcc
	s_cbranch_execz .LBB337_8
; %bb.7:
	v_mov_b32_e32 v4, 0
	ds_write_b32 v2, v4
.LBB337_8:
	s_or_b64 exec, exec, s[0:1]
	v_mbcnt_lo_u32_b32 v4, -1, 0
	v_mbcnt_hi_u32_b32 v6, -1, v4
	v_and_b32_e32 v7, 63, v6
	v_cmp_gt_u32_e64 s[0:1], 32, v7
	v_cndmask_b32_e64 v4, 0, 1, s[0:1]
	v_lshlrev_b32_e32 v4, 5, v4
	v_add_lshl_u32 v4, v4, v6, 2
	ds_bpermute_b32 v4, v4, v1
	v_cmp_gt_u32_e64 s[0:1], 48, v7
	v_cndmask_b32_e64 v5, 0, 1, s[0:1]
	v_lshlrev_b32_e32 v5, 4, v5
	v_cmp_gt_u32_e64 s[0:1], 56, v7
	s_waitcnt lgkmcnt(0)
	v_add_f32_e32 v1, v1, v4
	v_add_lshl_u32 v4, v5, v6, 2
	ds_bpermute_b32 v4, v4, v1
	v_cndmask_b32_e64 v5, 0, 1, s[0:1]
	v_lshlrev_b32_e32 v5, 3, v5
	v_cmp_gt_u32_e64 s[0:1], 60, v7
	v_cndmask_b32_e64 v8, 0, 1, s[0:1]
	s_waitcnt lgkmcnt(0)
	v_add_f32_e32 v4, v1, v4
	v_add_lshl_u32 v1, v5, v6, 2
	ds_bpermute_b32 v5, v1, v4
	v_lshlrev_b32_e32 v8, 2, v8
	v_cmp_gt_u32_e64 s[0:1], 62, v7
	v_cndmask_b32_e64 v9, 0, 1, s[0:1]
	v_lshlrev_b32_e32 v9, 1, v9
	s_waitcnt lgkmcnt(0)
	v_add_f32_e32 v5, v4, v5
	v_add_lshl_u32 v4, v8, v6, 2
	ds_bpermute_b32 v8, v4, v5
	v_cmp_ne_u32_e64 s[0:1], 63, v7
	s_waitcnt lgkmcnt(0)
	s_barrier
	v_add_f32_e32 v8, v5, v8
	v_add_lshl_u32 v5, v9, v6, 2
	ds_bpermute_b32 v9, v5, v8
	v_addc_co_u32_e64 v6, s[0:1], 0, v6, s[0:1]
	v_lshlrev_b32_e32 v6, 2, v6
	v_cmp_eq_u32_e64 s[0:1], 0, v3
	s_waitcnt lgkmcnt(0)
	v_add_f32_e32 v7, v8, v9
	ds_bpermute_b32 v8, v6, v7
	s_and_saveexec_b64 s[2:3], s[0:1]
	s_cbranch_execz .LBB337_10
; %bb.9:
	s_waitcnt lgkmcnt(0)
	v_add_f32_e32 v3, v7, v8
	v_lshrrev_b32_e32 v7, 4, v0
	v_and_b32_e32 v7, 60, v7
	ds_write_b32 v7, v3
.LBB337_10:
	s_or_b64 exec, exec, s[2:3]
	v_cmp_gt_u32_e64 s[0:1], 16, v0
	v_mov_b32_e32 v3, 0
	s_waitcnt lgkmcnt(0)
	s_barrier
	s_and_saveexec_b64 s[2:3], s[0:1]
	s_cbranch_execnz .LBB337_14
; %bb.11:
	s_or_b64 exec, exec, s[2:3]
	s_and_saveexec_b64 s[0:1], vcc
	s_cbranch_execnz .LBB337_15
.LBB337_12:
	s_or_b64 exec, exec, s[0:1]
	v_cmp_eq_u32_e32 vcc, 0, v0
	s_and_saveexec_b64 s[0:1], vcc
	s_cbranch_execnz .LBB337_16
.LBB337_13:
	s_endpgm
.LBB337_14:
	ds_read_b32 v3, v2
	s_or_b64 exec, exec, s[2:3]
	s_and_saveexec_b64 s[0:1], vcc
	s_cbranch_execz .LBB337_12
.LBB337_15:
	s_waitcnt lgkmcnt(0)
	ds_bpermute_b32 v1, v1, v3
	s_waitcnt lgkmcnt(0)
	v_add_f32_e32 v1, v3, v1
	ds_bpermute_b32 v2, v4, v1
	s_waitcnt lgkmcnt(0)
	v_add_f32_e32 v1, v1, v2
	ds_bpermute_b32 v2, v5, v1
	s_waitcnt lgkmcnt(0)
	v_add_f32_e32 v1, v1, v2
	ds_bpermute_b32 v2, v6, v1
	s_waitcnt lgkmcnt(0)
	v_add_f32_e32 v3, v1, v2
	s_or_b64 exec, exec, s[0:1]
	v_cmp_eq_u32_e32 vcc, 0, v0
	s_and_saveexec_b64 s[0:1], vcc
	s_cbranch_execz .LBB337_13
.LBB337_16:
	s_lshl_b64 s[0:1], s[6:7], 2
	s_add_u32 s0, s12, s0
	s_addc_u32 s1, s13, s1
	v_mov_b32_e32 v0, 0
	s_waitcnt lgkmcnt(0)
	global_store_dword v0, v3, s[0:1]
	s_endpgm
	.section	.rodata,"a",@progbits
	.p2align	6, 0x0
	.amdhsa_kernel _ZL26rocblas_dot_kernel_inc1by2ILb1ELi1024ELi32ELb0EfPKPKDF16_fEviT4_llS4_lliPT5_PT3_
		.amdhsa_group_segment_fixed_size 256
		.amdhsa_private_segment_fixed_size 0
		.amdhsa_kernarg_size 80
		.amdhsa_user_sgpr_count 6
		.amdhsa_user_sgpr_private_segment_buffer 1
		.amdhsa_user_sgpr_dispatch_ptr 0
		.amdhsa_user_sgpr_queue_ptr 0
		.amdhsa_user_sgpr_kernarg_segment_ptr 1
		.amdhsa_user_sgpr_dispatch_id 0
		.amdhsa_user_sgpr_flat_scratch_init 0
		.amdhsa_user_sgpr_kernarg_preload_length 0
		.amdhsa_user_sgpr_kernarg_preload_offset 0
		.amdhsa_user_sgpr_private_segment_size 0
		.amdhsa_uses_dynamic_stack 0
		.amdhsa_system_sgpr_private_segment_wavefront_offset 0
		.amdhsa_system_sgpr_workgroup_id_x 1
		.amdhsa_system_sgpr_workgroup_id_y 0
		.amdhsa_system_sgpr_workgroup_id_z 1
		.amdhsa_system_sgpr_workgroup_info 0
		.amdhsa_system_vgpr_workitem_id 0
		.amdhsa_next_free_vgpr 12
		.amdhsa_next_free_sgpr 24
		.amdhsa_accum_offset 12
		.amdhsa_reserve_vcc 1
		.amdhsa_reserve_flat_scratch 0
		.amdhsa_float_round_mode_32 0
		.amdhsa_float_round_mode_16_64 0
		.amdhsa_float_denorm_mode_32 3
		.amdhsa_float_denorm_mode_16_64 3
		.amdhsa_dx10_clamp 1
		.amdhsa_ieee_mode 1
		.amdhsa_fp16_overflow 0
		.amdhsa_tg_split 0
		.amdhsa_exception_fp_ieee_invalid_op 0
		.amdhsa_exception_fp_denorm_src 0
		.amdhsa_exception_fp_ieee_div_zero 0
		.amdhsa_exception_fp_ieee_overflow 0
		.amdhsa_exception_fp_ieee_underflow 0
		.amdhsa_exception_fp_ieee_inexact 0
		.amdhsa_exception_int_div_zero 0
	.end_amdhsa_kernel
	.section	.text._ZL26rocblas_dot_kernel_inc1by2ILb1ELi1024ELi32ELb0EfPKPKDF16_fEviT4_llS4_lliPT5_PT3_,"axG",@progbits,_ZL26rocblas_dot_kernel_inc1by2ILb1ELi1024ELi32ELb0EfPKPKDF16_fEviT4_llS4_lliPT5_PT3_,comdat
.Lfunc_end337:
	.size	_ZL26rocblas_dot_kernel_inc1by2ILb1ELi1024ELi32ELb0EfPKPKDF16_fEviT4_llS4_lliPT5_PT3_, .Lfunc_end337-_ZL26rocblas_dot_kernel_inc1by2ILb1ELi1024ELi32ELb0EfPKPKDF16_fEviT4_llS4_lliPT5_PT3_
                                        ; -- End function
	.section	.AMDGPU.csdata,"",@progbits
; Kernel info:
; codeLenInByte = 980
; NumSgprs: 28
; NumVgprs: 12
; NumAgprs: 0
; TotalNumVgprs: 12
; ScratchSize: 0
; MemoryBound: 0
; FloatMode: 240
; IeeeMode: 1
; LDSByteSize: 256 bytes/workgroup (compile time only)
; SGPRBlocks: 3
; VGPRBlocks: 1
; NumSGPRsForWavesPerEU: 28
; NumVGPRsForWavesPerEU: 12
; AccumOffset: 12
; Occupancy: 8
; WaveLimiterHint : 1
; COMPUTE_PGM_RSRC2:SCRATCH_EN: 0
; COMPUTE_PGM_RSRC2:USER_SGPR: 6
; COMPUTE_PGM_RSRC2:TRAP_HANDLER: 0
; COMPUTE_PGM_RSRC2:TGID_X_EN: 1
; COMPUTE_PGM_RSRC2:TGID_Y_EN: 0
; COMPUTE_PGM_RSRC2:TGID_Z_EN: 1
; COMPUTE_PGM_RSRC2:TIDIG_COMP_CNT: 0
; COMPUTE_PGM_RSRC3_GFX90A:ACCUM_OFFSET: 2
; COMPUTE_PGM_RSRC3_GFX90A:TG_SPLIT: 0
	.section	.text._ZL18rocblas_dot_kernelIlLb1ELi1024ELi32ELb0EfPKPKDF16_fEviT5_lT_lS4_lS5_liPT6_PT4_,"axG",@progbits,_ZL18rocblas_dot_kernelIlLb1ELi1024ELi32ELb0EfPKPKDF16_fEviT5_lT_lS4_lS5_liPT6_PT4_,comdat
	.globl	_ZL18rocblas_dot_kernelIlLb1ELi1024ELi32ELb0EfPKPKDF16_fEviT5_lT_lS4_lS5_liPT6_PT4_ ; -- Begin function _ZL18rocblas_dot_kernelIlLb1ELi1024ELi32ELb0EfPKPKDF16_fEviT5_lT_lS4_lS5_liPT6_PT4_
	.p2align	8
	.type	_ZL18rocblas_dot_kernelIlLb1ELi1024ELi32ELb0EfPKPKDF16_fEviT5_lT_lS4_lS5_liPT6_PT4_,@function
_ZL18rocblas_dot_kernelIlLb1ELi1024ELi32ELb0EfPKPKDF16_fEviT5_lT_lS4_lS5_liPT6_PT4_: ; @_ZL18rocblas_dot_kernelIlLb1ELi1024ELi32ELb0EfPKPKDF16_fEviT5_lT_lS4_lS5_liPT6_PT4_
; %bb.0:
	s_load_dword s16, s[4:5], 0x0
	s_load_dwordx2 s[12:13], s[4:5], 0x58
	s_mov_b32 s6, s7
	s_mov_b32 s7, 0
	v_mov_b32_e32 v6, 0
	s_waitcnt lgkmcnt(0)
	v_cmp_gt_i32_e32 vcc, s16, v0
	s_and_saveexec_b64 s[14:15], vcc
	s_cbranch_execz .LBB338_4
; %bb.1:
	s_load_dwordx2 s[18:19], s[4:5], 0x8
	s_load_dwordx4 s[8:11], s[4:5], 0x10
	s_load_dwordx2 s[20:21], s[4:5], 0x28
	s_load_dwordx4 s[0:3], s[4:5], 0x30
	s_lshl_b64 s[22:23], s[6:7], 3
	s_waitcnt lgkmcnt(0)
	s_add_u32 s18, s18, s22
	s_addc_u32 s19, s19, s23
	s_load_dword s17, s[4:5], 0x60
	s_load_dwordx2 s[24:25], s[18:19], 0x0
	s_add_u32 s4, s20, s22
	s_addc_u32 s5, s21, s23
	s_load_dwordx2 s[18:19], s[4:5], 0x0
	v_mad_u64_u32 v[2:3], s[4:5], s10, v0, 0
	v_mov_b32_e32 v4, v3
	v_mad_u64_u32 v[4:5], s[4:5], s11, v0, v[4:5]
	s_waitcnt lgkmcnt(0)
	s_lshl_b32 s17, s17, 10
	s_lshl_b64 s[4:5], s[8:9], 1
	v_mov_b32_e32 v3, v4
	s_add_u32 s4, s24, s4
	v_lshlrev_b64 v[2:3], 1, v[2:3]
	s_addc_u32 s5, s25, s5
	s_ashr_i32 s20, s17, 31
	v_mov_b32_e32 v4, s5
	v_add_co_u32_e32 v2, vcc, s4, v2
	s_mul_i32 s4, s10, s20
	s_mul_hi_u32 s5, s10, s17
	v_addc_co_u32_e32 v3, vcc, v4, v3, vcc
	s_add_i32 s4, s5, s4
	s_mul_i32 s5, s11, s17
	v_mad_u64_u32 v[4:5], s[8:9], s2, v0, 0
	s_add_i32 s5, s4, s5
	s_mul_i32 s4, s10, s17
	v_mov_b32_e32 v6, v5
	s_lshl_b64 s[4:5], s[4:5], 1
	v_mad_u64_u32 v[6:7], s[8:9], s3, v0, v[6:7]
	s_lshl_b64 s[0:1], s[0:1], 1
	v_mov_b32_e32 v5, v6
	s_add_u32 s0, s18, s0
	v_lshlrev_b64 v[4:5], 1, v[4:5]
	s_addc_u32 s1, s19, s1
	v_mov_b32_e32 v6, s1
	v_add_co_u32_e32 v4, vcc, s0, v4
	s_mul_i32 s0, s2, s20
	s_mul_hi_u32 s1, s2, s17
	s_add_i32 s0, s1, s0
	s_mul_i32 s1, s3, s17
	s_add_i32 s1, s0, s1
	s_mul_i32 s0, s2, s17
	s_lshl_b64 s[8:9], s[0:1], 1
	v_or_b32_e32 v1, s17, v0
	v_addc_co_u32_e32 v5, vcc, v6, v5, vcc
	s_mov_b64 s[2:3], 0
	v_mov_b32_e32 v6, 0
	v_mov_b32_e32 v7, s5
	v_mov_b32_e32 v8, s9
	s_mov_b32 s5, s7
.LBB338_2:                              ; =>This Inner Loop Header: Depth=1
	global_load_ushort v9, v[4:5], off
	global_load_ushort v10, v[2:3], off
	v_add_co_u32_e64 v2, s[0:1], s4, v2
	v_addc_co_u32_e64 v3, s[0:1], v3, v7, s[0:1]
	s_add_i32 s9, s5, 1
	v_add_co_u32_e64 v4, s[0:1], s8, v4
	v_addc_co_u32_e64 v5, s[0:1], v5, v8, s[0:1]
	s_cmp_gt_u32 s5, 30
	v_cmp_le_i32_e32 vcc, s16, v1
	s_cselect_b64 s[0:1], -1, 0
	s_or_b64 s[0:1], s[0:1], vcc
	s_and_b64 s[0:1], exec, s[0:1]
	v_add_u32_e32 v1, s17, v1
	s_mov_b32 s5, s9
	s_or_b64 s[2:3], s[0:1], s[2:3]
	s_waitcnt vmcnt(0)
	v_fma_mix_f32 v6, v9, v10, v6 op_sel_hi:[1,1,0]
	s_andn2_b64 exec, exec, s[2:3]
	s_cbranch_execnz .LBB338_2
; %bb.3:
	s_or_b64 exec, exec, s[2:3]
.LBB338_4:
	s_or_b64 exec, exec, s[14:15]
	v_and_b32_e32 v2, 63, v0
	v_cmp_gt_u32_e32 vcc, 64, v0
	v_lshlrev_b32_e32 v1, 2, v2
	s_and_saveexec_b64 s[0:1], vcc
	s_cbranch_execz .LBB338_6
; %bb.5:
	v_mov_b32_e32 v3, 0
	ds_write_b32 v1, v3
.LBB338_6:
	s_or_b64 exec, exec, s[0:1]
	v_mbcnt_lo_u32_b32 v3, -1, 0
	v_mbcnt_hi_u32_b32 v7, -1, v3
	v_and_b32_e32 v8, 63, v7
	v_cmp_gt_u32_e64 s[0:1], 32, v8
	v_cndmask_b32_e64 v3, 0, 1, s[0:1]
	v_lshlrev_b32_e32 v3, 5, v3
	v_add_lshl_u32 v3, v3, v7, 2
	ds_bpermute_b32 v3, v3, v6
	v_cmp_gt_u32_e64 s[0:1], 48, v8
	v_cndmask_b32_e64 v4, 0, 1, s[0:1]
	v_lshlrev_b32_e32 v4, 4, v4
	v_add_lshl_u32 v4, v4, v7, 2
	s_waitcnt lgkmcnt(0)
	v_add_f32_e32 v3, v6, v3
	ds_bpermute_b32 v4, v4, v3
	v_cmp_gt_u32_e64 s[0:1], 56, v8
	v_cndmask_b32_e64 v5, 0, 1, s[0:1]
	v_lshlrev_b32_e32 v5, 3, v5
	v_cmp_gt_u32_e64 s[0:1], 60, v8
	s_waitcnt lgkmcnt(0)
	v_add_f32_e32 v4, v3, v4
	v_add_lshl_u32 v3, v5, v7, 2
	ds_bpermute_b32 v5, v3, v4
	v_cndmask_b32_e64 v6, 0, 1, s[0:1]
	v_lshlrev_b32_e32 v6, 2, v6
	v_cmp_gt_u32_e64 s[0:1], 62, v8
	v_cndmask_b32_e64 v9, 0, 1, s[0:1]
	s_waitcnt lgkmcnt(0)
	v_add_f32_e32 v5, v4, v5
	v_add_lshl_u32 v4, v6, v7, 2
	ds_bpermute_b32 v6, v4, v5
	v_lshlrev_b32_e32 v9, 1, v9
	v_cmp_ne_u32_e64 s[0:1], 63, v8
	v_addc_co_u32_e64 v8, s[0:1], 0, v7, s[0:1]
	s_waitcnt lgkmcnt(0)
	v_add_f32_e32 v6, v5, v6
	v_add_lshl_u32 v5, v9, v7, 2
	ds_bpermute_b32 v9, v5, v6
	v_cmp_eq_u32_e64 s[0:1], 0, v2
	s_waitcnt lgkmcnt(0)
	s_barrier
	v_add_f32_e32 v7, v6, v9
	v_lshlrev_b32_e32 v6, 2, v8
	ds_bpermute_b32 v8, v6, v7
	s_and_saveexec_b64 s[2:3], s[0:1]
	s_cbranch_execz .LBB338_8
; %bb.7:
	s_waitcnt lgkmcnt(0)
	v_add_f32_e32 v2, v7, v8
	v_lshrrev_b32_e32 v7, 4, v0
	v_and_b32_e32 v7, 60, v7
	ds_write_b32 v7, v2
.LBB338_8:
	s_or_b64 exec, exec, s[2:3]
	v_cmp_gt_u32_e64 s[0:1], 16, v0
	v_mov_b32_e32 v2, 0
	s_waitcnt lgkmcnt(0)
	s_barrier
	s_and_saveexec_b64 s[2:3], s[0:1]
	s_cbranch_execnz .LBB338_12
; %bb.9:
	s_or_b64 exec, exec, s[2:3]
	s_and_saveexec_b64 s[0:1], vcc
	s_cbranch_execnz .LBB338_13
.LBB338_10:
	s_or_b64 exec, exec, s[0:1]
	v_cmp_eq_u32_e32 vcc, 0, v0
	s_and_saveexec_b64 s[0:1], vcc
	s_cbranch_execnz .LBB338_14
.LBB338_11:
	s_endpgm
.LBB338_12:
	ds_read_b32 v2, v1
	s_or_b64 exec, exec, s[2:3]
	s_and_saveexec_b64 s[0:1], vcc
	s_cbranch_execz .LBB338_10
.LBB338_13:
	s_waitcnt lgkmcnt(0)
	ds_bpermute_b32 v1, v3, v2
	s_waitcnt lgkmcnt(0)
	v_add_f32_e32 v1, v2, v1
	ds_bpermute_b32 v2, v4, v1
	s_waitcnt lgkmcnt(0)
	v_add_f32_e32 v1, v1, v2
	;; [unrolled: 3-line block ×4, first 2 shown]
	s_or_b64 exec, exec, s[0:1]
	v_cmp_eq_u32_e32 vcc, 0, v0
	s_and_saveexec_b64 s[0:1], vcc
	s_cbranch_execz .LBB338_11
.LBB338_14:
	s_lshl_b64 s[0:1], s[6:7], 2
	s_add_u32 s0, s12, s0
	s_addc_u32 s1, s13, s1
	v_mov_b32_e32 v0, 0
	s_waitcnt lgkmcnt(0)
	global_store_dword v0, v2, s[0:1]
	s_endpgm
	.section	.rodata,"a",@progbits
	.p2align	6, 0x0
	.amdhsa_kernel _ZL18rocblas_dot_kernelIlLb1ELi1024ELi32ELb0EfPKPKDF16_fEviT5_lT_lS4_lS5_liPT6_PT4_
		.amdhsa_group_segment_fixed_size 256
		.amdhsa_private_segment_fixed_size 0
		.amdhsa_kernarg_size 352
		.amdhsa_user_sgpr_count 6
		.amdhsa_user_sgpr_private_segment_buffer 1
		.amdhsa_user_sgpr_dispatch_ptr 0
		.amdhsa_user_sgpr_queue_ptr 0
		.amdhsa_user_sgpr_kernarg_segment_ptr 1
		.amdhsa_user_sgpr_dispatch_id 0
		.amdhsa_user_sgpr_flat_scratch_init 0
		.amdhsa_user_sgpr_kernarg_preload_length 0
		.amdhsa_user_sgpr_kernarg_preload_offset 0
		.amdhsa_user_sgpr_private_segment_size 0
		.amdhsa_uses_dynamic_stack 0
		.amdhsa_system_sgpr_private_segment_wavefront_offset 0
		.amdhsa_system_sgpr_workgroup_id_x 1
		.amdhsa_system_sgpr_workgroup_id_y 0
		.amdhsa_system_sgpr_workgroup_id_z 1
		.amdhsa_system_sgpr_workgroup_info 0
		.amdhsa_system_vgpr_workitem_id 0
		.amdhsa_next_free_vgpr 11
		.amdhsa_next_free_sgpr 26
		.amdhsa_accum_offset 12
		.amdhsa_reserve_vcc 1
		.amdhsa_reserve_flat_scratch 0
		.amdhsa_float_round_mode_32 0
		.amdhsa_float_round_mode_16_64 0
		.amdhsa_float_denorm_mode_32 3
		.amdhsa_float_denorm_mode_16_64 3
		.amdhsa_dx10_clamp 1
		.amdhsa_ieee_mode 1
		.amdhsa_fp16_overflow 0
		.amdhsa_tg_split 0
		.amdhsa_exception_fp_ieee_invalid_op 0
		.amdhsa_exception_fp_denorm_src 0
		.amdhsa_exception_fp_ieee_div_zero 0
		.amdhsa_exception_fp_ieee_overflow 0
		.amdhsa_exception_fp_ieee_underflow 0
		.amdhsa_exception_fp_ieee_inexact 0
		.amdhsa_exception_int_div_zero 0
	.end_amdhsa_kernel
	.section	.text._ZL18rocblas_dot_kernelIlLb1ELi1024ELi32ELb0EfPKPKDF16_fEviT5_lT_lS4_lS5_liPT6_PT4_,"axG",@progbits,_ZL18rocblas_dot_kernelIlLb1ELi1024ELi32ELb0EfPKPKDF16_fEviT5_lT_lS4_lS5_liPT6_PT4_,comdat
.Lfunc_end338:
	.size	_ZL18rocblas_dot_kernelIlLb1ELi1024ELi32ELb0EfPKPKDF16_fEviT5_lT_lS4_lS5_liPT6_PT4_, .Lfunc_end338-_ZL18rocblas_dot_kernelIlLb1ELi1024ELi32ELb0EfPKPKDF16_fEviT5_lT_lS4_lS5_liPT6_PT4_
                                        ; -- End function
	.section	.AMDGPU.csdata,"",@progbits
; Kernel info:
; codeLenInByte = 988
; NumSgprs: 30
; NumVgprs: 11
; NumAgprs: 0
; TotalNumVgprs: 11
; ScratchSize: 0
; MemoryBound: 0
; FloatMode: 240
; IeeeMode: 1
; LDSByteSize: 256 bytes/workgroup (compile time only)
; SGPRBlocks: 3
; VGPRBlocks: 1
; NumSGPRsForWavesPerEU: 30
; NumVGPRsForWavesPerEU: 11
; AccumOffset: 12
; Occupancy: 8
; WaveLimiterHint : 0
; COMPUTE_PGM_RSRC2:SCRATCH_EN: 0
; COMPUTE_PGM_RSRC2:USER_SGPR: 6
; COMPUTE_PGM_RSRC2:TRAP_HANDLER: 0
; COMPUTE_PGM_RSRC2:TGID_X_EN: 1
; COMPUTE_PGM_RSRC2:TGID_Y_EN: 0
; COMPUTE_PGM_RSRC2:TGID_Z_EN: 1
; COMPUTE_PGM_RSRC2:TIDIG_COMP_CNT: 0
; COMPUTE_PGM_RSRC3_GFX90A:ACCUM_OFFSET: 2
; COMPUTE_PGM_RSRC3_GFX90A:TG_SPLIT: 0
	.section	.text._ZL24rocblas_dot_kernel_magsqIlLb1ELi1024ELi32ELb0EfPKPKDF16_fEviT5_lT_liPT6_PT4_,"axG",@progbits,_ZL24rocblas_dot_kernel_magsqIlLb1ELi1024ELi32ELb0EfPKPKDF16_fEviT5_lT_liPT6_PT4_,comdat
	.globl	_ZL24rocblas_dot_kernel_magsqIlLb1ELi1024ELi32ELb0EfPKPKDF16_fEviT5_lT_liPT6_PT4_ ; -- Begin function _ZL24rocblas_dot_kernel_magsqIlLb1ELi1024ELi32ELb0EfPKPKDF16_fEviT5_lT_liPT6_PT4_
	.p2align	8
	.type	_ZL24rocblas_dot_kernel_magsqIlLb1ELi1024ELi32ELb0EfPKPKDF16_fEviT5_lT_liPT6_PT4_,@function
_ZL24rocblas_dot_kernel_magsqIlLb1ELi1024ELi32ELb0EfPKPKDF16_fEviT5_lT_liPT6_PT4_: ; @_ZL24rocblas_dot_kernel_magsqIlLb1ELi1024ELi32ELb0EfPKPKDF16_fEviT5_lT_liPT6_PT4_
; %bb.0:
	s_mov_b32 s2, s7
	s_load_dword s12, s[4:5], 0x0
	s_load_dwordx2 s[6:7], s[4:5], 0x38
	s_mov_b32 s3, 0
	v_mov_b32_e32 v1, 0
	s_waitcnt lgkmcnt(0)
	v_cmp_gt_i32_e32 vcc, s12, v0
	s_and_saveexec_b64 s[8:9], vcc
	s_cbranch_execz .LBB339_4
; %bb.1:
	s_load_dwordx2 s[0:1], s[4:5], 0x8
	s_load_dword s10, s[4:5], 0x40
	s_load_dwordx4 s[16:19], s[4:5], 0x10
	s_lshl_b64 s[4:5], s[2:3], 3
	s_waitcnt lgkmcnt(0)
	s_add_u32 s0, s0, s4
	s_addc_u32 s1, s1, s5
	s_load_dwordx2 s[0:1], s[0:1], 0x0
	v_mad_u64_u32 v[2:3], s[4:5], s18, v0, 0
	v_mov_b32_e32 v6, v3
	v_mad_u64_u32 v[6:7], s[4:5], s19, v0, v[6:7]
	s_lshl_b32 s13, s10, 10
	v_mov_b32_e32 v3, v6
	s_lshl_b64 s[4:5], s[16:17], 1
	v_lshlrev_b64 v[2:3], 1, v[2:3]
	s_waitcnt lgkmcnt(0)
	s_add_u32 s0, s0, s4
	s_addc_u32 s1, s1, s5
	v_add_co_u32_e32 v2, vcc, s0, v2
	s_ashr_i32 s0, s13, 31
	v_mov_b32_e32 v1, s1
	s_mul_i32 s0, s18, s0
	s_mul_hi_u32 s1, s18, s13
	s_add_i32 s0, s1, s0
	s_mul_i32 s1, s19, s13
	s_add_i32 s1, s0, s1
	s_mul_i32 s0, s18, s13
	s_lshl_b64 s[10:11], s[0:1], 1
	v_or_b32_e32 v4, s13, v0
	v_addc_co_u32_e32 v3, vcc, v1, v3, vcc
	s_mov_b64 s[4:5], 0
	v_mov_b32_e32 v1, 0
	v_mov_b32_e32 v5, s11
	s_mov_b32 s11, s3
.LBB339_2:                              ; =>This Inner Loop Header: Depth=1
	global_load_ushort v6, v[2:3], off
	s_add_i32 s14, s11, 1
	v_add_co_u32_e64 v2, s[0:1], s10, v2
	v_addc_co_u32_e64 v3, s[0:1], v3, v5, s[0:1]
	s_cmp_gt_u32 s11, 30
	v_cmp_le_i32_e32 vcc, s12, v4
	s_cselect_b64 s[0:1], -1, 0
	s_or_b64 s[0:1], s[0:1], vcc
	s_and_b64 s[0:1], exec, s[0:1]
	v_add_u32_e32 v4, s13, v4
	s_mov_b32 s11, s14
	s_or_b64 s[4:5], s[0:1], s[4:5]
	s_waitcnt vmcnt(0)
	v_fma_mix_f32 v1, v6, v6, v1 op_sel_hi:[1,1,0]
	s_andn2_b64 exec, exec, s[4:5]
	s_cbranch_execnz .LBB339_2
; %bb.3:
	s_or_b64 exec, exec, s[4:5]
.LBB339_4:
	s_or_b64 exec, exec, s[8:9]
	v_and_b32_e32 v3, 63, v0
	v_cmp_gt_u32_e32 vcc, 64, v0
	v_lshlrev_b32_e32 v2, 2, v3
	s_and_saveexec_b64 s[0:1], vcc
	s_cbranch_execz .LBB339_6
; %bb.5:
	v_mov_b32_e32 v4, 0
	ds_write_b32 v2, v4
.LBB339_6:
	s_or_b64 exec, exec, s[0:1]
	v_mbcnt_lo_u32_b32 v4, -1, 0
	v_mbcnt_hi_u32_b32 v6, -1, v4
	v_and_b32_e32 v7, 63, v6
	v_cmp_gt_u32_e64 s[0:1], 32, v7
	v_cndmask_b32_e64 v4, 0, 1, s[0:1]
	v_lshlrev_b32_e32 v4, 5, v4
	v_add_lshl_u32 v4, v4, v6, 2
	ds_bpermute_b32 v4, v4, v1
	v_cmp_gt_u32_e64 s[0:1], 48, v7
	v_cndmask_b32_e64 v5, 0, 1, s[0:1]
	v_lshlrev_b32_e32 v5, 4, v5
	v_cmp_gt_u32_e64 s[0:1], 56, v7
	s_waitcnt lgkmcnt(0)
	v_add_f32_e32 v1, v1, v4
	v_add_lshl_u32 v4, v5, v6, 2
	ds_bpermute_b32 v4, v4, v1
	v_cndmask_b32_e64 v5, 0, 1, s[0:1]
	v_lshlrev_b32_e32 v5, 3, v5
	v_cmp_gt_u32_e64 s[0:1], 60, v7
	v_cndmask_b32_e64 v8, 0, 1, s[0:1]
	s_waitcnt lgkmcnt(0)
	v_add_f32_e32 v4, v1, v4
	v_add_lshl_u32 v1, v5, v6, 2
	ds_bpermute_b32 v5, v1, v4
	v_lshlrev_b32_e32 v8, 2, v8
	v_cmp_gt_u32_e64 s[0:1], 62, v7
	v_cndmask_b32_e64 v9, 0, 1, s[0:1]
	v_lshlrev_b32_e32 v9, 1, v9
	s_waitcnt lgkmcnt(0)
	v_add_f32_e32 v5, v4, v5
	v_add_lshl_u32 v4, v8, v6, 2
	ds_bpermute_b32 v8, v4, v5
	v_cmp_ne_u32_e64 s[0:1], 63, v7
	s_waitcnt lgkmcnt(0)
	s_barrier
	v_add_f32_e32 v8, v5, v8
	v_add_lshl_u32 v5, v9, v6, 2
	ds_bpermute_b32 v9, v5, v8
	v_addc_co_u32_e64 v6, s[0:1], 0, v6, s[0:1]
	v_lshlrev_b32_e32 v6, 2, v6
	v_cmp_eq_u32_e64 s[0:1], 0, v3
	s_waitcnt lgkmcnt(0)
	v_add_f32_e32 v7, v8, v9
	ds_bpermute_b32 v8, v6, v7
	s_and_saveexec_b64 s[4:5], s[0:1]
	s_cbranch_execz .LBB339_8
; %bb.7:
	s_waitcnt lgkmcnt(0)
	v_add_f32_e32 v3, v7, v8
	v_lshrrev_b32_e32 v7, 4, v0
	v_and_b32_e32 v7, 60, v7
	ds_write_b32 v7, v3
.LBB339_8:
	s_or_b64 exec, exec, s[4:5]
	v_cmp_gt_u32_e64 s[0:1], 16, v0
	v_mov_b32_e32 v3, 0
	s_waitcnt lgkmcnt(0)
	s_barrier
	s_and_saveexec_b64 s[4:5], s[0:1]
	s_cbranch_execnz .LBB339_12
; %bb.9:
	s_or_b64 exec, exec, s[4:5]
	s_and_saveexec_b64 s[0:1], vcc
	s_cbranch_execnz .LBB339_13
.LBB339_10:
	s_or_b64 exec, exec, s[0:1]
	v_cmp_eq_u32_e32 vcc, 0, v0
	s_and_saveexec_b64 s[0:1], vcc
	s_cbranch_execnz .LBB339_14
.LBB339_11:
	s_endpgm
.LBB339_12:
	ds_read_b32 v3, v2
	s_or_b64 exec, exec, s[4:5]
	s_and_saveexec_b64 s[0:1], vcc
	s_cbranch_execz .LBB339_10
.LBB339_13:
	s_waitcnt lgkmcnt(0)
	ds_bpermute_b32 v1, v1, v3
	s_waitcnt lgkmcnt(0)
	v_add_f32_e32 v1, v3, v1
	ds_bpermute_b32 v2, v4, v1
	s_waitcnt lgkmcnt(0)
	v_add_f32_e32 v1, v1, v2
	;; [unrolled: 3-line block ×4, first 2 shown]
	s_or_b64 exec, exec, s[0:1]
	v_cmp_eq_u32_e32 vcc, 0, v0
	s_and_saveexec_b64 s[0:1], vcc
	s_cbranch_execz .LBB339_11
.LBB339_14:
	s_lshl_b64 s[0:1], s[2:3], 2
	s_add_u32 s0, s6, s0
	s_addc_u32 s1, s7, s1
	v_mov_b32_e32 v0, 0
	s_waitcnt lgkmcnt(0)
	global_store_dword v0, v3, s[0:1]
	s_endpgm
	.section	.rodata,"a",@progbits
	.p2align	6, 0x0
	.amdhsa_kernel _ZL24rocblas_dot_kernel_magsqIlLb1ELi1024ELi32ELb0EfPKPKDF16_fEviT5_lT_liPT6_PT4_
		.amdhsa_group_segment_fixed_size 256
		.amdhsa_private_segment_fixed_size 0
		.amdhsa_kernarg_size 320
		.amdhsa_user_sgpr_count 6
		.amdhsa_user_sgpr_private_segment_buffer 1
		.amdhsa_user_sgpr_dispatch_ptr 0
		.amdhsa_user_sgpr_queue_ptr 0
		.amdhsa_user_sgpr_kernarg_segment_ptr 1
		.amdhsa_user_sgpr_dispatch_id 0
		.amdhsa_user_sgpr_flat_scratch_init 0
		.amdhsa_user_sgpr_kernarg_preload_length 0
		.amdhsa_user_sgpr_kernarg_preload_offset 0
		.amdhsa_user_sgpr_private_segment_size 0
		.amdhsa_uses_dynamic_stack 0
		.amdhsa_system_sgpr_private_segment_wavefront_offset 0
		.amdhsa_system_sgpr_workgroup_id_x 1
		.amdhsa_system_sgpr_workgroup_id_y 0
		.amdhsa_system_sgpr_workgroup_id_z 1
		.amdhsa_system_sgpr_workgroup_info 0
		.amdhsa_system_vgpr_workitem_id 0
		.amdhsa_next_free_vgpr 10
		.amdhsa_next_free_sgpr 20
		.amdhsa_accum_offset 12
		.amdhsa_reserve_vcc 1
		.amdhsa_reserve_flat_scratch 0
		.amdhsa_float_round_mode_32 0
		.amdhsa_float_round_mode_16_64 0
		.amdhsa_float_denorm_mode_32 3
		.amdhsa_float_denorm_mode_16_64 3
		.amdhsa_dx10_clamp 1
		.amdhsa_ieee_mode 1
		.amdhsa_fp16_overflow 0
		.amdhsa_tg_split 0
		.amdhsa_exception_fp_ieee_invalid_op 0
		.amdhsa_exception_fp_denorm_src 0
		.amdhsa_exception_fp_ieee_div_zero 0
		.amdhsa_exception_fp_ieee_overflow 0
		.amdhsa_exception_fp_ieee_underflow 0
		.amdhsa_exception_fp_ieee_inexact 0
		.amdhsa_exception_int_div_zero 0
	.end_amdhsa_kernel
	.section	.text._ZL24rocblas_dot_kernel_magsqIlLb1ELi1024ELi32ELb0EfPKPKDF16_fEviT5_lT_liPT6_PT4_,"axG",@progbits,_ZL24rocblas_dot_kernel_magsqIlLb1ELi1024ELi32ELb0EfPKPKDF16_fEviT5_lT_liPT6_PT4_,comdat
.Lfunc_end339:
	.size	_ZL24rocblas_dot_kernel_magsqIlLb1ELi1024ELi32ELb0EfPKPKDF16_fEviT5_lT_liPT6_PT4_, .Lfunc_end339-_ZL24rocblas_dot_kernel_magsqIlLb1ELi1024ELi32ELb0EfPKPKDF16_fEviT5_lT_liPT6_PT4_
                                        ; -- End function
	.section	.AMDGPU.csdata,"",@progbits
; Kernel info:
; codeLenInByte = 844
; NumSgprs: 24
; NumVgprs: 10
; NumAgprs: 0
; TotalNumVgprs: 10
; ScratchSize: 0
; MemoryBound: 0
; FloatMode: 240
; IeeeMode: 1
; LDSByteSize: 256 bytes/workgroup (compile time only)
; SGPRBlocks: 2
; VGPRBlocks: 1
; NumSGPRsForWavesPerEU: 24
; NumVGPRsForWavesPerEU: 10
; AccumOffset: 12
; Occupancy: 8
; WaveLimiterHint : 0
; COMPUTE_PGM_RSRC2:SCRATCH_EN: 0
; COMPUTE_PGM_RSRC2:USER_SGPR: 6
; COMPUTE_PGM_RSRC2:TRAP_HANDLER: 0
; COMPUTE_PGM_RSRC2:TGID_X_EN: 1
; COMPUTE_PGM_RSRC2:TGID_Y_EN: 0
; COMPUTE_PGM_RSRC2:TGID_Z_EN: 1
; COMPUTE_PGM_RSRC2:TIDIG_COMP_CNT: 0
; COMPUTE_PGM_RSRC3_GFX90A:ACCUM_OFFSET: 2
; COMPUTE_PGM_RSRC3_GFX90A:TG_SPLIT: 0
	.section	.text._ZL23rocblas_dot_kernel_inc1ILb0ELi512ELi4ELb0EfPKPKDF16_fEviT4_llS4_lliPT5_PT3_,"axG",@progbits,_ZL23rocblas_dot_kernel_inc1ILb0ELi512ELi4ELb0EfPKPKDF16_fEviT4_llS4_lliPT5_PT3_,comdat
	.globl	_ZL23rocblas_dot_kernel_inc1ILb0ELi512ELi4ELb0EfPKPKDF16_fEviT4_llS4_lliPT5_PT3_ ; -- Begin function _ZL23rocblas_dot_kernel_inc1ILb0ELi512ELi4ELb0EfPKPKDF16_fEviT4_llS4_lliPT5_PT3_
	.p2align	8
	.type	_ZL23rocblas_dot_kernel_inc1ILb0ELi512ELi4ELb0EfPKPKDF16_fEviT4_llS4_lliPT5_PT3_,@function
_ZL23rocblas_dot_kernel_inc1ILb0ELi512ELi4ELb0EfPKPKDF16_fEviT4_llS4_lliPT5_PT3_: ; @_ZL23rocblas_dot_kernel_inc1ILb0ELi512ELi4ELb0EfPKPKDF16_fEviT4_llS4_lliPT5_PT3_
; %bb.0:
	s_mov_b32 s2, s7
	s_load_dword s18, s[4:5], 0x50
	s_load_dword s7, s[4:5], 0x0
	s_load_dwordx4 s[8:11], s[4:5], 0x40
	v_lshl_or_b32 v4, s6, 9, v0
	s_mov_b32 s3, 0
	v_mov_b32_e32 v1, 0
	s_waitcnt lgkmcnt(0)
	v_cmp_gt_i32_e32 vcc, s7, v4
	s_and_saveexec_b64 s[12:13], vcc
	s_cbranch_execz .LBB340_4
; %bb.1:
	s_load_dwordx4 s[20:23], s[4:5], 0x8
	s_load_dwordx4 s[24:27], s[4:5], 0x20
	s_lshl_b64 s[0:1], s[2:3], 3
	v_ashrrev_i32_e32 v5, 31, v4
	v_lshlrev_b64 v[2:3], 1, v[4:5]
	s_waitcnt lgkmcnt(0)
	s_add_u32 s4, s20, s0
	s_addc_u32 s5, s21, s1
	s_load_dwordx2 s[14:15], s[4:5], 0x0
	s_lshl_b64 s[16:17], s[22:23], 1
	s_mov_b64 s[4:5], 0
	v_mov_b32_e32 v1, 0
	s_waitcnt lgkmcnt(0)
	s_add_u32 s19, s14, s16
	s_addc_u32 s14, s15, s17
	s_add_u32 s0, s24, s0
	s_addc_u32 s1, s25, s1
	s_load_dwordx2 s[0:1], s[0:1], 0x0
	v_mov_b32_e32 v5, s14
	s_lshl_b64 s[14:15], s[26:27], 1
	s_waitcnt lgkmcnt(0)
	s_add_u32 s20, s0, s14
	s_addc_u32 s0, s1, s15
	s_lshl_b32 s14, s18, 9
	s_ashr_i32 s15, s14, 31
	s_lshl_b64 s[16:17], s[14:15], 1
	v_add_u32_e32 v4, s14, v4
	v_mov_b32_e32 v6, s0
	v_mov_b32_e32 v7, s17
	s_mov_b32 s15, s3
.LBB340_2:                              ; =>This Inner Loop Header: Depth=1
	v_add_co_u32_e32 v8, vcc, s20, v2
	v_addc_co_u32_e32 v9, vcc, v6, v3, vcc
	v_add_co_u32_e32 v10, vcc, s19, v2
	v_addc_co_u32_e32 v11, vcc, v5, v3, vcc
	global_load_ushort v12, v[8:9], off
	global_load_ushort v13, v[10:11], off
	s_add_i32 s17, s15, 1
	v_add_co_u32_e64 v2, s[0:1], s16, v2
	v_addc_co_u32_e64 v3, s[0:1], v3, v7, s[0:1]
	s_cmp_gt_u32 s15, 2
	v_cmp_le_i32_e32 vcc, s7, v4
	s_cselect_b64 s[0:1], -1, 0
	s_or_b64 s[0:1], s[0:1], vcc
	s_and_b64 s[0:1], exec, s[0:1]
	v_add_u32_e32 v4, s14, v4
	s_mov_b32 s15, s17
	s_or_b64 s[4:5], s[0:1], s[4:5]
	s_waitcnt vmcnt(0)
	v_fma_mix_f32 v1, v12, v13, v1 op_sel_hi:[1,1,0]
	s_andn2_b64 exec, exec, s[4:5]
	s_cbranch_execnz .LBB340_2
; %bb.3:
	s_or_b64 exec, exec, s[4:5]
.LBB340_4:
	s_or_b64 exec, exec, s[12:13]
	v_and_b32_e32 v3, 63, v0
	v_cmp_gt_u32_e32 vcc, 64, v0
	v_lshlrev_b32_e32 v2, 2, v3
	s_and_saveexec_b64 s[0:1], vcc
	s_cbranch_execz .LBB340_6
; %bb.5:
	v_mov_b32_e32 v4, 0
	ds_write_b32 v2, v4
.LBB340_6:
	s_or_b64 exec, exec, s[0:1]
	v_mbcnt_lo_u32_b32 v4, -1, 0
	v_mbcnt_hi_u32_b32 v6, -1, v4
	v_and_b32_e32 v7, 63, v6
	v_cmp_gt_u32_e64 s[0:1], 32, v7
	v_cndmask_b32_e64 v4, 0, 1, s[0:1]
	v_lshlrev_b32_e32 v4, 5, v4
	v_add_lshl_u32 v4, v4, v6, 2
	ds_bpermute_b32 v4, v4, v1
	v_cmp_gt_u32_e64 s[0:1], 48, v7
	v_cndmask_b32_e64 v5, 0, 1, s[0:1]
	v_lshlrev_b32_e32 v5, 4, v5
	v_cmp_gt_u32_e64 s[0:1], 56, v7
	s_waitcnt lgkmcnt(0)
	v_add_f32_e32 v1, v1, v4
	v_add_lshl_u32 v4, v5, v6, 2
	ds_bpermute_b32 v4, v4, v1
	v_cndmask_b32_e64 v5, 0, 1, s[0:1]
	v_lshlrev_b32_e32 v5, 3, v5
	v_cmp_gt_u32_e64 s[0:1], 60, v7
	s_waitcnt lgkmcnt(0)
	v_add_f32_e32 v1, v1, v4
	v_add_lshl_u32 v4, v5, v6, 2
	ds_bpermute_b32 v4, v4, v1
	v_cndmask_b32_e64 v5, 0, 1, s[0:1]
	v_lshlrev_b32_e32 v5, 2, v5
	v_cmp_gt_u32_e64 s[0:1], 62, v7
	v_cndmask_b32_e64 v8, 0, 1, s[0:1]
	s_waitcnt lgkmcnt(0)
	v_add_f32_e32 v1, v1, v4
	v_add_lshl_u32 v4, v5, v6, 2
	ds_bpermute_b32 v5, v4, v1
	v_lshlrev_b32_e32 v8, 1, v8
	v_cmp_ne_u32_e64 s[0:1], 63, v7
	s_barrier
	s_waitcnt lgkmcnt(0)
	v_add_f32_e32 v1, v1, v5
	v_add_lshl_u32 v5, v8, v6, 2
	ds_bpermute_b32 v8, v5, v1
	v_addc_co_u32_e64 v6, s[0:1], 0, v6, s[0:1]
	v_lshlrev_b32_e32 v6, 2, v6
	v_cmp_eq_u32_e64 s[0:1], 0, v3
	s_waitcnt lgkmcnt(0)
	v_add_f32_e32 v1, v1, v8
	ds_bpermute_b32 v7, v6, v1
	s_and_saveexec_b64 s[4:5], s[0:1]
	s_cbranch_execz .LBB340_8
; %bb.7:
	v_lshrrev_b32_e32 v3, 4, v0
	s_waitcnt lgkmcnt(0)
	v_add_f32_e32 v1, v1, v7
	v_and_b32_e32 v3, 28, v3
	ds_write_b32 v3, v1
.LBB340_8:
	s_or_b64 exec, exec, s[4:5]
	v_cmp_gt_u32_e64 s[0:1], 8, v0
	v_mov_b32_e32 v1, 0
	s_waitcnt lgkmcnt(0)
	s_barrier
	s_and_saveexec_b64 s[4:5], s[0:1]
	s_cbranch_execnz .LBB340_12
; %bb.9:
	s_or_b64 exec, exec, s[4:5]
	s_and_saveexec_b64 s[0:1], vcc
	s_cbranch_execnz .LBB340_13
.LBB340_10:
	s_or_b64 exec, exec, s[0:1]
	v_cmp_eq_u32_e32 vcc, 0, v0
	s_and_saveexec_b64 s[0:1], vcc
	s_cbranch_execnz .LBB340_14
.LBB340_11:
	s_endpgm
.LBB340_12:
	ds_read_b32 v1, v2
	s_or_b64 exec, exec, s[4:5]
	s_and_saveexec_b64 s[0:1], vcc
	s_cbranch_execz .LBB340_10
.LBB340_13:
	s_waitcnt lgkmcnt(0)
	ds_bpermute_b32 v2, v4, v1
	s_waitcnt lgkmcnt(0)
	v_add_f32_e32 v1, v1, v2
	ds_bpermute_b32 v2, v5, v1
	s_waitcnt lgkmcnt(0)
	v_add_f32_e32 v1, v1, v2
	;; [unrolled: 3-line block ×3, first 2 shown]
	s_or_b64 exec, exec, s[0:1]
	v_cmp_eq_u32_e32 vcc, 0, v0
	s_and_saveexec_b64 s[0:1], vcc
	s_cbranch_execz .LBB340_11
.LBB340_14:
	s_cmp_lg_u32 s18, 1
	s_cbranch_scc0 .LBB340_16
; %bb.15:
	s_mul_hi_u32 s1, s18, s2
	s_mul_i32 s0, s18, s2
	s_lshl_b64 s[0:1], s[0:1], 2
	s_mov_b32 s7, 0
	s_add_u32 s4, s8, s0
	s_addc_u32 s5, s9, s1
	s_lshl_b64 s[0:1], s[6:7], 2
	s_add_u32 s0, s4, s0
	s_addc_u32 s1, s5, s1
	s_cbranch_execz .LBB340_17
	s_branch .LBB340_18
.LBB340_16:
                                        ; implicit-def: $sgpr0_sgpr1
.LBB340_17:
	s_lshl_b64 s[0:1], s[2:3], 2
	s_add_u32 s0, s10, s0
	s_addc_u32 s1, s11, s1
.LBB340_18:
	v_mov_b32_e32 v0, 0
	s_waitcnt lgkmcnt(0)
	global_store_dword v0, v1, s[0:1]
	s_endpgm
	.section	.rodata,"a",@progbits
	.p2align	6, 0x0
	.amdhsa_kernel _ZL23rocblas_dot_kernel_inc1ILb0ELi512ELi4ELb0EfPKPKDF16_fEviT4_llS4_lliPT5_PT3_
		.amdhsa_group_segment_fixed_size 256
		.amdhsa_private_segment_fixed_size 0
		.amdhsa_kernarg_size 336
		.amdhsa_user_sgpr_count 6
		.amdhsa_user_sgpr_private_segment_buffer 1
		.amdhsa_user_sgpr_dispatch_ptr 0
		.amdhsa_user_sgpr_queue_ptr 0
		.amdhsa_user_sgpr_kernarg_segment_ptr 1
		.amdhsa_user_sgpr_dispatch_id 0
		.amdhsa_user_sgpr_flat_scratch_init 0
		.amdhsa_user_sgpr_kernarg_preload_length 0
		.amdhsa_user_sgpr_kernarg_preload_offset 0
		.amdhsa_user_sgpr_private_segment_size 0
		.amdhsa_uses_dynamic_stack 0
		.amdhsa_system_sgpr_private_segment_wavefront_offset 0
		.amdhsa_system_sgpr_workgroup_id_x 1
		.amdhsa_system_sgpr_workgroup_id_y 0
		.amdhsa_system_sgpr_workgroup_id_z 1
		.amdhsa_system_sgpr_workgroup_info 0
		.amdhsa_system_vgpr_workitem_id 0
		.amdhsa_next_free_vgpr 14
		.amdhsa_next_free_sgpr 28
		.amdhsa_accum_offset 16
		.amdhsa_reserve_vcc 1
		.amdhsa_reserve_flat_scratch 0
		.amdhsa_float_round_mode_32 0
		.amdhsa_float_round_mode_16_64 0
		.amdhsa_float_denorm_mode_32 3
		.amdhsa_float_denorm_mode_16_64 3
		.amdhsa_dx10_clamp 1
		.amdhsa_ieee_mode 1
		.amdhsa_fp16_overflow 0
		.amdhsa_tg_split 0
		.amdhsa_exception_fp_ieee_invalid_op 0
		.amdhsa_exception_fp_denorm_src 0
		.amdhsa_exception_fp_ieee_div_zero 0
		.amdhsa_exception_fp_ieee_overflow 0
		.amdhsa_exception_fp_ieee_underflow 0
		.amdhsa_exception_fp_ieee_inexact 0
		.amdhsa_exception_int_div_zero 0
	.end_amdhsa_kernel
	.section	.text._ZL23rocblas_dot_kernel_inc1ILb0ELi512ELi4ELb0EfPKPKDF16_fEviT4_llS4_lliPT5_PT3_,"axG",@progbits,_ZL23rocblas_dot_kernel_inc1ILb0ELi512ELi4ELb0EfPKPKDF16_fEviT4_llS4_lliPT5_PT3_,comdat
.Lfunc_end340:
	.size	_ZL23rocblas_dot_kernel_inc1ILb0ELi512ELi4ELb0EfPKPKDF16_fEviT4_llS4_lliPT5_PT3_, .Lfunc_end340-_ZL23rocblas_dot_kernel_inc1ILb0ELi512ELi4ELb0EfPKPKDF16_fEviT4_llS4_lliPT5_PT3_
                                        ; -- End function
	.section	.AMDGPU.csdata,"",@progbits
; Kernel info:
; codeLenInByte = 896
; NumSgprs: 32
; NumVgprs: 14
; NumAgprs: 0
; TotalNumVgprs: 14
; ScratchSize: 0
; MemoryBound: 0
; FloatMode: 240
; IeeeMode: 1
; LDSByteSize: 256 bytes/workgroup (compile time only)
; SGPRBlocks: 3
; VGPRBlocks: 1
; NumSGPRsForWavesPerEU: 32
; NumVGPRsForWavesPerEU: 14
; AccumOffset: 16
; Occupancy: 8
; WaveLimiterHint : 1
; COMPUTE_PGM_RSRC2:SCRATCH_EN: 0
; COMPUTE_PGM_RSRC2:USER_SGPR: 6
; COMPUTE_PGM_RSRC2:TRAP_HANDLER: 0
; COMPUTE_PGM_RSRC2:TGID_X_EN: 1
; COMPUTE_PGM_RSRC2:TGID_Y_EN: 0
; COMPUTE_PGM_RSRC2:TGID_Z_EN: 1
; COMPUTE_PGM_RSRC2:TIDIG_COMP_CNT: 0
; COMPUTE_PGM_RSRC3_GFX90A:ACCUM_OFFSET: 3
; COMPUTE_PGM_RSRC3_GFX90A:TG_SPLIT: 0
	.section	.text._ZL18rocblas_dot_kernelIlLb0ELi512ELi4ELb0EfPKPKDF16_fEviT5_lT_lS4_lS5_liPT6_PT4_,"axG",@progbits,_ZL18rocblas_dot_kernelIlLb0ELi512ELi4ELb0EfPKPKDF16_fEviT5_lT_lS4_lS5_liPT6_PT4_,comdat
	.globl	_ZL18rocblas_dot_kernelIlLb0ELi512ELi4ELb0EfPKPKDF16_fEviT5_lT_lS4_lS5_liPT6_PT4_ ; -- Begin function _ZL18rocblas_dot_kernelIlLb0ELi512ELi4ELb0EfPKPKDF16_fEviT5_lT_lS4_lS5_liPT6_PT4_
	.p2align	8
	.type	_ZL18rocblas_dot_kernelIlLb0ELi512ELi4ELb0EfPKPKDF16_fEviT5_lT_lS4_lS5_liPT6_PT4_,@function
_ZL18rocblas_dot_kernelIlLb0ELi512ELi4ELb0EfPKPKDF16_fEviT5_lT_lS4_lS5_liPT6_PT4_: ; @_ZL18rocblas_dot_kernelIlLb0ELi512ELi4ELb0EfPKPKDF16_fEviT5_lT_lS4_lS5_liPT6_PT4_
; %bb.0:
	s_mov_b32 s16, s7
	s_load_dword s20, s[4:5], 0x60
	s_load_dword s7, s[4:5], 0x0
	s_load_dwordx4 s[8:11], s[4:5], 0x50
	v_lshl_or_b32 v4, s6, 9, v0
	s_mov_b32 s17, 0
	v_mov_b32_e32 v6, 0
	s_waitcnt lgkmcnt(0)
	v_cmp_gt_i32_e32 vcc, s7, v4
	s_and_saveexec_b64 s[18:19], vcc
	s_cbranch_execz .LBB341_4
; %bb.1:
	s_load_dwordx2 s[22:23], s[4:5], 0x8
	s_load_dwordx4 s[12:15], s[4:5], 0x10
	s_load_dwordx2 s[24:25], s[4:5], 0x28
	s_load_dwordx4 s[0:3], s[4:5], 0x30
	s_lshl_b64 s[4:5], s[16:17], 3
	s_waitcnt lgkmcnt(0)
	s_add_u32 s22, s22, s4
	s_addc_u32 s23, s23, s5
	s_load_dwordx2 s[22:23], s[22:23], 0x0
	s_add_u32 s4, s24, s4
	s_addc_u32 s5, s25, s5
	s_load_dwordx2 s[24:25], s[4:5], 0x0
	v_ashrrev_i32_e32 v5, 31, v4
	v_mad_u64_u32 v[2:3], s[4:5], s14, v4, 0
	s_lshl_b32 s21, s20, 9
	v_mul_lo_u32 v6, s15, v4
	v_mul_lo_u32 v7, s14, v5
	s_lshl_b64 s[4:5], s[12:13], 1
	v_add3_u32 v3, v3, v7, v6
	s_waitcnt lgkmcnt(0)
	s_add_u32 s4, s22, s4
	v_lshlrev_b64 v[2:3], 1, v[2:3]
	s_addc_u32 s5, s23, s5
	s_ashr_i32 s22, s21, 31
	v_mov_b32_e32 v6, s5
	v_add_co_u32_e32 v2, vcc, s4, v2
	s_mul_i32 s4, s14, s22
	s_mul_hi_u32 s5, s14, s21
	s_add_i32 s4, s5, s4
	s_mul_i32 s5, s15, s21
	s_add_i32 s5, s4, s5
	s_mul_i32 s4, s14, s21
	v_add_u32_e32 v1, s21, v4
	v_addc_co_u32_e32 v3, vcc, v6, v3, vcc
	s_lshl_b64 s[4:5], s[4:5], 1
	v_mul_lo_u32 v6, s3, v4
	v_mul_lo_u32 v7, s2, v5
	v_mad_u64_u32 v[4:5], s[12:13], s2, v4, 0
	s_lshl_b64 s[0:1], s[0:1], 1
	v_add3_u32 v5, v5, v7, v6
	s_add_u32 s0, s24, s0
	v_lshlrev_b64 v[4:5], 1, v[4:5]
	s_addc_u32 s1, s25, s1
	v_mov_b32_e32 v6, s1
	v_add_co_u32_e32 v4, vcc, s0, v4
	s_mul_i32 s0, s2, s22
	s_mul_hi_u32 s1, s2, s21
	s_add_i32 s0, s1, s0
	s_mul_i32 s1, s3, s21
	s_add_i32 s1, s0, s1
	s_mul_i32 s0, s2, s21
	s_lshl_b64 s[12:13], s[0:1], 1
	v_addc_co_u32_e32 v5, vcc, v6, v5, vcc
	s_mov_b64 s[2:3], 0
	v_mov_b32_e32 v6, 0
	v_mov_b32_e32 v7, s5
	;; [unrolled: 1-line block ×3, first 2 shown]
	s_mov_b32 s5, s17
.LBB341_2:                              ; =>This Inner Loop Header: Depth=1
	global_load_ushort v9, v[4:5], off
	global_load_ushort v10, v[2:3], off
	v_add_co_u32_e64 v2, s[0:1], s4, v2
	v_addc_co_u32_e64 v3, s[0:1], v3, v7, s[0:1]
	s_add_i32 s13, s5, 1
	v_add_co_u32_e64 v4, s[0:1], s12, v4
	v_addc_co_u32_e64 v5, s[0:1], v5, v8, s[0:1]
	s_cmp_gt_u32 s5, 2
	v_cmp_le_i32_e32 vcc, s7, v1
	s_cselect_b64 s[0:1], -1, 0
	s_or_b64 s[0:1], s[0:1], vcc
	s_and_b64 s[0:1], exec, s[0:1]
	v_add_u32_e32 v1, s21, v1
	s_mov_b32 s5, s13
	s_or_b64 s[2:3], s[0:1], s[2:3]
	s_waitcnt vmcnt(0)
	v_fma_mix_f32 v6, v9, v10, v6 op_sel_hi:[1,1,0]
	s_andn2_b64 exec, exec, s[2:3]
	s_cbranch_execnz .LBB341_2
; %bb.3:
	s_or_b64 exec, exec, s[2:3]
.LBB341_4:
	s_or_b64 exec, exec, s[18:19]
	v_and_b32_e32 v2, 63, v0
	v_cmp_gt_u32_e32 vcc, 64, v0
	v_lshlrev_b32_e32 v1, 2, v2
	s_and_saveexec_b64 s[0:1], vcc
	s_cbranch_execz .LBB341_6
; %bb.5:
	v_mov_b32_e32 v3, 0
	ds_write_b32 v1, v3
.LBB341_6:
	s_or_b64 exec, exec, s[0:1]
	v_mbcnt_lo_u32_b32 v3, -1, 0
	v_mbcnt_hi_u32_b32 v5, -1, v3
	v_and_b32_e32 v7, 63, v5
	v_cmp_gt_u32_e64 s[0:1], 32, v7
	v_cndmask_b32_e64 v3, 0, 1, s[0:1]
	v_lshlrev_b32_e32 v3, 5, v3
	v_add_lshl_u32 v3, v3, v5, 2
	ds_bpermute_b32 v3, v3, v6
	v_cmp_gt_u32_e64 s[0:1], 48, v7
	v_cndmask_b32_e64 v4, 0, 1, s[0:1]
	v_lshlrev_b32_e32 v4, 4, v4
	v_add_lshl_u32 v4, v4, v5, 2
	s_waitcnt lgkmcnt(0)
	v_add_f32_e32 v3, v6, v3
	ds_bpermute_b32 v4, v4, v3
	v_cmp_gt_u32_e64 s[0:1], 56, v7
	v_cndmask_b32_e64 v6, 0, 1, s[0:1]
	v_lshlrev_b32_e32 v6, 3, v6
	v_cmp_gt_u32_e64 s[0:1], 60, v7
	s_waitcnt lgkmcnt(0)
	v_add_f32_e32 v3, v3, v4
	v_add_lshl_u32 v4, v6, v5, 2
	ds_bpermute_b32 v4, v4, v3
	v_cndmask_b32_e64 v6, 0, 1, s[0:1]
	v_lshlrev_b32_e32 v6, 2, v6
	v_cmp_gt_u32_e64 s[0:1], 62, v7
	v_cndmask_b32_e64 v8, 0, 1, s[0:1]
	s_waitcnt lgkmcnt(0)
	v_add_f32_e32 v4, v3, v4
	v_add_lshl_u32 v3, v6, v5, 2
	ds_bpermute_b32 v6, v3, v4
	v_lshlrev_b32_e32 v8, 1, v8
	v_cmp_ne_u32_e64 s[0:1], 63, v7
	s_waitcnt lgkmcnt(0)
	s_barrier
	v_add_f32_e32 v6, v4, v6
	v_add_lshl_u32 v4, v8, v5, 2
	ds_bpermute_b32 v8, v4, v6
	v_addc_co_u32_e64 v5, s[0:1], 0, v5, s[0:1]
	v_lshlrev_b32_e32 v5, 2, v5
	v_cmp_eq_u32_e64 s[0:1], 0, v2
	s_waitcnt lgkmcnt(0)
	v_add_f32_e32 v6, v6, v8
	ds_bpermute_b32 v7, v5, v6
	s_waitcnt lgkmcnt(0)
	s_and_saveexec_b64 s[2:3], s[0:1]
	s_cbranch_execz .LBB341_8
; %bb.7:
	v_add_f32_e32 v2, v6, v7
	v_lshrrev_b32_e32 v6, 4, v0
	v_and_b32_e32 v6, 28, v6
	ds_write_b32 v6, v2
.LBB341_8:
	s_or_b64 exec, exec, s[2:3]
	v_cmp_gt_u32_e64 s[0:1], 8, v0
	v_mov_b32_e32 v2, 0
	s_waitcnt lgkmcnt(0)
	s_barrier
	s_and_saveexec_b64 s[2:3], s[0:1]
	s_cbranch_execnz .LBB341_12
; %bb.9:
	s_or_b64 exec, exec, s[2:3]
	s_and_saveexec_b64 s[0:1], vcc
	s_cbranch_execnz .LBB341_13
.LBB341_10:
	s_or_b64 exec, exec, s[0:1]
	v_cmp_eq_u32_e32 vcc, 0, v0
	s_and_saveexec_b64 s[0:1], vcc
	s_cbranch_execnz .LBB341_14
.LBB341_11:
	s_endpgm
.LBB341_12:
	ds_read_b32 v2, v1
	s_or_b64 exec, exec, s[2:3]
	s_and_saveexec_b64 s[0:1], vcc
	s_cbranch_execz .LBB341_10
.LBB341_13:
	s_waitcnt lgkmcnt(0)
	ds_bpermute_b32 v1, v3, v2
	s_waitcnt lgkmcnt(0)
	v_add_f32_e32 v1, v2, v1
	ds_bpermute_b32 v2, v4, v1
	s_waitcnt lgkmcnt(0)
	v_add_f32_e32 v1, v1, v2
	;; [unrolled: 3-line block ×3, first 2 shown]
	s_or_b64 exec, exec, s[0:1]
	v_cmp_eq_u32_e32 vcc, 0, v0
	s_and_saveexec_b64 s[0:1], vcc
	s_cbranch_execz .LBB341_11
.LBB341_14:
	s_cmp_lg_u32 s20, 1
	s_cbranch_scc0 .LBB341_16
; %bb.15:
	s_mul_hi_u32 s1, s20, s16
	s_mul_i32 s0, s20, s16
	s_lshl_b64 s[0:1], s[0:1], 2
	s_mov_b32 s7, 0
	s_add_u32 s2, s8, s0
	s_addc_u32 s3, s9, s1
	s_lshl_b64 s[0:1], s[6:7], 2
	s_add_u32 s0, s2, s0
	s_addc_u32 s1, s3, s1
	s_cbranch_execz .LBB341_17
	s_branch .LBB341_18
.LBB341_16:
                                        ; implicit-def: $sgpr0_sgpr1
.LBB341_17:
	s_lshl_b64 s[0:1], s[16:17], 2
	s_add_u32 s0, s10, s0
	s_addc_u32 s1, s11, s1
.LBB341_18:
	v_mov_b32_e32 v0, 0
	s_waitcnt lgkmcnt(0)
	global_store_dword v0, v2, s[0:1]
	s_endpgm
	.section	.rodata,"a",@progbits
	.p2align	6, 0x0
	.amdhsa_kernel _ZL18rocblas_dot_kernelIlLb0ELi512ELi4ELb0EfPKPKDF16_fEviT5_lT_lS4_lS5_liPT6_PT4_
		.amdhsa_group_segment_fixed_size 256
		.amdhsa_private_segment_fixed_size 0
		.amdhsa_kernarg_size 352
		.amdhsa_user_sgpr_count 6
		.amdhsa_user_sgpr_private_segment_buffer 1
		.amdhsa_user_sgpr_dispatch_ptr 0
		.amdhsa_user_sgpr_queue_ptr 0
		.amdhsa_user_sgpr_kernarg_segment_ptr 1
		.amdhsa_user_sgpr_dispatch_id 0
		.amdhsa_user_sgpr_flat_scratch_init 0
		.amdhsa_user_sgpr_kernarg_preload_length 0
		.amdhsa_user_sgpr_kernarg_preload_offset 0
		.amdhsa_user_sgpr_private_segment_size 0
		.amdhsa_uses_dynamic_stack 0
		.amdhsa_system_sgpr_private_segment_wavefront_offset 0
		.amdhsa_system_sgpr_workgroup_id_x 1
		.amdhsa_system_sgpr_workgroup_id_y 0
		.amdhsa_system_sgpr_workgroup_id_z 1
		.amdhsa_system_sgpr_workgroup_info 0
		.amdhsa_system_vgpr_workitem_id 0
		.amdhsa_next_free_vgpr 11
		.amdhsa_next_free_sgpr 26
		.amdhsa_accum_offset 12
		.amdhsa_reserve_vcc 1
		.amdhsa_reserve_flat_scratch 0
		.amdhsa_float_round_mode_32 0
		.amdhsa_float_round_mode_16_64 0
		.amdhsa_float_denorm_mode_32 3
		.amdhsa_float_denorm_mode_16_64 3
		.amdhsa_dx10_clamp 1
		.amdhsa_ieee_mode 1
		.amdhsa_fp16_overflow 0
		.amdhsa_tg_split 0
		.amdhsa_exception_fp_ieee_invalid_op 0
		.amdhsa_exception_fp_denorm_src 0
		.amdhsa_exception_fp_ieee_div_zero 0
		.amdhsa_exception_fp_ieee_overflow 0
		.amdhsa_exception_fp_ieee_underflow 0
		.amdhsa_exception_fp_ieee_inexact 0
		.amdhsa_exception_int_div_zero 0
	.end_amdhsa_kernel
	.section	.text._ZL18rocblas_dot_kernelIlLb0ELi512ELi4ELb0EfPKPKDF16_fEviT5_lT_lS4_lS5_liPT6_PT4_,"axG",@progbits,_ZL18rocblas_dot_kernelIlLb0ELi512ELi4ELb0EfPKPKDF16_fEviT5_lT_lS4_lS5_liPT6_PT4_,comdat
.Lfunc_end341:
	.size	_ZL18rocblas_dot_kernelIlLb0ELi512ELi4ELb0EfPKPKDF16_fEviT5_lT_lS4_lS5_liPT6_PT4_, .Lfunc_end341-_ZL18rocblas_dot_kernelIlLb0ELi512ELi4ELb0EfPKPKDF16_fEviT5_lT_lS4_lS5_liPT6_PT4_
                                        ; -- End function
	.section	.AMDGPU.csdata,"",@progbits
; Kernel info:
; codeLenInByte = 1052
; NumSgprs: 30
; NumVgprs: 11
; NumAgprs: 0
; TotalNumVgprs: 11
; ScratchSize: 0
; MemoryBound: 0
; FloatMode: 240
; IeeeMode: 1
; LDSByteSize: 256 bytes/workgroup (compile time only)
; SGPRBlocks: 3
; VGPRBlocks: 1
; NumSGPRsForWavesPerEU: 30
; NumVGPRsForWavesPerEU: 11
; AccumOffset: 12
; Occupancy: 8
; WaveLimiterHint : 0
; COMPUTE_PGM_RSRC2:SCRATCH_EN: 0
; COMPUTE_PGM_RSRC2:USER_SGPR: 6
; COMPUTE_PGM_RSRC2:TRAP_HANDLER: 0
; COMPUTE_PGM_RSRC2:TGID_X_EN: 1
; COMPUTE_PGM_RSRC2:TGID_Y_EN: 0
; COMPUTE_PGM_RSRC2:TGID_Z_EN: 1
; COMPUTE_PGM_RSRC2:TIDIG_COMP_CNT: 0
; COMPUTE_PGM_RSRC3_GFX90A:ACCUM_OFFSET: 2
; COMPUTE_PGM_RSRC3_GFX90A:TG_SPLIT: 0
	.section	.text._ZL24rocblas_dot_kernel_magsqIlLb0ELi512ELi4ELb0EfPKPKDF16_fEviT5_lT_liPT6_PT4_,"axG",@progbits,_ZL24rocblas_dot_kernel_magsqIlLb0ELi512ELi4ELb0EfPKPKDF16_fEviT5_lT_liPT6_PT4_,comdat
	.globl	_ZL24rocblas_dot_kernel_magsqIlLb0ELi512ELi4ELb0EfPKPKDF16_fEviT5_lT_liPT6_PT4_ ; -- Begin function _ZL24rocblas_dot_kernel_magsqIlLb0ELi512ELi4ELb0EfPKPKDF16_fEviT5_lT_liPT6_PT4_
	.p2align	8
	.type	_ZL24rocblas_dot_kernel_magsqIlLb0ELi512ELi4ELb0EfPKPKDF16_fEviT5_lT_liPT6_PT4_,@function
_ZL24rocblas_dot_kernel_magsqIlLb0ELi512ELi4ELb0EfPKPKDF16_fEviT5_lT_liPT6_PT4_: ; @_ZL24rocblas_dot_kernel_magsqIlLb0ELi512ELi4ELb0EfPKPKDF16_fEviT5_lT_liPT6_PT4_
; %bb.0:
	s_mov_b32 s2, s7
	s_load_dword s7, s[4:5], 0x0
	s_load_dwordx4 s[8:11], s[4:5], 0x30
	s_load_dword s16, s[4:5], 0x40
	v_lshl_or_b32 v2, s6, 9, v0
	s_mov_b32 s3, 0
	s_waitcnt lgkmcnt(0)
	v_cmp_gt_i32_e32 vcc, s7, v2
	v_mov_b32_e32 v1, 0
	s_and_saveexec_b64 s[12:13], vcc
	s_cbranch_execz .LBB342_4
; %bb.1:
	s_load_dwordx2 s[0:1], s[4:5], 0x8
	s_load_dwordx4 s[20:23], s[4:5], 0x10
	s_lshl_b64 s[4:5], s[2:3], 3
	v_ashrrev_i32_e32 v1, 31, v2
	s_waitcnt lgkmcnt(0)
	s_add_u32 s0, s0, s4
	s_addc_u32 s1, s1, s5
	s_load_dwordx2 s[0:1], s[0:1], 0x0
	s_lshl_b32 s17, s16, 9
	v_add_u32_e32 v4, s17, v2
	v_mul_lo_u32 v5, s23, v2
	v_mul_lo_u32 v1, s22, v1
	v_mad_u64_u32 v[2:3], s[4:5], s22, v2, 0
	v_add3_u32 v3, v3, v1, v5
	s_lshl_b64 s[4:5], s[20:21], 1
	v_lshlrev_b64 v[2:3], 1, v[2:3]
	s_waitcnt lgkmcnt(0)
	s_add_u32 s0, s0, s4
	s_addc_u32 s1, s1, s5
	v_add_co_u32_e32 v2, vcc, s0, v2
	s_ashr_i32 s0, s17, 31
	v_mov_b32_e32 v1, s1
	s_mul_i32 s0, s22, s0
	s_mul_hi_u32 s1, s22, s17
	s_add_i32 s0, s1, s0
	s_mul_i32 s1, s23, s17
	s_add_i32 s1, s0, s1
	s_mul_i32 s0, s22, s17
	s_lshl_b64 s[14:15], s[0:1], 1
	v_addc_co_u32_e32 v3, vcc, v1, v3, vcc
	s_mov_b64 s[4:5], 0
	v_mov_b32_e32 v1, 0
	v_mov_b32_e32 v5, s15
	s_mov_b32 s15, s3
.LBB342_2:                              ; =>This Inner Loop Header: Depth=1
	global_load_ushort v6, v[2:3], off
	s_add_i32 s18, s15, 1
	v_add_co_u32_e64 v2, s[0:1], s14, v2
	v_addc_co_u32_e64 v3, s[0:1], v3, v5, s[0:1]
	s_cmp_gt_u32 s15, 2
	v_cmp_le_i32_e32 vcc, s7, v4
	s_cselect_b64 s[0:1], -1, 0
	s_or_b64 s[0:1], s[0:1], vcc
	s_and_b64 s[0:1], exec, s[0:1]
	v_add_u32_e32 v4, s17, v4
	s_mov_b32 s15, s18
	s_or_b64 s[4:5], s[0:1], s[4:5]
	s_waitcnt vmcnt(0)
	v_fma_mix_f32 v1, v6, v6, v1 op_sel_hi:[1,1,0]
	s_andn2_b64 exec, exec, s[4:5]
	s_cbranch_execnz .LBB342_2
; %bb.3:
	s_or_b64 exec, exec, s[4:5]
.LBB342_4:
	s_or_b64 exec, exec, s[12:13]
	v_and_b32_e32 v3, 63, v0
	v_cmp_gt_u32_e32 vcc, 64, v0
	v_lshlrev_b32_e32 v2, 2, v3
	s_and_saveexec_b64 s[0:1], vcc
	s_cbranch_execz .LBB342_6
; %bb.5:
	v_mov_b32_e32 v4, 0
	ds_write_b32 v2, v4
.LBB342_6:
	s_or_b64 exec, exec, s[0:1]
	v_mbcnt_lo_u32_b32 v4, -1, 0
	v_mbcnt_hi_u32_b32 v6, -1, v4
	v_and_b32_e32 v7, 63, v6
	v_cmp_gt_u32_e64 s[0:1], 32, v7
	v_cndmask_b32_e64 v4, 0, 1, s[0:1]
	v_lshlrev_b32_e32 v4, 5, v4
	v_add_lshl_u32 v4, v4, v6, 2
	ds_bpermute_b32 v4, v4, v1
	v_cmp_gt_u32_e64 s[0:1], 48, v7
	v_cndmask_b32_e64 v5, 0, 1, s[0:1]
	v_lshlrev_b32_e32 v5, 4, v5
	v_cmp_gt_u32_e64 s[0:1], 56, v7
	s_waitcnt lgkmcnt(0)
	v_add_f32_e32 v1, v1, v4
	v_add_lshl_u32 v4, v5, v6, 2
	ds_bpermute_b32 v4, v4, v1
	v_cndmask_b32_e64 v5, 0, 1, s[0:1]
	v_lshlrev_b32_e32 v5, 3, v5
	v_cmp_gt_u32_e64 s[0:1], 60, v7
	s_waitcnt lgkmcnt(0)
	v_add_f32_e32 v1, v1, v4
	v_add_lshl_u32 v4, v5, v6, 2
	ds_bpermute_b32 v4, v4, v1
	v_cndmask_b32_e64 v5, 0, 1, s[0:1]
	v_lshlrev_b32_e32 v5, 2, v5
	v_cmp_gt_u32_e64 s[0:1], 62, v7
	v_cndmask_b32_e64 v8, 0, 1, s[0:1]
	s_waitcnt lgkmcnt(0)
	v_add_f32_e32 v1, v1, v4
	v_add_lshl_u32 v4, v5, v6, 2
	ds_bpermute_b32 v5, v4, v1
	v_lshlrev_b32_e32 v8, 1, v8
	v_cmp_ne_u32_e64 s[0:1], 63, v7
	s_barrier
	s_waitcnt lgkmcnt(0)
	v_add_f32_e32 v1, v1, v5
	v_add_lshl_u32 v5, v8, v6, 2
	ds_bpermute_b32 v8, v5, v1
	v_addc_co_u32_e64 v6, s[0:1], 0, v6, s[0:1]
	v_lshlrev_b32_e32 v6, 2, v6
	v_cmp_eq_u32_e64 s[0:1], 0, v3
	s_waitcnt lgkmcnt(0)
	v_add_f32_e32 v1, v1, v8
	ds_bpermute_b32 v7, v6, v1
	s_and_saveexec_b64 s[4:5], s[0:1]
	s_cbranch_execz .LBB342_8
; %bb.7:
	v_lshrrev_b32_e32 v3, 4, v0
	s_waitcnt lgkmcnt(0)
	v_add_f32_e32 v1, v1, v7
	v_and_b32_e32 v3, 28, v3
	ds_write_b32 v3, v1
.LBB342_8:
	s_or_b64 exec, exec, s[4:5]
	v_cmp_gt_u32_e64 s[0:1], 8, v0
	v_mov_b32_e32 v1, 0
	s_waitcnt lgkmcnt(0)
	s_barrier
	s_and_saveexec_b64 s[4:5], s[0:1]
	s_cbranch_execnz .LBB342_12
; %bb.9:
	s_or_b64 exec, exec, s[4:5]
	s_and_saveexec_b64 s[0:1], vcc
	s_cbranch_execnz .LBB342_13
.LBB342_10:
	s_or_b64 exec, exec, s[0:1]
	v_cmp_eq_u32_e32 vcc, 0, v0
	s_and_saveexec_b64 s[0:1], vcc
	s_cbranch_execnz .LBB342_14
.LBB342_11:
	s_endpgm
.LBB342_12:
	ds_read_b32 v1, v2
	s_or_b64 exec, exec, s[4:5]
	s_and_saveexec_b64 s[0:1], vcc
	s_cbranch_execz .LBB342_10
.LBB342_13:
	s_waitcnt lgkmcnt(0)
	ds_bpermute_b32 v2, v4, v1
	s_waitcnt lgkmcnt(0)
	v_add_f32_e32 v1, v1, v2
	ds_bpermute_b32 v2, v5, v1
	s_waitcnt lgkmcnt(0)
	v_add_f32_e32 v1, v1, v2
	;; [unrolled: 3-line block ×3, first 2 shown]
	s_or_b64 exec, exec, s[0:1]
	v_cmp_eq_u32_e32 vcc, 0, v0
	s_and_saveexec_b64 s[0:1], vcc
	s_cbranch_execz .LBB342_11
.LBB342_14:
	s_cmp_lg_u32 s16, 1
	s_cbranch_scc0 .LBB342_16
; %bb.15:
	s_mul_hi_u32 s1, s16, s2
	s_mul_i32 s0, s16, s2
	s_lshl_b64 s[0:1], s[0:1], 2
	s_mov_b32 s7, 0
	s_add_u32 s4, s8, s0
	s_addc_u32 s5, s9, s1
	s_lshl_b64 s[0:1], s[6:7], 2
	s_add_u32 s0, s4, s0
	s_addc_u32 s1, s5, s1
	s_cbranch_execz .LBB342_17
	s_branch .LBB342_18
.LBB342_16:
                                        ; implicit-def: $sgpr0_sgpr1
.LBB342_17:
	s_lshl_b64 s[0:1], s[2:3], 2
	s_add_u32 s0, s10, s0
	s_addc_u32 s1, s11, s1
.LBB342_18:
	v_mov_b32_e32 v0, 0
	s_waitcnt lgkmcnt(0)
	global_store_dword v0, v1, s[0:1]
	s_endpgm
	.section	.rodata,"a",@progbits
	.p2align	6, 0x0
	.amdhsa_kernel _ZL24rocblas_dot_kernel_magsqIlLb0ELi512ELi4ELb0EfPKPKDF16_fEviT5_lT_liPT6_PT4_
		.amdhsa_group_segment_fixed_size 256
		.amdhsa_private_segment_fixed_size 0
		.amdhsa_kernarg_size 320
		.amdhsa_user_sgpr_count 6
		.amdhsa_user_sgpr_private_segment_buffer 1
		.amdhsa_user_sgpr_dispatch_ptr 0
		.amdhsa_user_sgpr_queue_ptr 0
		.amdhsa_user_sgpr_kernarg_segment_ptr 1
		.amdhsa_user_sgpr_dispatch_id 0
		.amdhsa_user_sgpr_flat_scratch_init 0
		.amdhsa_user_sgpr_kernarg_preload_length 0
		.amdhsa_user_sgpr_kernarg_preload_offset 0
		.amdhsa_user_sgpr_private_segment_size 0
		.amdhsa_uses_dynamic_stack 0
		.amdhsa_system_sgpr_private_segment_wavefront_offset 0
		.amdhsa_system_sgpr_workgroup_id_x 1
		.amdhsa_system_sgpr_workgroup_id_y 0
		.amdhsa_system_sgpr_workgroup_id_z 1
		.amdhsa_system_sgpr_workgroup_info 0
		.amdhsa_system_vgpr_workitem_id 0
		.amdhsa_next_free_vgpr 9
		.amdhsa_next_free_sgpr 24
		.amdhsa_accum_offset 12
		.amdhsa_reserve_vcc 1
		.amdhsa_reserve_flat_scratch 0
		.amdhsa_float_round_mode_32 0
		.amdhsa_float_round_mode_16_64 0
		.amdhsa_float_denorm_mode_32 3
		.amdhsa_float_denorm_mode_16_64 3
		.amdhsa_dx10_clamp 1
		.amdhsa_ieee_mode 1
		.amdhsa_fp16_overflow 0
		.amdhsa_tg_split 0
		.amdhsa_exception_fp_ieee_invalid_op 0
		.amdhsa_exception_fp_denorm_src 0
		.amdhsa_exception_fp_ieee_div_zero 0
		.amdhsa_exception_fp_ieee_overflow 0
		.amdhsa_exception_fp_ieee_underflow 0
		.amdhsa_exception_fp_ieee_inexact 0
		.amdhsa_exception_int_div_zero 0
	.end_amdhsa_kernel
	.section	.text._ZL24rocblas_dot_kernel_magsqIlLb0ELi512ELi4ELb0EfPKPKDF16_fEviT5_lT_liPT6_PT4_,"axG",@progbits,_ZL24rocblas_dot_kernel_magsqIlLb0ELi512ELi4ELb0EfPKPKDF16_fEviT5_lT_liPT6_PT4_,comdat
.Lfunc_end342:
	.size	_ZL24rocblas_dot_kernel_magsqIlLb0ELi512ELi4ELb0EfPKPKDF16_fEviT5_lT_liPT6_PT4_, .Lfunc_end342-_ZL24rocblas_dot_kernel_magsqIlLb0ELi512ELi4ELb0EfPKPKDF16_fEviT5_lT_liPT6_PT4_
                                        ; -- End function
	.section	.AMDGPU.csdata,"",@progbits
; Kernel info:
; codeLenInByte = 900
; NumSgprs: 28
; NumVgprs: 9
; NumAgprs: 0
; TotalNumVgprs: 9
; ScratchSize: 0
; MemoryBound: 0
; FloatMode: 240
; IeeeMode: 1
; LDSByteSize: 256 bytes/workgroup (compile time only)
; SGPRBlocks: 3
; VGPRBlocks: 1
; NumSGPRsForWavesPerEU: 28
; NumVGPRsForWavesPerEU: 9
; AccumOffset: 12
; Occupancy: 8
; WaveLimiterHint : 0
; COMPUTE_PGM_RSRC2:SCRATCH_EN: 0
; COMPUTE_PGM_RSRC2:USER_SGPR: 6
; COMPUTE_PGM_RSRC2:TRAP_HANDLER: 0
; COMPUTE_PGM_RSRC2:TGID_X_EN: 1
; COMPUTE_PGM_RSRC2:TGID_Y_EN: 0
; COMPUTE_PGM_RSRC2:TGID_Z_EN: 1
; COMPUTE_PGM_RSRC2:TIDIG_COMP_CNT: 0
; COMPUTE_PGM_RSRC3_GFX90A:ACCUM_OFFSET: 2
; COMPUTE_PGM_RSRC3_GFX90A:TG_SPLIT: 0
	.section	.text._ZL28rocblas_dot_batched_4_kernelIlLi32ELi4ELb0EDF16_fPKDF16_EviT5_lT_lS2_lS3_liPT4_,"axG",@progbits,_ZL28rocblas_dot_batched_4_kernelIlLi32ELi4ELb0EDF16_fPKDF16_EviT5_lT_lS2_lS3_liPT4_,comdat
	.globl	_ZL28rocblas_dot_batched_4_kernelIlLi32ELi4ELb0EDF16_fPKDF16_EviT5_lT_lS2_lS3_liPT4_ ; -- Begin function _ZL28rocblas_dot_batched_4_kernelIlLi32ELi4ELb0EDF16_fPKDF16_EviT5_lT_lS2_lS3_liPT4_
	.p2align	8
	.type	_ZL28rocblas_dot_batched_4_kernelIlLi32ELi4ELb0EDF16_fPKDF16_EviT5_lT_lS2_lS3_liPT4_,@function
_ZL28rocblas_dot_batched_4_kernelIlLi32ELi4ELb0EDF16_fPKDF16_EviT5_lT_lS2_lS3_liPT4_: ; @_ZL28rocblas_dot_batched_4_kernelIlLi32ELi4ELb0EDF16_fPKDF16_EviT5_lT_lS2_lS3_liPT4_
; %bb.0:
	s_load_dword s0, s[4:5], 0x48
	v_bfe_u32 v1, v0, 10, 10
	v_lshl_add_u32 v2, s6, 2, v1
	s_waitcnt lgkmcnt(0)
	v_cmp_gt_u32_e32 vcc, s0, v2
	s_and_saveexec_b64 s[0:1], vcc
	s_cbranch_execz .LBB343_7
; %bb.1:
	s_load_dword s16, s[4:5], 0x0
	s_load_dwordx2 s[0:1], s[4:5], 0x50
	v_mov_b32_e32 v3, 0
	v_and_b32_e32 v6, 0x3ff, v0
	v_mov_b32_e32 v7, v3
	s_waitcnt lgkmcnt(0)
	v_cmp_gt_i32_e32 vcc, s16, v6
	s_and_saveexec_b64 s[2:3], vcc
	s_cbranch_execz .LBB343_5
; %bb.2:
	s_load_dwordx4 s[20:23], s[4:5], 0x10
	s_load_dwordx2 s[6:7], s[4:5], 0x8
	s_load_dwordx8 s[8:15], s[4:5], 0x20
	s_load_dwordx2 s[18:19], s[4:5], 0x40
	s_waitcnt lgkmcnt(0)
	v_mad_u64_u32 v[0:1], s[4:5], s22, v6, 0
	v_mov_b32_e32 v4, v1
	v_mad_u64_u32 v[4:5], s[4:5], s23, v6, v[4:5]
	v_mov_b32_e32 v1, v4
	;; [unrolled: 2-line block ×4, first 2 shown]
	v_lshlrev_b64 v[0:1], 1, v[0:1]
	v_lshlrev_b64 v[4:5], 1, v[4:5]
	s_lshl_b64 s[4:5], s[20:21], 1
	v_add_co_u32_e32 v0, vcc, v0, v4
	s_add_u32 s4, s6, s4
	v_addc_co_u32_e32 v1, vcc, v1, v5, vcc
	s_addc_u32 s5, s7, s5
	v_mov_b32_e32 v4, s5
	v_add_co_u32_e32 v0, vcc, s4, v0
	v_addc_co_u32_e32 v1, vcc, v4, v1, vcc
	v_mad_u64_u32 v[4:5], s[6:7], s14, v6, 0
	v_mov_b32_e32 v8, v5
	v_mad_u64_u32 v[8:9], s[6:7], s15, v6, v[8:9]
	v_mov_b32_e32 v5, v8
	;; [unrolled: 2-line block ×4, first 2 shown]
	s_lshl_b64 s[4:5], s[22:23], 6
	v_lshlrev_b64 v[4:5], 1, v[4:5]
	v_lshlrev_b64 v[8:9], 1, v[8:9]
	s_lshl_b64 s[6:7], s[12:13], 1
	v_add_co_u32_e32 v4, vcc, v4, v8
	s_add_u32 s6, s10, s6
	v_addc_co_u32_e32 v5, vcc, v5, v9, vcc
	s_addc_u32 s7, s11, s7
	v_mov_b32_e32 v7, s7
	v_add_co_u32_e32 v4, vcc, s6, v4
	s_lshl_b64 s[8:9], s[14:15], 6
	v_addc_co_u32_e32 v5, vcc, v7, v5, vcc
	s_mov_b64 s[6:7], 0
	v_mov_b32_e32 v7, 0
	v_mov_b32_e32 v8, s5
	;; [unrolled: 1-line block ×4, first 2 shown]
.LBB343_3:                              ; =>This Inner Loop Header: Depth=1
	global_load_ushort v11, v[0:1], off
	global_load_ushort v12, v[4:5], off
	v_add_co_u32_e32 v0, vcc, s4, v0
	v_addc_co_u32_e32 v1, vcc, v1, v8, vcc
	v_add_co_u32_e32 v4, vcc, s8, v4
	v_add_u32_e32 v10, 32, v10
	v_addc_co_u32_e32 v5, vcc, v5, v9, vcc
	v_cmp_le_i32_e32 vcc, s16, v10
	s_or_b64 s[6:7], vcc, s[6:7]
	s_waitcnt vmcnt(0)
	v_fma_f16 v7, v11, v12, v7
	s_andn2_b64 exec, exec, s[6:7]
	s_cbranch_execnz .LBB343_3
; %bb.4:
	s_or_b64 exec, exec, s[6:7]
.LBB343_5:
	s_or_b64 exec, exec, s[2:3]
	v_mbcnt_lo_u32_b32 v0, -1, 0
	v_mbcnt_hi_u32_b32 v1, -1, v0
	v_and_b32_e32 v4, 63, v1
	v_cmp_gt_u32_e32 vcc, 48, v4
	v_cndmask_b32_e64 v5, 0, 1, vcc
	v_lshlrev_b32_e32 v5, 4, v5
	v_and_b32_e32 v0, 0xffff, v7
	v_add_lshl_u32 v5, v5, v1, 2
	ds_bpermute_b32 v0, v5, v0
	v_cmp_gt_u32_e32 vcc, 56, v4
	s_mov_b32 s2, 0xffff0000
	s_waitcnt lgkmcnt(0)
	s_barrier
	v_add_f16_e32 v5, v7, v0
	v_cndmask_b32_e64 v7, 0, 1, vcc
	v_lshlrev_b32_e32 v7, 3, v7
	v_and_or_b32 v0, v0, s2, v5
	v_add_lshl_u32 v7, v7, v1, 2
	ds_bpermute_b32 v0, v7, v0
	v_cmp_gt_u32_e32 vcc, 60, v4
	v_cndmask_b32_e64 v7, 0, 1, vcc
	v_lshlrev_b32_e32 v7, 2, v7
	v_add_lshl_u32 v7, v7, v1, 2
	s_waitcnt lgkmcnt(0)
	v_add_f16_e32 v5, v5, v0
	v_and_or_b32 v0, v0, s2, v5
	ds_bpermute_b32 v0, v7, v0
	v_cmp_gt_u32_e32 vcc, 62, v4
	v_cndmask_b32_e64 v7, 0, 1, vcc
	v_lshlrev_b32_e32 v7, 1, v7
	v_add_lshl_u32 v7, v7, v1, 2
	s_waitcnt lgkmcnt(0)
	v_add_f16_e32 v5, v5, v0
	v_and_or_b32 v0, v0, s2, v5
	ds_bpermute_b32 v7, v7, v0
	v_cmp_ne_u32_e32 vcc, 63, v4
	v_addc_co_u32_e32 v1, vcc, 0, v1, vcc
	v_lshlrev_b32_e32 v1, 2, v1
	s_waitcnt lgkmcnt(0)
	v_add_f16_e32 v0, v5, v7
	v_and_or_b32 v5, v7, s2, v0
	ds_bpermute_b32 v1, v1, v5
	v_cmp_eq_u32_e32 vcc, 0, v6
	s_waitcnt lgkmcnt(0)
	s_and_b64 exec, exec, vcc
	s_cbranch_execz .LBB343_7
; %bb.6:
	v_add_f16_e32 v0, v0, v1
	v_cvt_f32_f16_e32 v5, v0
	v_lshlrev_b64 v[2:3], 2, v[2:3]
	v_mov_b32_e32 v4, s1
	v_add_co_u32_e32 v0, vcc, s0, v2
	v_addc_co_u32_e32 v1, vcc, v4, v3, vcc
	global_store_dword v[0:1], v5, off
.LBB343_7:
	s_endpgm
	.section	.rodata,"a",@progbits
	.p2align	6, 0x0
	.amdhsa_kernel _ZL28rocblas_dot_batched_4_kernelIlLi32ELi4ELb0EDF16_fPKDF16_EviT5_lT_lS2_lS3_liPT4_
		.amdhsa_group_segment_fixed_size 0
		.amdhsa_private_segment_fixed_size 0
		.amdhsa_kernarg_size 88
		.amdhsa_user_sgpr_count 6
		.amdhsa_user_sgpr_private_segment_buffer 1
		.amdhsa_user_sgpr_dispatch_ptr 0
		.amdhsa_user_sgpr_queue_ptr 0
		.amdhsa_user_sgpr_kernarg_segment_ptr 1
		.amdhsa_user_sgpr_dispatch_id 0
		.amdhsa_user_sgpr_flat_scratch_init 0
		.amdhsa_user_sgpr_kernarg_preload_length 0
		.amdhsa_user_sgpr_kernarg_preload_offset 0
		.amdhsa_user_sgpr_private_segment_size 0
		.amdhsa_uses_dynamic_stack 0
		.amdhsa_system_sgpr_private_segment_wavefront_offset 0
		.amdhsa_system_sgpr_workgroup_id_x 1
		.amdhsa_system_sgpr_workgroup_id_y 0
		.amdhsa_system_sgpr_workgroup_id_z 0
		.amdhsa_system_sgpr_workgroup_info 0
		.amdhsa_system_vgpr_workitem_id 1
		.amdhsa_next_free_vgpr 13
		.amdhsa_next_free_sgpr 24
		.amdhsa_accum_offset 16
		.amdhsa_reserve_vcc 1
		.amdhsa_reserve_flat_scratch 0
		.amdhsa_float_round_mode_32 0
		.amdhsa_float_round_mode_16_64 0
		.amdhsa_float_denorm_mode_32 3
		.amdhsa_float_denorm_mode_16_64 3
		.amdhsa_dx10_clamp 1
		.amdhsa_ieee_mode 1
		.amdhsa_fp16_overflow 0
		.amdhsa_tg_split 0
		.amdhsa_exception_fp_ieee_invalid_op 0
		.amdhsa_exception_fp_denorm_src 0
		.amdhsa_exception_fp_ieee_div_zero 0
		.amdhsa_exception_fp_ieee_overflow 0
		.amdhsa_exception_fp_ieee_underflow 0
		.amdhsa_exception_fp_ieee_inexact 0
		.amdhsa_exception_int_div_zero 0
	.end_amdhsa_kernel
	.section	.text._ZL28rocblas_dot_batched_4_kernelIlLi32ELi4ELb0EDF16_fPKDF16_EviT5_lT_lS2_lS3_liPT4_,"axG",@progbits,_ZL28rocblas_dot_batched_4_kernelIlLi32ELi4ELb0EDF16_fPKDF16_EviT5_lT_lS2_lS3_liPT4_,comdat
.Lfunc_end343:
	.size	_ZL28rocblas_dot_batched_4_kernelIlLi32ELi4ELb0EDF16_fPKDF16_EviT5_lT_lS2_lS3_liPT4_, .Lfunc_end343-_ZL28rocblas_dot_batched_4_kernelIlLi32ELi4ELb0EDF16_fPKDF16_EviT5_lT_lS2_lS3_liPT4_
                                        ; -- End function
	.section	.AMDGPU.csdata,"",@progbits
; Kernel info:
; codeLenInByte = 724
; NumSgprs: 28
; NumVgprs: 13
; NumAgprs: 0
; TotalNumVgprs: 13
; ScratchSize: 0
; MemoryBound: 0
; FloatMode: 240
; IeeeMode: 1
; LDSByteSize: 0 bytes/workgroup (compile time only)
; SGPRBlocks: 3
; VGPRBlocks: 1
; NumSGPRsForWavesPerEU: 28
; NumVGPRsForWavesPerEU: 13
; AccumOffset: 16
; Occupancy: 8
; WaveLimiterHint : 0
; COMPUTE_PGM_RSRC2:SCRATCH_EN: 0
; COMPUTE_PGM_RSRC2:USER_SGPR: 6
; COMPUTE_PGM_RSRC2:TRAP_HANDLER: 0
; COMPUTE_PGM_RSRC2:TGID_X_EN: 1
; COMPUTE_PGM_RSRC2:TGID_Y_EN: 0
; COMPUTE_PGM_RSRC2:TGID_Z_EN: 0
; COMPUTE_PGM_RSRC2:TIDIG_COMP_CNT: 1
; COMPUTE_PGM_RSRC3_GFX90A:ACCUM_OFFSET: 3
; COMPUTE_PGM_RSRC3_GFX90A:TG_SPLIT: 0
	.section	.text._ZL28rocblas_dot_batched_4_kernelIlLi64ELi4ELb0EDF16_fPKDF16_EviT5_lT_lS2_lS3_liPT4_,"axG",@progbits,_ZL28rocblas_dot_batched_4_kernelIlLi64ELi4ELb0EDF16_fPKDF16_EviT5_lT_lS2_lS3_liPT4_,comdat
	.globl	_ZL28rocblas_dot_batched_4_kernelIlLi64ELi4ELb0EDF16_fPKDF16_EviT5_lT_lS2_lS3_liPT4_ ; -- Begin function _ZL28rocblas_dot_batched_4_kernelIlLi64ELi4ELb0EDF16_fPKDF16_EviT5_lT_lS2_lS3_liPT4_
	.p2align	8
	.type	_ZL28rocblas_dot_batched_4_kernelIlLi64ELi4ELb0EDF16_fPKDF16_EviT5_lT_lS2_lS3_liPT4_,@function
_ZL28rocblas_dot_batched_4_kernelIlLi64ELi4ELb0EDF16_fPKDF16_EviT5_lT_lS2_lS3_liPT4_: ; @_ZL28rocblas_dot_batched_4_kernelIlLi64ELi4ELb0EDF16_fPKDF16_EviT5_lT_lS2_lS3_liPT4_
; %bb.0:
	s_load_dword s0, s[4:5], 0x48
	v_bfe_u32 v1, v0, 10, 10
	v_lshl_add_u32 v2, s6, 2, v1
	s_waitcnt lgkmcnt(0)
	v_cmp_gt_u32_e32 vcc, s0, v2
	s_and_saveexec_b64 s[0:1], vcc
	s_cbranch_execz .LBB344_7
; %bb.1:
	s_load_dword s16, s[4:5], 0x0
	s_load_dwordx2 s[0:1], s[4:5], 0x50
	v_mov_b32_e32 v3, 0
	v_and_b32_e32 v6, 0x3ff, v0
	v_mov_b32_e32 v7, v3
	s_waitcnt lgkmcnt(0)
	v_cmp_gt_i32_e32 vcc, s16, v6
	s_and_saveexec_b64 s[2:3], vcc
	s_cbranch_execz .LBB344_5
; %bb.2:
	s_load_dwordx4 s[20:23], s[4:5], 0x10
	s_load_dwordx2 s[6:7], s[4:5], 0x8
	s_load_dwordx8 s[8:15], s[4:5], 0x20
	s_load_dwordx2 s[18:19], s[4:5], 0x40
	s_waitcnt lgkmcnt(0)
	v_mad_u64_u32 v[0:1], s[4:5], s22, v6, 0
	v_mov_b32_e32 v4, v1
	v_mad_u64_u32 v[4:5], s[4:5], s23, v6, v[4:5]
	v_mov_b32_e32 v1, v4
	v_mad_u64_u32 v[4:5], s[4:5], s8, v2, 0
	v_mov_b32_e32 v8, v5
	v_mad_u64_u32 v[8:9], s[4:5], s9, v2, v[8:9]
	v_mov_b32_e32 v5, v8
	v_lshlrev_b64 v[0:1], 1, v[0:1]
	v_lshlrev_b64 v[4:5], 1, v[4:5]
	s_lshl_b64 s[4:5], s[20:21], 1
	v_add_co_u32_e32 v0, vcc, v0, v4
	s_add_u32 s4, s6, s4
	v_addc_co_u32_e32 v1, vcc, v1, v5, vcc
	s_addc_u32 s5, s7, s5
	v_mov_b32_e32 v4, s5
	v_add_co_u32_e32 v0, vcc, s4, v0
	v_addc_co_u32_e32 v1, vcc, v4, v1, vcc
	v_mad_u64_u32 v[4:5], s[6:7], s14, v6, 0
	v_mov_b32_e32 v8, v5
	v_mad_u64_u32 v[8:9], s[6:7], s15, v6, v[8:9]
	v_mov_b32_e32 v5, v8
	;; [unrolled: 2-line block ×4, first 2 shown]
	s_lshl_b64 s[4:5], s[22:23], 7
	v_lshlrev_b64 v[4:5], 1, v[4:5]
	v_lshlrev_b64 v[8:9], 1, v[8:9]
	s_lshl_b64 s[6:7], s[12:13], 1
	v_add_co_u32_e32 v4, vcc, v4, v8
	s_add_u32 s6, s10, s6
	v_addc_co_u32_e32 v5, vcc, v5, v9, vcc
	s_addc_u32 s7, s11, s7
	v_mov_b32_e32 v7, s7
	v_add_co_u32_e32 v4, vcc, s6, v4
	s_lshl_b64 s[8:9], s[14:15], 7
	v_addc_co_u32_e32 v5, vcc, v7, v5, vcc
	s_mov_b64 s[6:7], 0
	v_mov_b32_e32 v7, 0
	v_mov_b32_e32 v8, s5
	;; [unrolled: 1-line block ×4, first 2 shown]
.LBB344_3:                              ; =>This Inner Loop Header: Depth=1
	global_load_ushort v11, v[0:1], off
	global_load_ushort v12, v[4:5], off
	v_add_co_u32_e32 v0, vcc, s4, v0
	v_addc_co_u32_e32 v1, vcc, v1, v8, vcc
	v_add_co_u32_e32 v4, vcc, s8, v4
	v_add_u32_e32 v10, 64, v10
	v_addc_co_u32_e32 v5, vcc, v5, v9, vcc
	v_cmp_le_i32_e32 vcc, s16, v10
	s_or_b64 s[6:7], vcc, s[6:7]
	s_waitcnt vmcnt(0)
	v_fma_f16 v7, v11, v12, v7
	s_andn2_b64 exec, exec, s[6:7]
	s_cbranch_execnz .LBB344_3
; %bb.4:
	s_or_b64 exec, exec, s[6:7]
.LBB344_5:
	s_or_b64 exec, exec, s[2:3]
	v_mbcnt_lo_u32_b32 v0, -1, 0
	v_mbcnt_hi_u32_b32 v1, -1, v0
	v_and_b32_e32 v4, 63, v1
	v_cmp_gt_u32_e32 vcc, 32, v4
	v_cndmask_b32_e64 v5, 0, 1, vcc
	v_lshlrev_b32_e32 v5, 5, v5
	v_and_b32_e32 v0, 0xffff, v7
	v_add_lshl_u32 v5, v5, v1, 2
	ds_bpermute_b32 v0, v5, v0
	v_cmp_gt_u32_e32 vcc, 48, v4
	s_mov_b32 s2, 0xffff0000
	s_waitcnt lgkmcnt(0)
	s_barrier
	v_add_f16_e32 v5, v7, v0
	v_cndmask_b32_e64 v7, 0, 1, vcc
	v_lshlrev_b32_e32 v7, 4, v7
	v_and_or_b32 v0, v0, s2, v5
	v_add_lshl_u32 v7, v7, v1, 2
	ds_bpermute_b32 v0, v7, v0
	v_cmp_gt_u32_e32 vcc, 56, v4
	v_cndmask_b32_e64 v7, 0, 1, vcc
	v_lshlrev_b32_e32 v7, 3, v7
	v_add_lshl_u32 v7, v7, v1, 2
	s_waitcnt lgkmcnt(0)
	v_add_f16_e32 v5, v5, v0
	v_and_or_b32 v0, v0, s2, v5
	ds_bpermute_b32 v0, v7, v0
	v_cmp_gt_u32_e32 vcc, 60, v4
	v_cndmask_b32_e64 v7, 0, 1, vcc
	v_lshlrev_b32_e32 v7, 2, v7
	v_add_lshl_u32 v7, v7, v1, 2
	s_waitcnt lgkmcnt(0)
	v_add_f16_e32 v5, v5, v0
	v_and_or_b32 v0, v0, s2, v5
	;; [unrolled: 8-line block ×3, first 2 shown]
	ds_bpermute_b32 v7, v7, v0
	v_cmp_ne_u32_e32 vcc, 63, v4
	v_addc_co_u32_e32 v1, vcc, 0, v1, vcc
	v_lshlrev_b32_e32 v1, 2, v1
	s_waitcnt lgkmcnt(0)
	v_add_f16_e32 v0, v5, v7
	v_and_or_b32 v5, v7, s2, v0
	ds_bpermute_b32 v1, v1, v5
	v_cmp_eq_u32_e32 vcc, 0, v6
	s_waitcnt lgkmcnt(0)
	s_and_b64 exec, exec, vcc
	s_cbranch_execz .LBB344_7
; %bb.6:
	v_add_f16_e32 v0, v0, v1
	v_cvt_f32_f16_e32 v5, v0
	v_lshlrev_b64 v[2:3], 2, v[2:3]
	v_mov_b32_e32 v4, s1
	v_add_co_u32_e32 v0, vcc, s0, v2
	v_addc_co_u32_e32 v1, vcc, v4, v3, vcc
	global_store_dword v[0:1], v5, off
.LBB344_7:
	s_endpgm
	.section	.rodata,"a",@progbits
	.p2align	6, 0x0
	.amdhsa_kernel _ZL28rocblas_dot_batched_4_kernelIlLi64ELi4ELb0EDF16_fPKDF16_EviT5_lT_lS2_lS3_liPT4_
		.amdhsa_group_segment_fixed_size 0
		.amdhsa_private_segment_fixed_size 0
		.amdhsa_kernarg_size 88
		.amdhsa_user_sgpr_count 6
		.amdhsa_user_sgpr_private_segment_buffer 1
		.amdhsa_user_sgpr_dispatch_ptr 0
		.amdhsa_user_sgpr_queue_ptr 0
		.amdhsa_user_sgpr_kernarg_segment_ptr 1
		.amdhsa_user_sgpr_dispatch_id 0
		.amdhsa_user_sgpr_flat_scratch_init 0
		.amdhsa_user_sgpr_kernarg_preload_length 0
		.amdhsa_user_sgpr_kernarg_preload_offset 0
		.amdhsa_user_sgpr_private_segment_size 0
		.amdhsa_uses_dynamic_stack 0
		.amdhsa_system_sgpr_private_segment_wavefront_offset 0
		.amdhsa_system_sgpr_workgroup_id_x 1
		.amdhsa_system_sgpr_workgroup_id_y 0
		.amdhsa_system_sgpr_workgroup_id_z 0
		.amdhsa_system_sgpr_workgroup_info 0
		.amdhsa_system_vgpr_workitem_id 1
		.amdhsa_next_free_vgpr 13
		.amdhsa_next_free_sgpr 24
		.amdhsa_accum_offset 16
		.amdhsa_reserve_vcc 1
		.amdhsa_reserve_flat_scratch 0
		.amdhsa_float_round_mode_32 0
		.amdhsa_float_round_mode_16_64 0
		.amdhsa_float_denorm_mode_32 3
		.amdhsa_float_denorm_mode_16_64 3
		.amdhsa_dx10_clamp 1
		.amdhsa_ieee_mode 1
		.amdhsa_fp16_overflow 0
		.amdhsa_tg_split 0
		.amdhsa_exception_fp_ieee_invalid_op 0
		.amdhsa_exception_fp_denorm_src 0
		.amdhsa_exception_fp_ieee_div_zero 0
		.amdhsa_exception_fp_ieee_overflow 0
		.amdhsa_exception_fp_ieee_underflow 0
		.amdhsa_exception_fp_ieee_inexact 0
		.amdhsa_exception_int_div_zero 0
	.end_amdhsa_kernel
	.section	.text._ZL28rocblas_dot_batched_4_kernelIlLi64ELi4ELb0EDF16_fPKDF16_EviT5_lT_lS2_lS3_liPT4_,"axG",@progbits,_ZL28rocblas_dot_batched_4_kernelIlLi64ELi4ELb0EDF16_fPKDF16_EviT5_lT_lS2_lS3_liPT4_,comdat
.Lfunc_end344:
	.size	_ZL28rocblas_dot_batched_4_kernelIlLi64ELi4ELb0EDF16_fPKDF16_EviT5_lT_lS2_lS3_liPT4_, .Lfunc_end344-_ZL28rocblas_dot_batched_4_kernelIlLi64ELi4ELb0EDF16_fPKDF16_EviT5_lT_lS2_lS3_liPT4_
                                        ; -- End function
	.section	.AMDGPU.csdata,"",@progbits
; Kernel info:
; codeLenInByte = 772
; NumSgprs: 28
; NumVgprs: 13
; NumAgprs: 0
; TotalNumVgprs: 13
; ScratchSize: 0
; MemoryBound: 0
; FloatMode: 240
; IeeeMode: 1
; LDSByteSize: 0 bytes/workgroup (compile time only)
; SGPRBlocks: 3
; VGPRBlocks: 1
; NumSGPRsForWavesPerEU: 28
; NumVGPRsForWavesPerEU: 13
; AccumOffset: 16
; Occupancy: 8
; WaveLimiterHint : 0
; COMPUTE_PGM_RSRC2:SCRATCH_EN: 0
; COMPUTE_PGM_RSRC2:USER_SGPR: 6
; COMPUTE_PGM_RSRC2:TRAP_HANDLER: 0
; COMPUTE_PGM_RSRC2:TGID_X_EN: 1
; COMPUTE_PGM_RSRC2:TGID_Y_EN: 0
; COMPUTE_PGM_RSRC2:TGID_Z_EN: 0
; COMPUTE_PGM_RSRC2:TIDIG_COMP_CNT: 1
; COMPUTE_PGM_RSRC3_GFX90A:ACCUM_OFFSET: 3
; COMPUTE_PGM_RSRC3_GFX90A:TG_SPLIT: 0
	.section	.text._ZL26rocblas_dot_kernel_inc1by2ILb1ELi1024ELi32ELb0EfPKDF16_DF16_EviT4_llS2_lliPT5_PT3_,"axG",@progbits,_ZL26rocblas_dot_kernel_inc1by2ILb1ELi1024ELi32ELb0EfPKDF16_DF16_EviT4_llS2_lliPT5_PT3_,comdat
	.globl	_ZL26rocblas_dot_kernel_inc1by2ILb1ELi1024ELi32ELb0EfPKDF16_DF16_EviT4_llS2_lliPT5_PT3_ ; -- Begin function _ZL26rocblas_dot_kernel_inc1by2ILb1ELi1024ELi32ELb0EfPKDF16_DF16_EviT4_llS2_lliPT5_PT3_
	.p2align	8
	.type	_ZL26rocblas_dot_kernel_inc1by2ILb1ELi1024ELi32ELb0EfPKDF16_DF16_EviT4_llS2_lliPT5_PT3_,@function
_ZL26rocblas_dot_kernel_inc1by2ILb1ELi1024ELi32ELb0EfPKDF16_DF16_EviT4_llS2_lliPT5_PT3_: ; @_ZL26rocblas_dot_kernel_inc1by2ILb1ELi1024ELi32ELb0EfPKDF16_DF16_EviT4_llS2_lliPT5_PT3_
; %bb.0:
	s_mov_b32 s2, s7
	s_load_dword s24, s[4:5], 0x0
	s_load_dwordx2 s[18:19], s[4:5], 0x8
	s_load_dwordx4 s[12:15], s[4:5], 0x10
	s_load_dwordx2 s[16:17], s[4:5], 0x20
	s_load_dwordx2 s[6:7], s[4:5], 0x48
	s_load_dwordx4 s[8:11], s[4:5], 0x28
	v_lshlrev_b32_e32 v6, 1, v0
	s_waitcnt lgkmcnt(0)
	s_mul_i32 s0, s2, s15
	s_mul_hi_u32 s1, s2, s14
	s_add_i32 s15, s1, s0
	s_mul_i32 s0, s2, s11
	s_mul_hi_u32 s1, s2, s10
	s_add_i32 s4, s24, -1
	s_mov_b32 s3, 0
	s_mul_i32 s14, s2, s14
	s_add_i32 s11, s1, s0
	s_mul_i32 s10, s2, s10
	v_cmp_gt_i32_e32 vcc, s4, v6
	v_mov_b32_e32 v1, 0
	s_and_saveexec_b64 s[20:21], vcc
	s_cbranch_execz .LBB345_4
; %bb.1:
	s_lshl_b64 s[0:1], s[10:11], 1
	s_lshl_b64 s[22:23], s[8:9], 1
	s_add_u32 s5, s16, s22
	s_addc_u32 s22, s17, s23
	s_add_u32 s0, s5, s0
	v_lshlrev_b32_e32 v4, 2, v0
	s_addc_u32 s1, s22, s1
	v_mov_b32_e32 v3, s1
	v_add_co_u32_e32 v2, vcc, s0, v4
	s_lshl_b64 s[0:1], s[14:15], 1
	s_lshl_b64 s[22:23], s[12:13], 1
	s_add_u32 s5, s18, s22
	s_addc_u32 s22, s19, s23
	s_add_u32 s0, s5, s0
	v_addc_co_u32_e32 v3, vcc, 0, v3, vcc
	s_addc_u32 s1, s22, s1
	v_mov_b32_e32 v5, s1
	v_add_co_u32_e32 v4, vcc, s0, v4
	v_mov_b32_e32 v1, 0
	v_addc_co_u32_e32 v5, vcc, 0, v5, vcc
	s_mov_b64 s[22:23], 0
	s_mov_b32 s5, s3
.LBB345_2:                              ; =>This Inner Loop Header: Depth=1
	global_load_dword v7, v[2:3], off
	global_load_dword v8, v[4:5], off
	s_add_i32 s25, s5, 1
	v_add_u32_e32 v6, 0x800, v6
	s_cmp_gt_u32 s5, 30
	v_add_co_u32_e32 v2, vcc, 0x1000, v2
	v_cmp_le_i32_e64 s[0:1], s4, v6
	s_cselect_b64 s[26:27], -1, 0
	v_addc_co_u32_e32 v3, vcc, 0, v3, vcc
	s_or_b64 s[0:1], s[26:27], s[0:1]
	v_add_co_u32_e32 v4, vcc, 0x1000, v4
	s_and_b64 s[0:1], exec, s[0:1]
	s_mov_b32 s5, s25
	v_addc_co_u32_e32 v5, vcc, 0, v5, vcc
	s_or_b64 s[22:23], s[0:1], s[22:23]
	s_waitcnt vmcnt(0)
	v_pk_mul_f16 v7, v7, v8
	v_add_f16_e32 v1, v1, v7
	v_add_f16_sdwa v1, v1, v7 dst_sel:DWORD dst_unused:UNUSED_PAD src0_sel:DWORD src1_sel:WORD_1
	s_andn2_b64 exec, exec, s[22:23]
	s_cbranch_execnz .LBB345_2
; %bb.3:
	s_or_b64 exec, exec, s[22:23]
.LBB345_4:
	s_or_b64 exec, exec, s[20:21]
	s_bitcmp1_b32 s24, 0
	s_cselect_b64 s[0:1], -1, 0
	v_cmp_eq_u32_e32 vcc, s4, v6
	s_and_b64 s[20:21], s[0:1], vcc
	s_and_saveexec_b64 s[0:1], s[20:21]
	s_cbranch_execz .LBB345_6
; %bb.5:
	s_lshl_b64 s[14:15], s[14:15], 1
	s_add_u32 s5, s18, s14
	s_addc_u32 s14, s19, s15
	s_lshl_b64 s[12:13], s[12:13], 1
	s_add_u32 s12, s5, s12
	s_addc_u32 s13, s14, s13
	;; [unrolled: 3-line block ×3, first 2 shown]
	s_lshl_b64 s[8:9], s[8:9], 1
	s_add_u32 s11, s5, s8
	s_mov_b32 s5, 0
	s_addc_u32 s10, s10, s9
	s_lshl_b64 s[4:5], s[4:5], 1
	s_add_u32 s8, s12, s4
	s_addc_u32 s9, s13, s5
	s_add_u32 s4, s11, s4
	v_mov_b32_e32 v2, 0
	s_addc_u32 s5, s10, s5
	global_load_ushort v3, v2, s[4:5]
	global_load_ushort v4, v2, s[8:9]
	s_waitcnt vmcnt(0)
	v_fma_f16 v1, v3, v4, v1
.LBB345_6:
	s_or_b64 exec, exec, s[0:1]
	v_and_b32_e32 v3, 63, v0
	v_cmp_gt_u32_e32 vcc, 64, v0
	v_lshlrev_b32_e32 v2, 1, v3
	s_and_saveexec_b64 s[0:1], vcc
	s_cbranch_execz .LBB345_8
; %bb.7:
	v_mov_b32_e32 v4, 0
	ds_write_b16 v2, v4
.LBB345_8:
	s_or_b64 exec, exec, s[0:1]
	v_mbcnt_lo_u32_b32 v4, -1, 0
	v_mbcnt_hi_u32_b32 v6, -1, v4
	v_and_b32_e32 v8, 63, v6
	v_cmp_gt_u32_e64 s[0:1], 32, v8
	v_cndmask_b32_e64 v5, 0, 1, s[0:1]
	v_lshlrev_b32_e32 v5, 5, v5
	v_and_b32_e32 v4, 0xffff, v1
	v_add_lshl_u32 v5, v5, v6, 2
	ds_bpermute_b32 v4, v5, v4
	v_cmp_gt_u32_e64 s[0:1], 48, v8
	v_cndmask_b32_e64 v5, 0, 1, s[0:1]
	s_mov_b32 s4, 0xffff0000
	v_lshlrev_b32_e32 v5, 4, v5
	s_waitcnt lgkmcnt(0)
	v_add_f16_e32 v1, v1, v4
	v_and_or_b32 v4, v4, s4, v1
	v_add_lshl_u32 v5, v5, v6, 2
	ds_bpermute_b32 v4, v5, v4
	v_cmp_gt_u32_e64 s[0:1], 56, v8
	s_waitcnt lgkmcnt(0)
	s_barrier
	v_add_f16_e32 v5, v1, v4
	v_cndmask_b32_e64 v1, 0, 1, s[0:1]
	v_lshlrev_b32_e32 v1, 3, v1
	v_and_or_b32 v4, v4, s4, v5
	v_add_lshl_u32 v1, v1, v6, 2
	ds_bpermute_b32 v4, v1, v4
	v_cmp_gt_u32_e64 s[0:1], 60, v8
	s_waitcnt lgkmcnt(0)
	v_add_f16_e32 v5, v5, v4
	v_and_or_b32 v7, v4, s4, v5
	v_cndmask_b32_e64 v4, 0, 1, s[0:1]
	v_lshlrev_b32_e32 v4, 2, v4
	v_add_lshl_u32 v4, v4, v6, 2
	ds_bpermute_b32 v7, v4, v7
	v_cmp_gt_u32_e64 s[0:1], 62, v8
	s_waitcnt lgkmcnt(0)
	v_add_f16_e32 v9, v5, v7
	v_cndmask_b32_e64 v5, 0, 1, s[0:1]
	v_lshlrev_b32_e32 v5, 1, v5
	v_and_or_b32 v7, v7, s4, v9
	v_add_lshl_u32 v5, v5, v6, 2
	ds_bpermute_b32 v10, v5, v7
	v_cmp_ne_u32_e64 s[0:1], 63, v8
	v_addc_co_u32_e64 v6, s[0:1], 0, v6, s[0:1]
	v_lshlrev_b32_e32 v6, 2, v6
	s_waitcnt lgkmcnt(0)
	v_add_f16_e32 v7, v9, v10
	v_and_or_b32 v9, v10, s4, v7
	ds_bpermute_b32 v8, v6, v9
	v_cmp_eq_u32_e64 s[0:1], 0, v3
	s_and_saveexec_b64 s[4:5], s[0:1]
	s_cbranch_execz .LBB345_10
; %bb.9:
	s_waitcnt lgkmcnt(0)
	v_add_f16_e32 v3, v7, v8
	v_lshrrev_b32_e32 v7, 5, v0
	v_and_b32_e32 v7, 30, v7
	ds_write_b16 v7, v3
.LBB345_10:
	s_or_b64 exec, exec, s[4:5]
	v_cmp_gt_u32_e64 s[0:1], 16, v0
	v_mov_b32_e32 v3, 0
	s_waitcnt lgkmcnt(0)
	s_barrier
	s_and_saveexec_b64 s[4:5], s[0:1]
	s_cbranch_execnz .LBB345_14
; %bb.11:
	s_or_b64 exec, exec, s[4:5]
	s_and_saveexec_b64 s[0:1], vcc
	s_cbranch_execnz .LBB345_15
.LBB345_12:
	s_or_b64 exec, exec, s[0:1]
	v_cmp_eq_u32_e32 vcc, 0, v0
	s_and_saveexec_b64 s[0:1], vcc
	s_cbranch_execnz .LBB345_16
.LBB345_13:
	s_endpgm
.LBB345_14:
	ds_read_u16 v3, v2
	s_or_b64 exec, exec, s[4:5]
	s_and_saveexec_b64 s[0:1], vcc
	s_cbranch_execz .LBB345_12
.LBB345_15:
	s_waitcnt lgkmcnt(0)
	v_and_b32_e32 v2, 0xffff, v3
	ds_bpermute_b32 v1, v1, v2
	s_mov_b32 s4, 0xffff0000
	s_waitcnt lgkmcnt(0)
	v_add_f16_e32 v2, v3, v1
	v_and_or_b32 v1, v1, s4, v2
	ds_bpermute_b32 v1, v4, v1
	s_waitcnt lgkmcnt(0)
	v_add_f16_e32 v2, v2, v1
	v_and_or_b32 v1, v1, s4, v2
	ds_bpermute_b32 v1, v5, v1
	;; [unrolled: 4-line block ×3, first 2 shown]
	s_waitcnt lgkmcnt(0)
	v_add_f16_e32 v3, v2, v1
	s_or_b64 exec, exec, s[0:1]
	v_cmp_eq_u32_e32 vcc, 0, v0
	s_and_saveexec_b64 s[0:1], vcc
	s_cbranch_execz .LBB345_13
.LBB345_16:
	s_waitcnt lgkmcnt(0)
	v_cvt_f32_f16_e32 v0, v3
	s_lshl_b64 s[0:1], s[2:3], 2
	s_add_u32 s0, s6, s0
	s_addc_u32 s1, s7, s1
	v_mov_b32_e32 v1, 0
	global_store_dword v1, v0, s[0:1]
	s_endpgm
	.section	.rodata,"a",@progbits
	.p2align	6, 0x0
	.amdhsa_kernel _ZL26rocblas_dot_kernel_inc1by2ILb1ELi1024ELi32ELb0EfPKDF16_DF16_EviT4_llS2_lliPT5_PT3_
		.amdhsa_group_segment_fixed_size 128
		.amdhsa_private_segment_fixed_size 0
		.amdhsa_kernarg_size 80
		.amdhsa_user_sgpr_count 6
		.amdhsa_user_sgpr_private_segment_buffer 1
		.amdhsa_user_sgpr_dispatch_ptr 0
		.amdhsa_user_sgpr_queue_ptr 0
		.amdhsa_user_sgpr_kernarg_segment_ptr 1
		.amdhsa_user_sgpr_dispatch_id 0
		.amdhsa_user_sgpr_flat_scratch_init 0
		.amdhsa_user_sgpr_kernarg_preload_length 0
		.amdhsa_user_sgpr_kernarg_preload_offset 0
		.amdhsa_user_sgpr_private_segment_size 0
		.amdhsa_uses_dynamic_stack 0
		.amdhsa_system_sgpr_private_segment_wavefront_offset 0
		.amdhsa_system_sgpr_workgroup_id_x 1
		.amdhsa_system_sgpr_workgroup_id_y 0
		.amdhsa_system_sgpr_workgroup_id_z 1
		.amdhsa_system_sgpr_workgroup_info 0
		.amdhsa_system_vgpr_workitem_id 0
		.amdhsa_next_free_vgpr 11
		.amdhsa_next_free_sgpr 28
		.amdhsa_accum_offset 12
		.amdhsa_reserve_vcc 1
		.amdhsa_reserve_flat_scratch 0
		.amdhsa_float_round_mode_32 0
		.amdhsa_float_round_mode_16_64 0
		.amdhsa_float_denorm_mode_32 3
		.amdhsa_float_denorm_mode_16_64 3
		.amdhsa_dx10_clamp 1
		.amdhsa_ieee_mode 1
		.amdhsa_fp16_overflow 0
		.amdhsa_tg_split 0
		.amdhsa_exception_fp_ieee_invalid_op 0
		.amdhsa_exception_fp_denorm_src 0
		.amdhsa_exception_fp_ieee_div_zero 0
		.amdhsa_exception_fp_ieee_overflow 0
		.amdhsa_exception_fp_ieee_underflow 0
		.amdhsa_exception_fp_ieee_inexact 0
		.amdhsa_exception_int_div_zero 0
	.end_amdhsa_kernel
	.section	.text._ZL26rocblas_dot_kernel_inc1by2ILb1ELi1024ELi32ELb0EfPKDF16_DF16_EviT4_llS2_lliPT5_PT3_,"axG",@progbits,_ZL26rocblas_dot_kernel_inc1by2ILb1ELi1024ELi32ELb0EfPKDF16_DF16_EviT4_llS2_lliPT5_PT3_,comdat
.Lfunc_end345:
	.size	_ZL26rocblas_dot_kernel_inc1by2ILb1ELi1024ELi32ELb0EfPKDF16_DF16_EviT4_llS2_lliPT5_PT3_, .Lfunc_end345-_ZL26rocblas_dot_kernel_inc1by2ILb1ELi1024ELi32ELb0EfPKDF16_DF16_EviT4_llS2_lliPT5_PT3_
                                        ; -- End function
	.section	.AMDGPU.csdata,"",@progbits
; Kernel info:
; codeLenInByte = 1108
; NumSgprs: 32
; NumVgprs: 11
; NumAgprs: 0
; TotalNumVgprs: 11
; ScratchSize: 0
; MemoryBound: 0
; FloatMode: 240
; IeeeMode: 1
; LDSByteSize: 128 bytes/workgroup (compile time only)
; SGPRBlocks: 3
; VGPRBlocks: 1
; NumSGPRsForWavesPerEU: 32
; NumVGPRsForWavesPerEU: 11
; AccumOffset: 12
; Occupancy: 8
; WaveLimiterHint : 0
; COMPUTE_PGM_RSRC2:SCRATCH_EN: 0
; COMPUTE_PGM_RSRC2:USER_SGPR: 6
; COMPUTE_PGM_RSRC2:TRAP_HANDLER: 0
; COMPUTE_PGM_RSRC2:TGID_X_EN: 1
; COMPUTE_PGM_RSRC2:TGID_Y_EN: 0
; COMPUTE_PGM_RSRC2:TGID_Z_EN: 1
; COMPUTE_PGM_RSRC2:TIDIG_COMP_CNT: 0
; COMPUTE_PGM_RSRC3_GFX90A:ACCUM_OFFSET: 2
; COMPUTE_PGM_RSRC3_GFX90A:TG_SPLIT: 0
	.section	.text._ZL18rocblas_dot_kernelIlLb1ELi1024ELi32ELb0EfPKDF16_DF16_EviT5_lT_lS2_lS3_liPT6_PT4_,"axG",@progbits,_ZL18rocblas_dot_kernelIlLb1ELi1024ELi32ELb0EfPKDF16_DF16_EviT5_lT_lS2_lS3_liPT6_PT4_,comdat
	.globl	_ZL18rocblas_dot_kernelIlLb1ELi1024ELi32ELb0EfPKDF16_DF16_EviT5_lT_lS2_lS3_liPT6_PT4_ ; -- Begin function _ZL18rocblas_dot_kernelIlLb1ELi1024ELi32ELb0EfPKDF16_DF16_EviT5_lT_lS2_lS3_liPT6_PT4_
	.p2align	8
	.type	_ZL18rocblas_dot_kernelIlLb1ELi1024ELi32ELb0EfPKDF16_DF16_EviT5_lT_lS2_lS3_liPT6_PT4_,@function
_ZL18rocblas_dot_kernelIlLb1ELi1024ELi32ELb0EfPKDF16_DF16_EviT5_lT_lS2_lS3_liPT6_PT4_: ; @_ZL18rocblas_dot_kernelIlLb1ELi1024ELi32ELb0EfPKDF16_DF16_EviT5_lT_lS2_lS3_liPT6_PT4_
; %bb.0:
	s_mov_b32 s2, s7
	s_load_dword s18, s[4:5], 0x0
	s_load_dwordx2 s[6:7], s[4:5], 0x58
	s_mov_b32 s3, 0
	v_mov_b32_e32 v6, 0
	s_waitcnt lgkmcnt(0)
	v_cmp_gt_i32_e32 vcc, s18, v0
	s_and_saveexec_b64 s[16:17], vcc
	s_cbranch_execz .LBB346_4
; %bb.1:
	s_load_dword s19, s[4:5], 0x60
	s_load_dwordx2 s[0:1], s[4:5], 0x40
	s_load_dwordx8 s[8:15], s[4:5], 0x20
	s_load_dwordx2 s[24:25], s[4:5], 0x8
	s_load_dwordx4 s[20:23], s[4:5], 0x10
	s_waitcnt lgkmcnt(0)
	s_lshl_b32 s19, s19, 10
	s_mul_i32 s1, s1, s2
	s_mul_i32 s4, s9, s2
	s_mul_hi_u32 s5, s8, s2
	s_add_i32 s5, s5, s4
	s_mul_i32 s4, s8, s2
	v_mad_u64_u32 v[2:3], s[8:9], s22, v0, 0
	v_mov_b32_e32 v4, v3
	v_mad_u64_u32 v[4:5], s[8:9], s23, v0, v[4:5]
	s_lshl_b64 s[4:5], s[4:5], 1
	s_lshl_b64 s[8:9], s[20:21], 1
	s_add_u32 s8, s24, s8
	s_addc_u32 s9, s25, s9
	v_mov_b32_e32 v3, v4
	s_add_u32 s4, s8, s4
	v_lshlrev_b64 v[2:3], 1, v[2:3]
	s_addc_u32 s5, s9, s5
	v_mov_b32_e32 v4, s5
	v_add_co_u32_e32 v2, vcc, s4, v2
	s_ashr_i32 s20, s19, 31
	s_mul_hi_u32 s8, s0, s2
	v_addc_co_u32_e32 v3, vcc, v4, v3, vcc
	s_mul_i32 s4, s22, s20
	s_mul_hi_u32 s5, s22, s19
	s_add_i32 s1, s8, s1
	v_mad_u64_u32 v[4:5], s[8:9], s14, v0, 0
	s_add_i32 s4, s5, s4
	s_mul_i32 s5, s23, s19
	v_mov_b32_e32 v6, v5
	s_add_i32 s5, s4, s5
	s_mul_i32 s4, s22, s19
	s_mul_i32 s0, s0, s2
	v_mad_u64_u32 v[6:7], s[8:9], s15, v0, v[6:7]
	s_lshl_b64 s[4:5], s[4:5], 1
	s_lshl_b64 s[0:1], s[0:1], 1
	;; [unrolled: 1-line block ×3, first 2 shown]
	s_add_u32 s8, s10, s8
	s_addc_u32 s9, s11, s9
	v_mov_b32_e32 v5, v6
	s_add_u32 s0, s8, s0
	v_lshlrev_b64 v[4:5], 1, v[4:5]
	s_addc_u32 s1, s9, s1
	v_mov_b32_e32 v6, s1
	v_add_co_u32_e32 v4, vcc, s0, v4
	s_mul_i32 s0, s14, s20
	s_mul_hi_u32 s1, s14, s19
	s_add_i32 s0, s1, s0
	s_mul_i32 s1, s15, s19
	s_add_i32 s1, s0, s1
	s_mul_i32 s0, s14, s19
	s_lshl_b64 s[10:11], s[0:1], 1
	v_or_b32_e32 v1, s19, v0
	v_addc_co_u32_e32 v5, vcc, v6, v5, vcc
	s_mov_b64 s[8:9], 0
	v_mov_b32_e32 v6, 0
	v_mov_b32_e32 v7, s5
	;; [unrolled: 1-line block ×3, first 2 shown]
	s_mov_b32 s5, s3
.LBB346_2:                              ; =>This Inner Loop Header: Depth=1
	global_load_ushort v9, v[4:5], off
	global_load_ushort v10, v[2:3], off
	v_add_co_u32_e64 v2, s[0:1], s4, v2
	v_addc_co_u32_e64 v3, s[0:1], v3, v7, s[0:1]
	s_add_i32 s11, s5, 1
	v_add_co_u32_e64 v4, s[0:1], s10, v4
	v_addc_co_u32_e64 v5, s[0:1], v5, v8, s[0:1]
	s_cmp_gt_u32 s5, 30
	v_cmp_le_i32_e32 vcc, s18, v1
	s_cselect_b64 s[0:1], -1, 0
	s_or_b64 s[0:1], s[0:1], vcc
	s_and_b64 s[0:1], exec, s[0:1]
	v_add_u32_e32 v1, s19, v1
	s_mov_b32 s5, s11
	s_or_b64 s[8:9], s[0:1], s[8:9]
	s_waitcnt vmcnt(0)
	v_fma_f16 v6, v9, v10, v6
	s_andn2_b64 exec, exec, s[8:9]
	s_cbranch_execnz .LBB346_2
; %bb.3:
	s_or_b64 exec, exec, s[8:9]
.LBB346_4:
	s_or_b64 exec, exec, s[16:17]
	v_and_b32_e32 v2, 63, v0
	v_cmp_gt_u32_e32 vcc, 64, v0
	v_lshlrev_b32_e32 v1, 1, v2
	s_and_saveexec_b64 s[0:1], vcc
	s_cbranch_execz .LBB346_6
; %bb.5:
	v_mov_b32_e32 v3, 0
	ds_write_b16 v1, v3
.LBB346_6:
	s_or_b64 exec, exec, s[0:1]
	v_mbcnt_lo_u32_b32 v3, -1, 0
	v_mbcnt_hi_u32_b32 v8, -1, v3
	v_and_b32_e32 v9, 63, v8
	v_cmp_gt_u32_e64 s[0:1], 32, v9
	v_cndmask_b32_e64 v4, 0, 1, s[0:1]
	v_lshlrev_b32_e32 v4, 5, v4
	v_and_b32_e32 v3, 0xffff, v6
	v_add_lshl_u32 v4, v4, v8, 2
	ds_bpermute_b32 v3, v4, v3
	v_cmp_gt_u32_e64 s[0:1], 48, v9
	v_cndmask_b32_e64 v5, 0, 1, s[0:1]
	s_mov_b32 s4, 0xffff0000
	v_lshlrev_b32_e32 v5, 4, v5
	s_waitcnt lgkmcnt(0)
	v_add_f16_e32 v4, v6, v3
	v_and_or_b32 v3, v3, s4, v4
	v_add_lshl_u32 v5, v5, v8, 2
	ds_bpermute_b32 v3, v5, v3
	v_cmp_gt_u32_e64 s[0:1], 56, v9
	s_waitcnt lgkmcnt(0)
	s_barrier
	v_add_f16_e32 v4, v4, v3
	v_and_or_b32 v5, v3, s4, v4
	v_cndmask_b32_e64 v3, 0, 1, s[0:1]
	v_lshlrev_b32_e32 v3, 3, v3
	v_add_lshl_u32 v3, v3, v8, 2
	ds_bpermute_b32 v5, v3, v5
	v_cmp_gt_u32_e64 s[0:1], 60, v9
	s_waitcnt lgkmcnt(0)
	v_add_f16_e32 v6, v4, v5
	v_cndmask_b32_e64 v4, 0, 1, s[0:1]
	v_lshlrev_b32_e32 v4, 2, v4
	v_and_or_b32 v5, v5, s4, v6
	v_add_lshl_u32 v4, v4, v8, 2
	ds_bpermute_b32 v5, v4, v5
	v_cmp_gt_u32_e64 s[0:1], 62, v9
	s_waitcnt lgkmcnt(0)
	v_add_f16_e32 v6, v6, v5
	v_and_or_b32 v7, v5, s4, v6
	v_cndmask_b32_e64 v5, 0, 1, s[0:1]
	v_lshlrev_b32_e32 v5, 1, v5
	v_add_lshl_u32 v5, v5, v8, 2
	ds_bpermute_b32 v10, v5, v7
	v_cmp_ne_u32_e64 s[0:1], 63, v9
	s_waitcnt lgkmcnt(0)
	v_add_f16_e32 v7, v6, v10
	v_addc_co_u32_e64 v6, s[0:1], 0, v8, s[0:1]
	v_and_or_b32 v10, v10, s4, v7
	v_lshlrev_b32_e32 v6, 2, v6
	ds_bpermute_b32 v8, v6, v10
	v_cmp_eq_u32_e64 s[0:1], 0, v2
	s_and_saveexec_b64 s[4:5], s[0:1]
	s_cbranch_execz .LBB346_8
; %bb.7:
	s_waitcnt lgkmcnt(0)
	v_add_f16_e32 v2, v7, v8
	v_lshrrev_b32_e32 v7, 5, v0
	v_and_b32_e32 v7, 30, v7
	ds_write_b16 v7, v2
.LBB346_8:
	s_or_b64 exec, exec, s[4:5]
	v_cmp_gt_u32_e64 s[0:1], 16, v0
	v_mov_b32_e32 v2, 0
	s_waitcnt lgkmcnt(0)
	s_barrier
	s_and_saveexec_b64 s[4:5], s[0:1]
	s_cbranch_execnz .LBB346_12
; %bb.9:
	s_or_b64 exec, exec, s[4:5]
	s_and_saveexec_b64 s[0:1], vcc
	s_cbranch_execnz .LBB346_13
.LBB346_10:
	s_or_b64 exec, exec, s[0:1]
	v_cmp_eq_u32_e32 vcc, 0, v0
	s_and_saveexec_b64 s[0:1], vcc
	s_cbranch_execnz .LBB346_14
.LBB346_11:
	s_endpgm
.LBB346_12:
	ds_read_u16 v2, v1
	s_or_b64 exec, exec, s[4:5]
	s_and_saveexec_b64 s[0:1], vcc
	s_cbranch_execz .LBB346_10
.LBB346_13:
	s_waitcnt lgkmcnt(0)
	v_and_b32_e32 v1, 0xffff, v2
	ds_bpermute_b32 v1, v3, v1
	s_mov_b32 s4, 0xffff0000
	s_waitcnt lgkmcnt(0)
	v_add_f16_e32 v2, v2, v1
	v_and_or_b32 v1, v1, s4, v2
	ds_bpermute_b32 v1, v4, v1
	s_waitcnt lgkmcnt(0)
	v_add_f16_e32 v2, v2, v1
	v_and_or_b32 v1, v1, s4, v2
	ds_bpermute_b32 v1, v5, v1
	;; [unrolled: 4-line block ×3, first 2 shown]
	s_waitcnt lgkmcnt(0)
	v_add_f16_e32 v2, v2, v1
	s_or_b64 exec, exec, s[0:1]
	v_cmp_eq_u32_e32 vcc, 0, v0
	s_and_saveexec_b64 s[0:1], vcc
	s_cbranch_execz .LBB346_11
.LBB346_14:
	s_waitcnt lgkmcnt(0)
	v_cvt_f32_f16_e32 v0, v2
	s_lshl_b64 s[0:1], s[2:3], 2
	s_add_u32 s0, s6, s0
	s_addc_u32 s1, s7, s1
	v_mov_b32_e32 v1, 0
	global_store_dword v1, v0, s[0:1]
	s_endpgm
	.section	.rodata,"a",@progbits
	.p2align	6, 0x0
	.amdhsa_kernel _ZL18rocblas_dot_kernelIlLb1ELi1024ELi32ELb0EfPKDF16_DF16_EviT5_lT_lS2_lS3_liPT6_PT4_
		.amdhsa_group_segment_fixed_size 128
		.amdhsa_private_segment_fixed_size 0
		.amdhsa_kernarg_size 352
		.amdhsa_user_sgpr_count 6
		.amdhsa_user_sgpr_private_segment_buffer 1
		.amdhsa_user_sgpr_dispatch_ptr 0
		.amdhsa_user_sgpr_queue_ptr 0
		.amdhsa_user_sgpr_kernarg_segment_ptr 1
		.amdhsa_user_sgpr_dispatch_id 0
		.amdhsa_user_sgpr_flat_scratch_init 0
		.amdhsa_user_sgpr_kernarg_preload_length 0
		.amdhsa_user_sgpr_kernarg_preload_offset 0
		.amdhsa_user_sgpr_private_segment_size 0
		.amdhsa_uses_dynamic_stack 0
		.amdhsa_system_sgpr_private_segment_wavefront_offset 0
		.amdhsa_system_sgpr_workgroup_id_x 1
		.amdhsa_system_sgpr_workgroup_id_y 0
		.amdhsa_system_sgpr_workgroup_id_z 1
		.amdhsa_system_sgpr_workgroup_info 0
		.amdhsa_system_vgpr_workitem_id 0
		.amdhsa_next_free_vgpr 11
		.amdhsa_next_free_sgpr 26
		.amdhsa_accum_offset 12
		.amdhsa_reserve_vcc 1
		.amdhsa_reserve_flat_scratch 0
		.amdhsa_float_round_mode_32 0
		.amdhsa_float_round_mode_16_64 0
		.amdhsa_float_denorm_mode_32 3
		.amdhsa_float_denorm_mode_16_64 3
		.amdhsa_dx10_clamp 1
		.amdhsa_ieee_mode 1
		.amdhsa_fp16_overflow 0
		.amdhsa_tg_split 0
		.amdhsa_exception_fp_ieee_invalid_op 0
		.amdhsa_exception_fp_denorm_src 0
		.amdhsa_exception_fp_ieee_div_zero 0
		.amdhsa_exception_fp_ieee_overflow 0
		.amdhsa_exception_fp_ieee_underflow 0
		.amdhsa_exception_fp_ieee_inexact 0
		.amdhsa_exception_int_div_zero 0
	.end_amdhsa_kernel
	.section	.text._ZL18rocblas_dot_kernelIlLb1ELi1024ELi32ELb0EfPKDF16_DF16_EviT5_lT_lS2_lS3_liPT6_PT4_,"axG",@progbits,_ZL18rocblas_dot_kernelIlLb1ELi1024ELi32ELb0EfPKDF16_DF16_EviT5_lT_lS2_lS3_liPT6_PT4_,comdat
.Lfunc_end346:
	.size	_ZL18rocblas_dot_kernelIlLb1ELi1024ELi32ELb0EfPKDF16_DF16_EviT5_lT_lS2_lS3_liPT6_PT4_, .Lfunc_end346-_ZL18rocblas_dot_kernelIlLb1ELi1024ELi32ELb0EfPKDF16_DF16_EviT5_lT_lS2_lS3_liPT6_PT4_
                                        ; -- End function
	.section	.AMDGPU.csdata,"",@progbits
; Kernel info:
; codeLenInByte = 1104
; NumSgprs: 30
; NumVgprs: 11
; NumAgprs: 0
; TotalNumVgprs: 11
; ScratchSize: 0
; MemoryBound: 0
; FloatMode: 240
; IeeeMode: 1
; LDSByteSize: 128 bytes/workgroup (compile time only)
; SGPRBlocks: 3
; VGPRBlocks: 1
; NumSGPRsForWavesPerEU: 30
; NumVGPRsForWavesPerEU: 11
; AccumOffset: 12
; Occupancy: 8
; WaveLimiterHint : 0
; COMPUTE_PGM_RSRC2:SCRATCH_EN: 0
; COMPUTE_PGM_RSRC2:USER_SGPR: 6
; COMPUTE_PGM_RSRC2:TRAP_HANDLER: 0
; COMPUTE_PGM_RSRC2:TGID_X_EN: 1
; COMPUTE_PGM_RSRC2:TGID_Y_EN: 0
; COMPUTE_PGM_RSRC2:TGID_Z_EN: 1
; COMPUTE_PGM_RSRC2:TIDIG_COMP_CNT: 0
; COMPUTE_PGM_RSRC3_GFX90A:ACCUM_OFFSET: 2
; COMPUTE_PGM_RSRC3_GFX90A:TG_SPLIT: 0
	.section	.text._ZL24rocblas_dot_kernel_magsqIlLb1ELi1024ELi32ELb0EfPKDF16_DF16_EviT5_lT_liPT6_PT4_,"axG",@progbits,_ZL24rocblas_dot_kernel_magsqIlLb1ELi1024ELi32ELb0EfPKDF16_DF16_EviT5_lT_liPT6_PT4_,comdat
	.globl	_ZL24rocblas_dot_kernel_magsqIlLb1ELi1024ELi32ELb0EfPKDF16_DF16_EviT5_lT_liPT6_PT4_ ; -- Begin function _ZL24rocblas_dot_kernel_magsqIlLb1ELi1024ELi32ELb0EfPKDF16_DF16_EviT5_lT_liPT6_PT4_
	.p2align	8
	.type	_ZL24rocblas_dot_kernel_magsqIlLb1ELi1024ELi32ELb0EfPKDF16_DF16_EviT5_lT_liPT6_PT4_,@function
_ZL24rocblas_dot_kernel_magsqIlLb1ELi1024ELi32ELb0EfPKDF16_DF16_EviT5_lT_liPT6_PT4_: ; @_ZL24rocblas_dot_kernel_magsqIlLb1ELi1024ELi32ELb0EfPKDF16_DF16_EviT5_lT_liPT6_PT4_
; %bb.0:
	s_mov_b32 s2, s7
	s_load_dword s12, s[4:5], 0x0
	s_load_dwordx2 s[6:7], s[4:5], 0x38
	s_mov_b32 s3, 0
	v_mov_b32_e32 v4, 0
	s_waitcnt lgkmcnt(0)
	v_cmp_gt_i32_e32 vcc, s12, v0
	s_and_saveexec_b64 s[8:9], vcc
	s_cbranch_execz .LBB347_4
; %bb.1:
	s_load_dword s13, s[4:5], 0x40
	s_load_dwordx2 s[0:1], s[4:5], 0x20
	s_load_dwordx2 s[10:11], s[4:5], 0x8
	s_load_dwordx4 s[16:19], s[4:5], 0x10
	s_waitcnt lgkmcnt(0)
	s_lshl_b32 s13, s13, 10
	s_mul_i32 s1, s1, s2
	s_mul_hi_u32 s4, s0, s2
	s_add_i32 s1, s4, s1
	v_mad_u64_u32 v[2:3], s[4:5], s18, v0, 0
	v_mov_b32_e32 v4, v3
	s_mul_i32 s0, s0, s2
	v_mad_u64_u32 v[4:5], s[4:5], s19, v0, v[4:5]
	s_lshl_b64 s[0:1], s[0:1], 1
	s_lshl_b64 s[4:5], s[16:17], 1
	s_add_u32 s4, s10, s4
	v_mov_b32_e32 v3, v4
	s_addc_u32 s5, s11, s5
	v_lshlrev_b64 v[2:3], 1, v[2:3]
	s_add_u32 s0, s4, s0
	s_addc_u32 s1, s5, s1
	v_add_co_u32_e32 v2, vcc, s0, v2
	s_ashr_i32 s0, s13, 31
	v_mov_b32_e32 v4, s1
	s_mul_i32 s0, s18, s0
	s_mul_hi_u32 s1, s18, s13
	s_add_i32 s0, s1, s0
	s_mul_i32 s1, s19, s13
	s_add_i32 s1, s0, s1
	s_mul_i32 s0, s18, s13
	s_lshl_b64 s[10:11], s[0:1], 1
	v_or_b32_e32 v1, s13, v0
	v_addc_co_u32_e32 v3, vcc, v4, v3, vcc
	s_mov_b64 s[4:5], 0
	v_mov_b32_e32 v4, 0
	v_mov_b32_e32 v5, s11
	s_mov_b32 s11, s3
.LBB347_2:                              ; =>This Inner Loop Header: Depth=1
	global_load_ushort v6, v[2:3], off
	s_add_i32 s14, s11, 1
	v_add_co_u32_e64 v2, s[0:1], s10, v2
	v_addc_co_u32_e64 v3, s[0:1], v3, v5, s[0:1]
	s_cmp_gt_u32 s11, 30
	v_cmp_le_i32_e32 vcc, s12, v1
	s_cselect_b64 s[0:1], -1, 0
	s_or_b64 s[0:1], s[0:1], vcc
	s_and_b64 s[0:1], exec, s[0:1]
	v_add_u32_e32 v1, s13, v1
	s_mov_b32 s11, s14
	s_or_b64 s[4:5], s[0:1], s[4:5]
	s_waitcnt vmcnt(0)
	v_fma_f16 v4, v6, v6, v4
	s_andn2_b64 exec, exec, s[4:5]
	s_cbranch_execnz .LBB347_2
; %bb.3:
	s_or_b64 exec, exec, s[4:5]
.LBB347_4:
	s_or_b64 exec, exec, s[8:9]
	v_and_b32_e32 v2, 63, v0
	v_cmp_gt_u32_e32 vcc, 64, v0
	v_lshlrev_b32_e32 v1, 1, v2
	s_and_saveexec_b64 s[0:1], vcc
	s_cbranch_execz .LBB347_6
; %bb.5:
	v_mov_b32_e32 v3, 0
	ds_write_b16 v1, v3
.LBB347_6:
	s_or_b64 exec, exec, s[0:1]
	v_mbcnt_lo_u32_b32 v3, -1, 0
	v_mbcnt_hi_u32_b32 v6, -1, v3
	v_and_b32_e32 v8, 63, v6
	v_cmp_gt_u32_e64 s[0:1], 32, v8
	v_cndmask_b32_e64 v5, 0, 1, s[0:1]
	v_lshlrev_b32_e32 v5, 5, v5
	v_and_b32_e32 v3, 0xffff, v4
	v_add_lshl_u32 v5, v5, v6, 2
	ds_bpermute_b32 v3, v5, v3
	v_cmp_gt_u32_e64 s[0:1], 48, v8
	v_cndmask_b32_e64 v5, 0, 1, s[0:1]
	s_mov_b32 s4, 0xffff0000
	v_lshlrev_b32_e32 v5, 4, v5
	s_waitcnt lgkmcnt(0)
	v_add_f16_e32 v4, v4, v3
	v_and_or_b32 v3, v3, s4, v4
	v_add_lshl_u32 v5, v5, v6, 2
	ds_bpermute_b32 v3, v5, v3
	v_cmp_gt_u32_e64 s[0:1], 56, v8
	s_waitcnt lgkmcnt(0)
	s_barrier
	v_add_f16_e32 v4, v4, v3
	v_and_or_b32 v5, v3, s4, v4
	v_cndmask_b32_e64 v3, 0, 1, s[0:1]
	v_lshlrev_b32_e32 v3, 3, v3
	v_add_lshl_u32 v3, v3, v6, 2
	ds_bpermute_b32 v5, v3, v5
	v_cmp_gt_u32_e64 s[0:1], 60, v8
	s_waitcnt lgkmcnt(0)
	v_add_f16_e32 v7, v4, v5
	v_cndmask_b32_e64 v4, 0, 1, s[0:1]
	v_lshlrev_b32_e32 v4, 2, v4
	v_and_or_b32 v5, v5, s4, v7
	v_add_lshl_u32 v4, v4, v6, 2
	ds_bpermute_b32 v5, v4, v5
	v_cmp_gt_u32_e64 s[0:1], 62, v8
	s_waitcnt lgkmcnt(0)
	v_add_f16_e32 v7, v7, v5
	v_and_or_b32 v9, v5, s4, v7
	v_cndmask_b32_e64 v5, 0, 1, s[0:1]
	v_lshlrev_b32_e32 v5, 1, v5
	v_add_lshl_u32 v5, v5, v6, 2
	ds_bpermute_b32 v9, v5, v9
	v_cmp_ne_u32_e64 s[0:1], 63, v8
	v_addc_co_u32_e64 v6, s[0:1], 0, v6, s[0:1]
	v_lshlrev_b32_e32 v6, 2, v6
	s_waitcnt lgkmcnt(0)
	v_add_f16_e32 v7, v7, v9
	v_and_or_b32 v9, v9, s4, v7
	ds_bpermute_b32 v8, v6, v9
	v_cmp_eq_u32_e64 s[0:1], 0, v2
	s_and_saveexec_b64 s[4:5], s[0:1]
	s_cbranch_execz .LBB347_8
; %bb.7:
	s_waitcnt lgkmcnt(0)
	v_add_f16_e32 v2, v7, v8
	v_lshrrev_b32_e32 v7, 5, v0
	v_and_b32_e32 v7, 30, v7
	ds_write_b16 v7, v2
.LBB347_8:
	s_or_b64 exec, exec, s[4:5]
	v_cmp_gt_u32_e64 s[0:1], 16, v0
	v_mov_b32_e32 v2, 0
	s_waitcnt lgkmcnt(0)
	s_barrier
	s_and_saveexec_b64 s[4:5], s[0:1]
	s_cbranch_execnz .LBB347_12
; %bb.9:
	s_or_b64 exec, exec, s[4:5]
	s_and_saveexec_b64 s[0:1], vcc
	s_cbranch_execnz .LBB347_13
.LBB347_10:
	s_or_b64 exec, exec, s[0:1]
	v_cmp_eq_u32_e32 vcc, 0, v0
	s_and_saveexec_b64 s[0:1], vcc
	s_cbranch_execnz .LBB347_14
.LBB347_11:
	s_endpgm
.LBB347_12:
	ds_read_u16 v2, v1
	s_or_b64 exec, exec, s[4:5]
	s_and_saveexec_b64 s[0:1], vcc
	s_cbranch_execz .LBB347_10
.LBB347_13:
	s_waitcnt lgkmcnt(0)
	v_and_b32_e32 v1, 0xffff, v2
	ds_bpermute_b32 v1, v3, v1
	s_mov_b32 s4, 0xffff0000
	s_waitcnt lgkmcnt(0)
	v_add_f16_e32 v2, v2, v1
	v_and_or_b32 v1, v1, s4, v2
	ds_bpermute_b32 v1, v4, v1
	s_waitcnt lgkmcnt(0)
	v_add_f16_e32 v2, v2, v1
	v_and_or_b32 v1, v1, s4, v2
	ds_bpermute_b32 v1, v5, v1
	;; [unrolled: 4-line block ×3, first 2 shown]
	s_waitcnt lgkmcnt(0)
	v_add_f16_e32 v2, v2, v1
	s_or_b64 exec, exec, s[0:1]
	v_cmp_eq_u32_e32 vcc, 0, v0
	s_and_saveexec_b64 s[0:1], vcc
	s_cbranch_execz .LBB347_11
.LBB347_14:
	s_waitcnt lgkmcnt(0)
	v_cvt_f32_f16_e32 v0, v2
	s_lshl_b64 s[0:1], s[2:3], 2
	s_add_u32 s0, s6, s0
	s_addc_u32 s1, s7, s1
	v_mov_b32_e32 v1, 0
	global_store_dword v1, v0, s[0:1]
	s_endpgm
	.section	.rodata,"a",@progbits
	.p2align	6, 0x0
	.amdhsa_kernel _ZL24rocblas_dot_kernel_magsqIlLb1ELi1024ELi32ELb0EfPKDF16_DF16_EviT5_lT_liPT6_PT4_
		.amdhsa_group_segment_fixed_size 128
		.amdhsa_private_segment_fixed_size 0
		.amdhsa_kernarg_size 320
		.amdhsa_user_sgpr_count 6
		.amdhsa_user_sgpr_private_segment_buffer 1
		.amdhsa_user_sgpr_dispatch_ptr 0
		.amdhsa_user_sgpr_queue_ptr 0
		.amdhsa_user_sgpr_kernarg_segment_ptr 1
		.amdhsa_user_sgpr_dispatch_id 0
		.amdhsa_user_sgpr_flat_scratch_init 0
		.amdhsa_user_sgpr_kernarg_preload_length 0
		.amdhsa_user_sgpr_kernarg_preload_offset 0
		.amdhsa_user_sgpr_private_segment_size 0
		.amdhsa_uses_dynamic_stack 0
		.amdhsa_system_sgpr_private_segment_wavefront_offset 0
		.amdhsa_system_sgpr_workgroup_id_x 1
		.amdhsa_system_sgpr_workgroup_id_y 0
		.amdhsa_system_sgpr_workgroup_id_z 1
		.amdhsa_system_sgpr_workgroup_info 0
		.amdhsa_system_vgpr_workitem_id 0
		.amdhsa_next_free_vgpr 10
		.amdhsa_next_free_sgpr 20
		.amdhsa_accum_offset 12
		.amdhsa_reserve_vcc 1
		.amdhsa_reserve_flat_scratch 0
		.amdhsa_float_round_mode_32 0
		.amdhsa_float_round_mode_16_64 0
		.amdhsa_float_denorm_mode_32 3
		.amdhsa_float_denorm_mode_16_64 3
		.amdhsa_dx10_clamp 1
		.amdhsa_ieee_mode 1
		.amdhsa_fp16_overflow 0
		.amdhsa_tg_split 0
		.amdhsa_exception_fp_ieee_invalid_op 0
		.amdhsa_exception_fp_denorm_src 0
		.amdhsa_exception_fp_ieee_div_zero 0
		.amdhsa_exception_fp_ieee_overflow 0
		.amdhsa_exception_fp_ieee_underflow 0
		.amdhsa_exception_fp_ieee_inexact 0
		.amdhsa_exception_int_div_zero 0
	.end_amdhsa_kernel
	.section	.text._ZL24rocblas_dot_kernel_magsqIlLb1ELi1024ELi32ELb0EfPKDF16_DF16_EviT5_lT_liPT6_PT4_,"axG",@progbits,_ZL24rocblas_dot_kernel_magsqIlLb1ELi1024ELi32ELb0EfPKDF16_DF16_EviT5_lT_liPT6_PT4_,comdat
.Lfunc_end347:
	.size	_ZL24rocblas_dot_kernel_magsqIlLb1ELi1024ELi32ELb0EfPKDF16_DF16_EviT5_lT_liPT6_PT4_, .Lfunc_end347-_ZL24rocblas_dot_kernel_magsqIlLb1ELi1024ELi32ELb0EfPKDF16_DF16_EviT5_lT_liPT6_PT4_
                                        ; -- End function
	.section	.AMDGPU.csdata,"",@progbits
; Kernel info:
; codeLenInByte = 956
; NumSgprs: 24
; NumVgprs: 10
; NumAgprs: 0
; TotalNumVgprs: 10
; ScratchSize: 0
; MemoryBound: 0
; FloatMode: 240
; IeeeMode: 1
; LDSByteSize: 128 bytes/workgroup (compile time only)
; SGPRBlocks: 2
; VGPRBlocks: 1
; NumSGPRsForWavesPerEU: 24
; NumVGPRsForWavesPerEU: 10
; AccumOffset: 12
; Occupancy: 8
; WaveLimiterHint : 0
; COMPUTE_PGM_RSRC2:SCRATCH_EN: 0
; COMPUTE_PGM_RSRC2:USER_SGPR: 6
; COMPUTE_PGM_RSRC2:TRAP_HANDLER: 0
; COMPUTE_PGM_RSRC2:TGID_X_EN: 1
; COMPUTE_PGM_RSRC2:TGID_Y_EN: 0
; COMPUTE_PGM_RSRC2:TGID_Z_EN: 1
; COMPUTE_PGM_RSRC2:TIDIG_COMP_CNT: 0
; COMPUTE_PGM_RSRC3_GFX90A:ACCUM_OFFSET: 2
; COMPUTE_PGM_RSRC3_GFX90A:TG_SPLIT: 0
	.section	.text._ZL23rocblas_dot_kernel_inc1ILb0ELi512ELi4ELb0EfPKDF16_DF16_EviT4_llS2_lliPT5_PT3_,"axG",@progbits,_ZL23rocblas_dot_kernel_inc1ILb0ELi512ELi4ELb0EfPKDF16_DF16_EviT4_llS2_lliPT5_PT3_,comdat
	.globl	_ZL23rocblas_dot_kernel_inc1ILb0ELi512ELi4ELb0EfPKDF16_DF16_EviT4_llS2_lliPT5_PT3_ ; -- Begin function _ZL23rocblas_dot_kernel_inc1ILb0ELi512ELi4ELb0EfPKDF16_DF16_EviT4_llS2_lliPT5_PT3_
	.p2align	8
	.type	_ZL23rocblas_dot_kernel_inc1ILb0ELi512ELi4ELb0EfPKDF16_DF16_EviT4_llS2_lliPT5_PT3_,@function
_ZL23rocblas_dot_kernel_inc1ILb0ELi512ELi4ELb0EfPKDF16_DF16_EviT4_llS2_lliPT5_PT3_: ; @_ZL23rocblas_dot_kernel_inc1ILb0ELi512ELi4ELb0EfPKDF16_DF16_EviT4_llS2_lliPT5_PT3_
; %bb.0:
	s_mov_b32 s2, s7
	s_load_dword s18, s[4:5], 0x50
	s_load_dword s7, s[4:5], 0x0
	s_load_dwordx4 s[8:11], s[4:5], 0x40
	v_lshl_or_b32 v2, s6, 9, v0
	s_mov_b32 s3, 0
	v_mov_b32_e32 v1, 0
	s_waitcnt lgkmcnt(0)
	v_cmp_gt_i32_e32 vcc, s7, v2
	s_and_saveexec_b64 s[12:13], vcc
	s_cbranch_execz .LBB348_4
; %bb.1:
	s_load_dwordx4 s[20:23], s[4:5], 0x10
	s_load_dwordx2 s[0:1], s[4:5], 0x8
	s_load_dwordx2 s[14:15], s[4:5], 0x20
	s_load_dwordx4 s[24:27], s[4:5], 0x28
	v_ashrrev_i32_e32 v3, 31, v2
	s_waitcnt lgkmcnt(0)
	s_mul_i32 s4, s2, s23
	s_mul_hi_u32 s5, s2, s22
	s_add_i32 s5, s5, s4
	s_mul_i32 s4, s2, s22
	s_lshl_b64 s[4:5], s[4:5], 1
	s_add_u32 s4, s0, s4
	s_addc_u32 s5, s1, s5
	s_lshl_b64 s[0:1], s[20:21], 1
	s_add_u32 s19, s4, s0
	s_addc_u32 s21, s5, s1
	s_mul_i32 s0, s2, s27
	s_mul_hi_u32 s1, s2, s26
	s_add_i32 s1, s1, s0
	s_mul_i32 s0, s2, s26
	s_lshl_b64 s[0:1], s[0:1], 1
	s_add_u32 s4, s14, s0
	s_addc_u32 s5, s15, s1
	s_lshl_b64 s[0:1], s[24:25], 1
	s_add_u32 s20, s4, s0
	s_addc_u32 s0, s5, s1
	s_lshl_b32 s4, s18, 9
	s_ashr_i32 s5, s4, 31
	s_lshl_b64 s[16:17], s[4:5], 1
	v_add_u32_e32 v4, s4, v2
	v_lshlrev_b64 v[2:3], 1, v[2:3]
	s_mov_b64 s[14:15], 0
	v_mov_b32_e32 v1, 0
	v_mov_b32_e32 v5, s0
	;; [unrolled: 1-line block ×4, first 2 shown]
	s_mov_b32 s5, s3
.LBB348_2:                              ; =>This Inner Loop Header: Depth=1
	v_add_co_u32_e32 v8, vcc, s20, v2
	v_addc_co_u32_e32 v9, vcc, v5, v3, vcc
	v_add_co_u32_e32 v10, vcc, s19, v2
	v_addc_co_u32_e32 v11, vcc, v6, v3, vcc
	global_load_ushort v12, v[8:9], off
	global_load_ushort v13, v[10:11], off
	s_add_i32 s17, s5, 1
	v_add_co_u32_e64 v2, s[0:1], s16, v2
	v_addc_co_u32_e64 v3, s[0:1], v3, v7, s[0:1]
	s_cmp_gt_u32 s5, 2
	v_cmp_le_i32_e32 vcc, s7, v4
	s_cselect_b64 s[0:1], -1, 0
	s_or_b64 s[0:1], s[0:1], vcc
	s_and_b64 s[0:1], exec, s[0:1]
	v_add_u32_e32 v4, s4, v4
	s_mov_b32 s5, s17
	s_or_b64 s[14:15], s[0:1], s[14:15]
	s_waitcnt vmcnt(0)
	v_fma_f16 v1, v12, v13, v1
	s_andn2_b64 exec, exec, s[14:15]
	s_cbranch_execnz .LBB348_2
; %bb.3:
	s_or_b64 exec, exec, s[14:15]
.LBB348_4:
	s_or_b64 exec, exec, s[12:13]
	v_and_b32_e32 v3, 63, v0
	v_cmp_gt_u32_e32 vcc, 64, v0
	v_lshlrev_b32_e32 v2, 1, v3
	s_and_saveexec_b64 s[0:1], vcc
	s_cbranch_execz .LBB348_6
; %bb.5:
	v_mov_b32_e32 v4, 0
	ds_write_b16 v2, v4
.LBB348_6:
	s_or_b64 exec, exec, s[0:1]
	v_mbcnt_lo_u32_b32 v4, -1, 0
	v_mbcnt_hi_u32_b32 v6, -1, v4
	v_and_b32_e32 v7, 63, v6
	v_cmp_gt_u32_e64 s[0:1], 32, v7
	v_cndmask_b32_e64 v5, 0, 1, s[0:1]
	v_lshlrev_b32_e32 v5, 5, v5
	v_and_b32_e32 v4, 0xffff, v1
	v_add_lshl_u32 v5, v5, v6, 2
	ds_bpermute_b32 v4, v5, v4
	v_cmp_gt_u32_e64 s[0:1], 48, v7
	v_cndmask_b32_e64 v5, 0, 1, s[0:1]
	s_mov_b32 s4, 0xffff0000
	v_lshlrev_b32_e32 v5, 4, v5
	s_waitcnt lgkmcnt(0)
	v_add_f16_e32 v1, v1, v4
	v_and_or_b32 v4, v4, s4, v1
	v_add_lshl_u32 v5, v5, v6, 2
	ds_bpermute_b32 v4, v5, v4
	v_cmp_gt_u32_e64 s[0:1], 56, v7
	v_cndmask_b32_e64 v5, 0, 1, s[0:1]
	v_lshlrev_b32_e32 v5, 3, v5
	v_add_lshl_u32 v5, v5, v6, 2
	s_waitcnt lgkmcnt(0)
	v_add_f16_e32 v1, v1, v4
	v_and_or_b32 v4, v4, s4, v1
	ds_bpermute_b32 v4, v5, v4
	v_cmp_gt_u32_e64 s[0:1], 60, v7
	s_waitcnt lgkmcnt(0)
	s_barrier
	v_add_f16_e32 v1, v1, v4
	v_and_or_b32 v5, v4, s4, v1
	v_cndmask_b32_e64 v4, 0, 1, s[0:1]
	v_lshlrev_b32_e32 v4, 2, v4
	v_add_lshl_u32 v4, v4, v6, 2
	ds_bpermute_b32 v5, v4, v5
	v_cmp_gt_u32_e64 s[0:1], 62, v7
	s_waitcnt lgkmcnt(0)
	v_add_f16_e32 v1, v1, v5
	v_and_or_b32 v8, v5, s4, v1
	v_cndmask_b32_e64 v5, 0, 1, s[0:1]
	v_lshlrev_b32_e32 v5, 1, v5
	v_add_lshl_u32 v5, v5, v6, 2
	ds_bpermute_b32 v8, v5, v8
	v_cmp_ne_u32_e64 s[0:1], 63, v7
	v_addc_co_u32_e64 v6, s[0:1], 0, v6, s[0:1]
	v_lshlrev_b32_e32 v6, 2, v6
	s_waitcnt lgkmcnt(0)
	v_add_f16_e32 v1, v1, v8
	v_and_or_b32 v8, v8, s4, v1
	ds_bpermute_b32 v7, v6, v8
	v_cmp_eq_u32_e64 s[0:1], 0, v3
	s_and_saveexec_b64 s[4:5], s[0:1]
	s_cbranch_execz .LBB348_8
; %bb.7:
	v_lshrrev_b32_e32 v3, 5, v0
	s_waitcnt lgkmcnt(0)
	v_add_f16_e32 v1, v1, v7
	v_and_b32_e32 v3, 14, v3
	ds_write_b16 v3, v1
.LBB348_8:
	s_or_b64 exec, exec, s[4:5]
	v_cmp_gt_u32_e64 s[0:1], 8, v0
	v_mov_b32_e32 v1, 0
	s_waitcnt lgkmcnt(0)
	s_barrier
	s_and_saveexec_b64 s[4:5], s[0:1]
	s_cbranch_execnz .LBB348_12
; %bb.9:
	s_or_b64 exec, exec, s[4:5]
	s_and_saveexec_b64 s[0:1], vcc
	s_cbranch_execnz .LBB348_13
.LBB348_10:
	s_or_b64 exec, exec, s[0:1]
	v_cmp_eq_u32_e32 vcc, 0, v0
	s_and_saveexec_b64 s[0:1], vcc
	s_cbranch_execnz .LBB348_14
.LBB348_11:
	s_endpgm
.LBB348_12:
	ds_read_u16 v1, v2
	s_or_b64 exec, exec, s[4:5]
	s_and_saveexec_b64 s[0:1], vcc
	s_cbranch_execz .LBB348_10
.LBB348_13:
	s_waitcnt lgkmcnt(0)
	v_and_b32_e32 v2, 0xffff, v1
	ds_bpermute_b32 v2, v4, v2
	s_mov_b32 s4, 0xffff0000
	s_waitcnt lgkmcnt(0)
	v_add_f16_e32 v1, v1, v2
	v_and_or_b32 v2, v2, s4, v1
	ds_bpermute_b32 v2, v5, v2
	s_waitcnt lgkmcnt(0)
	v_add_f16_e32 v1, v1, v2
	v_and_or_b32 v2, v2, s4, v1
	ds_bpermute_b32 v2, v6, v2
	s_waitcnt lgkmcnt(0)
	v_add_f16_e32 v1, v1, v2
	s_or_b64 exec, exec, s[0:1]
	v_cmp_eq_u32_e32 vcc, 0, v0
	s_and_saveexec_b64 s[0:1], vcc
	s_cbranch_execz .LBB348_11
.LBB348_14:
	s_cmp_lg_u32 s18, 1
	s_mov_b64 s[0:1], -1
	s_cbranch_scc0 .LBB348_16
; %bb.15:
	s_mul_hi_u32 s1, s18, s2
	s_mul_i32 s0, s18, s2
	s_lshl_b64 s[0:1], s[0:1], 1
	s_mov_b32 s7, 0
	s_add_u32 s4, s8, s0
	s_addc_u32 s5, s9, s1
	s_lshl_b64 s[0:1], s[6:7], 1
	s_add_u32 s0, s4, s0
	s_addc_u32 s1, s5, s1
	v_mov_b32_e32 v0, 0
	s_waitcnt lgkmcnt(0)
	global_store_short v0, v1, s[0:1]
	s_mov_b64 s[0:1], 0
.LBB348_16:
	s_andn2_b64 vcc, exec, s[0:1]
	s_cbranch_vccnz .LBB348_11
; %bb.17:
	s_waitcnt lgkmcnt(0)
	v_cvt_f32_f16_e32 v0, v1
	s_lshl_b64 s[0:1], s[2:3], 2
	s_add_u32 s0, s10, s0
	s_addc_u32 s1, s11, s1
	v_mov_b32_e32 v1, 0
	global_store_dword v1, v0, s[0:1]
	s_endpgm
	.section	.rodata,"a",@progbits
	.p2align	6, 0x0
	.amdhsa_kernel _ZL23rocblas_dot_kernel_inc1ILb0ELi512ELi4ELb0EfPKDF16_DF16_EviT4_llS2_lliPT5_PT3_
		.amdhsa_group_segment_fixed_size 128
		.amdhsa_private_segment_fixed_size 0
		.amdhsa_kernarg_size 336
		.amdhsa_user_sgpr_count 6
		.amdhsa_user_sgpr_private_segment_buffer 1
		.amdhsa_user_sgpr_dispatch_ptr 0
		.amdhsa_user_sgpr_queue_ptr 0
		.amdhsa_user_sgpr_kernarg_segment_ptr 1
		.amdhsa_user_sgpr_dispatch_id 0
		.amdhsa_user_sgpr_flat_scratch_init 0
		.amdhsa_user_sgpr_kernarg_preload_length 0
		.amdhsa_user_sgpr_kernarg_preload_offset 0
		.amdhsa_user_sgpr_private_segment_size 0
		.amdhsa_uses_dynamic_stack 0
		.amdhsa_system_sgpr_private_segment_wavefront_offset 0
		.amdhsa_system_sgpr_workgroup_id_x 1
		.amdhsa_system_sgpr_workgroup_id_y 0
		.amdhsa_system_sgpr_workgroup_id_z 1
		.amdhsa_system_sgpr_workgroup_info 0
		.amdhsa_system_vgpr_workitem_id 0
		.amdhsa_next_free_vgpr 14
		.amdhsa_next_free_sgpr 28
		.amdhsa_accum_offset 16
		.amdhsa_reserve_vcc 1
		.amdhsa_reserve_flat_scratch 0
		.amdhsa_float_round_mode_32 0
		.amdhsa_float_round_mode_16_64 0
		.amdhsa_float_denorm_mode_32 3
		.amdhsa_float_denorm_mode_16_64 3
		.amdhsa_dx10_clamp 1
		.amdhsa_ieee_mode 1
		.amdhsa_fp16_overflow 0
		.amdhsa_tg_split 0
		.amdhsa_exception_fp_ieee_invalid_op 0
		.amdhsa_exception_fp_denorm_src 0
		.amdhsa_exception_fp_ieee_div_zero 0
		.amdhsa_exception_fp_ieee_overflow 0
		.amdhsa_exception_fp_ieee_underflow 0
		.amdhsa_exception_fp_ieee_inexact 0
		.amdhsa_exception_int_div_zero 0
	.end_amdhsa_kernel
	.section	.text._ZL23rocblas_dot_kernel_inc1ILb0ELi512ELi4ELb0EfPKDF16_DF16_EviT4_llS2_lliPT5_PT3_,"axG",@progbits,_ZL23rocblas_dot_kernel_inc1ILb0ELi512ELi4ELb0EfPKDF16_DF16_EviT4_llS2_lliPT5_PT3_,comdat
.Lfunc_end348:
	.size	_ZL23rocblas_dot_kernel_inc1ILb0ELi512ELi4ELb0EfPKDF16_DF16_EviT4_llS2_lliPT5_PT3_, .Lfunc_end348-_ZL23rocblas_dot_kernel_inc1ILb0ELi512ELi4ELb0EfPKDF16_DF16_EviT4_llS2_lliPT5_PT3_
                                        ; -- End function
	.section	.AMDGPU.csdata,"",@progbits
; Kernel info:
; codeLenInByte = 1040
; NumSgprs: 32
; NumVgprs: 14
; NumAgprs: 0
; TotalNumVgprs: 14
; ScratchSize: 0
; MemoryBound: 0
; FloatMode: 240
; IeeeMode: 1
; LDSByteSize: 128 bytes/workgroup (compile time only)
; SGPRBlocks: 3
; VGPRBlocks: 1
; NumSGPRsForWavesPerEU: 32
; NumVGPRsForWavesPerEU: 14
; AccumOffset: 16
; Occupancy: 8
; WaveLimiterHint : 0
; COMPUTE_PGM_RSRC2:SCRATCH_EN: 0
; COMPUTE_PGM_RSRC2:USER_SGPR: 6
; COMPUTE_PGM_RSRC2:TRAP_HANDLER: 0
; COMPUTE_PGM_RSRC2:TGID_X_EN: 1
; COMPUTE_PGM_RSRC2:TGID_Y_EN: 0
; COMPUTE_PGM_RSRC2:TGID_Z_EN: 1
; COMPUTE_PGM_RSRC2:TIDIG_COMP_CNT: 0
; COMPUTE_PGM_RSRC3_GFX90A:ACCUM_OFFSET: 3
; COMPUTE_PGM_RSRC3_GFX90A:TG_SPLIT: 0
	.section	.text._ZL18rocblas_dot_kernelIlLb0ELi512ELi4ELb0EfPKDF16_DF16_EviT5_lT_lS2_lS3_liPT6_PT4_,"axG",@progbits,_ZL18rocblas_dot_kernelIlLb0ELi512ELi4ELb0EfPKDF16_DF16_EviT5_lT_lS2_lS3_liPT6_PT4_,comdat
	.globl	_ZL18rocblas_dot_kernelIlLb0ELi512ELi4ELb0EfPKDF16_DF16_EviT5_lT_lS2_lS3_liPT6_PT4_ ; -- Begin function _ZL18rocblas_dot_kernelIlLb0ELi512ELi4ELb0EfPKDF16_DF16_EviT5_lT_lS2_lS3_liPT6_PT4_
	.p2align	8
	.type	_ZL18rocblas_dot_kernelIlLb0ELi512ELi4ELb0EfPKDF16_DF16_EviT5_lT_lS2_lS3_liPT6_PT4_,@function
_ZL18rocblas_dot_kernelIlLb0ELi512ELi4ELb0EfPKDF16_DF16_EviT5_lT_lS2_lS3_liPT6_PT4_: ; @_ZL18rocblas_dot_kernelIlLb0ELi512ELi4ELb0EfPKDF16_DF16_EviT5_lT_lS2_lS3_liPT6_PT4_
; %bb.0:
	s_mov_b32 s2, s7
	s_load_dword s22, s[4:5], 0x60
	s_load_dword s7, s[4:5], 0x0
	s_load_dwordx4 s[16:19], s[4:5], 0x50
	v_lshl_or_b32 v4, s6, 9, v0
	s_mov_b32 s3, 0
	v_mov_b32_e32 v6, 0
	s_waitcnt lgkmcnt(0)
	v_cmp_gt_i32_e32 vcc, s7, v4
	s_and_saveexec_b64 s[20:21], vcc
	s_cbranch_execz .LBB349_4
; %bb.1:
	s_load_dwordx8 s[8:15], s[4:5], 0x20
	s_load_dwordx2 s[0:1], s[4:5], 0x8
	s_load_dwordx4 s[24:27], s[4:5], 0x10
	s_load_dwordx2 s[28:29], s[4:5], 0x40
	s_lshl_b32 s23, s22, 9
	v_ashrrev_i32_e32 v5, 31, v4
	v_add_u32_e32 v1, s23, v4
	s_waitcnt lgkmcnt(0)
	v_mad_u64_u32 v[2:3], s[4:5], s26, v4, 0
	s_mul_i32 s4, s9, s2
	s_mul_hi_u32 s5, s8, s2
	s_add_i32 s5, s5, s4
	s_mul_i32 s4, s8, s2
	s_lshl_b64 s[4:5], s[4:5], 1
	s_lshl_b64 s[8:9], s[24:25], 1
	s_add_u32 s0, s0, s8
	v_mul_lo_u32 v6, s27, v4
	v_mul_lo_u32 v7, s26, v5
	s_addc_u32 s1, s1, s9
	v_add3_u32 v3, v3, v7, v6
	s_add_u32 s0, s0, s4
	v_lshlrev_b64 v[2:3], 1, v[2:3]
	s_addc_u32 s1, s1, s5
	s_ashr_i32 s24, s23, 31
	v_mov_b32_e32 v6, s1
	v_add_co_u32_e32 v2, vcc, s0, v2
	s_mul_i32 s0, s26, s24
	s_mul_hi_u32 s1, s26, s23
	s_add_i32 s0, s1, s0
	s_mul_i32 s1, s27, s23
	s_add_i32 s1, s0, s1
	s_mul_i32 s0, s26, s23
	v_addc_co_u32_e32 v3, vcc, v6, v3, vcc
	s_lshl_b64 s[4:5], s[0:1], 1
	v_mul_lo_u32 v6, s15, v4
	v_mul_lo_u32 v7, s14, v5
	v_mad_u64_u32 v[4:5], s[0:1], s14, v4, 0
	s_mul_i32 s0, s29, s2
	s_mul_hi_u32 s1, s28, s2
	s_add_i32 s1, s1, s0
	s_mul_i32 s0, s28, s2
	s_lshl_b64 s[0:1], s[0:1], 1
	s_lshl_b64 s[8:9], s[12:13], 1
	s_add_u32 s8, s10, s8
	s_addc_u32 s9, s11, s9
	v_add3_u32 v5, v5, v7, v6
	s_add_u32 s0, s8, s0
	v_lshlrev_b64 v[4:5], 1, v[4:5]
	s_addc_u32 s1, s9, s1
	v_mov_b32_e32 v6, s1
	v_add_co_u32_e32 v4, vcc, s0, v4
	s_mul_i32 s0, s14, s24
	s_mul_hi_u32 s1, s14, s23
	s_add_i32 s0, s1, s0
	s_mul_i32 s1, s15, s23
	s_add_i32 s1, s0, s1
	s_mul_i32 s0, s14, s23
	s_lshl_b64 s[10:11], s[0:1], 1
	v_addc_co_u32_e32 v5, vcc, v6, v5, vcc
	s_mov_b64 s[8:9], 0
	v_mov_b32_e32 v6, 0
	v_mov_b32_e32 v7, s5
	;; [unrolled: 1-line block ×3, first 2 shown]
	s_mov_b32 s5, s3
.LBB349_2:                              ; =>This Inner Loop Header: Depth=1
	global_load_ushort v9, v[4:5], off
	global_load_ushort v10, v[2:3], off
	v_add_co_u32_e64 v2, s[0:1], s4, v2
	v_addc_co_u32_e64 v3, s[0:1], v3, v7, s[0:1]
	s_add_i32 s11, s5, 1
	v_add_co_u32_e64 v4, s[0:1], s10, v4
	v_addc_co_u32_e64 v5, s[0:1], v5, v8, s[0:1]
	s_cmp_gt_u32 s5, 2
	v_cmp_le_i32_e32 vcc, s7, v1
	s_cselect_b64 s[0:1], -1, 0
	s_or_b64 s[0:1], s[0:1], vcc
	s_and_b64 s[0:1], exec, s[0:1]
	v_add_u32_e32 v1, s23, v1
	s_mov_b32 s5, s11
	s_or_b64 s[8:9], s[0:1], s[8:9]
	s_waitcnt vmcnt(0)
	v_fma_f16 v6, v9, v10, v6
	s_andn2_b64 exec, exec, s[8:9]
	s_cbranch_execnz .LBB349_2
; %bb.3:
	s_or_b64 exec, exec, s[8:9]
.LBB349_4:
	s_or_b64 exec, exec, s[20:21]
	v_and_b32_e32 v2, 63, v0
	v_cmp_gt_u32_e32 vcc, 64, v0
	v_lshlrev_b32_e32 v1, 1, v2
	s_and_saveexec_b64 s[0:1], vcc
	s_cbranch_execz .LBB349_6
; %bb.5:
	v_mov_b32_e32 v3, 0
	ds_write_b16 v1, v3
.LBB349_6:
	s_or_b64 exec, exec, s[0:1]
	v_mbcnt_lo_u32_b32 v3, -1, 0
	v_mbcnt_hi_u32_b32 v5, -1, v3
	v_and_b32_e32 v7, 63, v5
	v_cmp_gt_u32_e64 s[0:1], 32, v7
	v_cndmask_b32_e64 v4, 0, 1, s[0:1]
	v_lshlrev_b32_e32 v4, 5, v4
	v_and_b32_e32 v3, 0xffff, v6
	v_add_lshl_u32 v4, v4, v5, 2
	ds_bpermute_b32 v3, v4, v3
	v_cmp_gt_u32_e64 s[0:1], 48, v7
	s_mov_b32 s4, 0xffff0000
	s_waitcnt lgkmcnt(0)
	s_barrier
	v_add_f16_e32 v4, v6, v3
	v_cndmask_b32_e64 v6, 0, 1, s[0:1]
	v_lshlrev_b32_e32 v6, 4, v6
	v_and_or_b32 v3, v3, s4, v4
	v_add_lshl_u32 v6, v6, v5, 2
	ds_bpermute_b32 v3, v6, v3
	v_cmp_gt_u32_e64 s[0:1], 56, v7
	v_cndmask_b32_e64 v6, 0, 1, s[0:1]
	v_lshlrev_b32_e32 v6, 3, v6
	v_add_lshl_u32 v6, v6, v5, 2
	s_waitcnt lgkmcnt(0)
	v_add_f16_e32 v4, v4, v3
	v_and_or_b32 v3, v3, s4, v4
	ds_bpermute_b32 v3, v6, v3
	v_cmp_gt_u32_e64 s[0:1], 60, v7
	s_waitcnt lgkmcnt(0)
	v_add_f16_e32 v4, v4, v3
	v_and_or_b32 v6, v3, s4, v4
	v_cndmask_b32_e64 v3, 0, 1, s[0:1]
	v_lshlrev_b32_e32 v3, 2, v3
	v_add_lshl_u32 v3, v3, v5, 2
	ds_bpermute_b32 v6, v3, v6
	v_cmp_gt_u32_e64 s[0:1], 62, v7
	s_waitcnt lgkmcnt(0)
	v_add_f16_e32 v8, v4, v6
	v_cndmask_b32_e64 v4, 0, 1, s[0:1]
	v_lshlrev_b32_e32 v4, 1, v4
	v_and_or_b32 v6, v6, s4, v8
	v_add_lshl_u32 v4, v4, v5, 2
	ds_bpermute_b32 v9, v4, v6
	v_cmp_ne_u32_e64 s[0:1], 63, v7
	v_addc_co_u32_e64 v5, s[0:1], 0, v5, s[0:1]
	v_lshlrev_b32_e32 v5, 2, v5
	s_waitcnt lgkmcnt(0)
	v_add_f16_e32 v6, v8, v9
	v_and_or_b32 v8, v9, s4, v6
	ds_bpermute_b32 v7, v5, v8
	v_cmp_eq_u32_e64 s[0:1], 0, v2
	s_and_saveexec_b64 s[4:5], s[0:1]
	s_cbranch_execz .LBB349_8
; %bb.7:
	s_waitcnt lgkmcnt(0)
	v_add_f16_e32 v2, v6, v7
	v_lshrrev_b32_e32 v6, 5, v0
	v_and_b32_e32 v6, 14, v6
	ds_write_b16 v6, v2
.LBB349_8:
	s_or_b64 exec, exec, s[4:5]
	v_cmp_gt_u32_e64 s[0:1], 8, v0
	v_mov_b32_e32 v2, 0
	s_waitcnt lgkmcnt(0)
	s_barrier
	s_and_saveexec_b64 s[4:5], s[0:1]
	s_cbranch_execnz .LBB349_12
; %bb.9:
	s_or_b64 exec, exec, s[4:5]
	s_and_saveexec_b64 s[0:1], vcc
	s_cbranch_execnz .LBB349_13
.LBB349_10:
	s_or_b64 exec, exec, s[0:1]
	v_cmp_eq_u32_e32 vcc, 0, v0
	s_and_saveexec_b64 s[0:1], vcc
	s_cbranch_execnz .LBB349_14
.LBB349_11:
	s_endpgm
.LBB349_12:
	ds_read_u16 v2, v1
	s_or_b64 exec, exec, s[4:5]
	s_and_saveexec_b64 s[0:1], vcc
	s_cbranch_execz .LBB349_10
.LBB349_13:
	s_waitcnt lgkmcnt(0)
	v_and_b32_e32 v1, 0xffff, v2
	ds_bpermute_b32 v1, v3, v1
	s_mov_b32 s4, 0xffff0000
	s_waitcnt lgkmcnt(0)
	v_add_f16_e32 v2, v2, v1
	v_and_or_b32 v1, v1, s4, v2
	ds_bpermute_b32 v1, v4, v1
	s_waitcnt lgkmcnt(0)
	v_add_f16_e32 v2, v2, v1
	v_and_or_b32 v1, v1, s4, v2
	ds_bpermute_b32 v1, v5, v1
	s_waitcnt lgkmcnt(0)
	v_add_f16_e32 v2, v2, v1
	s_or_b64 exec, exec, s[0:1]
	v_cmp_eq_u32_e32 vcc, 0, v0
	s_and_saveexec_b64 s[0:1], vcc
	s_cbranch_execz .LBB349_11
.LBB349_14:
	s_cmp_lg_u32 s22, 1
	s_mov_b64 s[0:1], -1
	s_cbranch_scc0 .LBB349_16
; %bb.15:
	s_mul_hi_u32 s1, s22, s2
	s_mul_i32 s0, s22, s2
	s_lshl_b64 s[0:1], s[0:1], 1
	s_mov_b32 s7, 0
	s_add_u32 s4, s16, s0
	s_addc_u32 s5, s17, s1
	s_lshl_b64 s[0:1], s[6:7], 1
	s_add_u32 s0, s4, s0
	s_addc_u32 s1, s5, s1
	v_mov_b32_e32 v0, 0
	s_waitcnt lgkmcnt(0)
	global_store_short v0, v2, s[0:1]
	s_mov_b64 s[0:1], 0
.LBB349_16:
	s_andn2_b64 vcc, exec, s[0:1]
	s_cbranch_vccnz .LBB349_11
; %bb.17:
	s_waitcnt lgkmcnt(0)
	v_cvt_f32_f16_e32 v0, v2
	s_lshl_b64 s[0:1], s[2:3], 2
	s_add_u32 s0, s18, s0
	s_addc_u32 s1, s19, s1
	v_mov_b32_e32 v1, 0
	global_store_dword v1, v0, s[0:1]
	s_endpgm
	.section	.rodata,"a",@progbits
	.p2align	6, 0x0
	.amdhsa_kernel _ZL18rocblas_dot_kernelIlLb0ELi512ELi4ELb0EfPKDF16_DF16_EviT5_lT_lS2_lS3_liPT6_PT4_
		.amdhsa_group_segment_fixed_size 128
		.amdhsa_private_segment_fixed_size 0
		.amdhsa_kernarg_size 352
		.amdhsa_user_sgpr_count 6
		.amdhsa_user_sgpr_private_segment_buffer 1
		.amdhsa_user_sgpr_dispatch_ptr 0
		.amdhsa_user_sgpr_queue_ptr 0
		.amdhsa_user_sgpr_kernarg_segment_ptr 1
		.amdhsa_user_sgpr_dispatch_id 0
		.amdhsa_user_sgpr_flat_scratch_init 0
		.amdhsa_user_sgpr_kernarg_preload_length 0
		.amdhsa_user_sgpr_kernarg_preload_offset 0
		.amdhsa_user_sgpr_private_segment_size 0
		.amdhsa_uses_dynamic_stack 0
		.amdhsa_system_sgpr_private_segment_wavefront_offset 0
		.amdhsa_system_sgpr_workgroup_id_x 1
		.amdhsa_system_sgpr_workgroup_id_y 0
		.amdhsa_system_sgpr_workgroup_id_z 1
		.amdhsa_system_sgpr_workgroup_info 0
		.amdhsa_system_vgpr_workitem_id 0
		.amdhsa_next_free_vgpr 11
		.amdhsa_next_free_sgpr 30
		.amdhsa_accum_offset 12
		.amdhsa_reserve_vcc 1
		.amdhsa_reserve_flat_scratch 0
		.amdhsa_float_round_mode_32 0
		.amdhsa_float_round_mode_16_64 0
		.amdhsa_float_denorm_mode_32 3
		.amdhsa_float_denorm_mode_16_64 3
		.amdhsa_dx10_clamp 1
		.amdhsa_ieee_mode 1
		.amdhsa_fp16_overflow 0
		.amdhsa_tg_split 0
		.amdhsa_exception_fp_ieee_invalid_op 0
		.amdhsa_exception_fp_denorm_src 0
		.amdhsa_exception_fp_ieee_div_zero 0
		.amdhsa_exception_fp_ieee_overflow 0
		.amdhsa_exception_fp_ieee_underflow 0
		.amdhsa_exception_fp_ieee_inexact 0
		.amdhsa_exception_int_div_zero 0
	.end_amdhsa_kernel
	.section	.text._ZL18rocblas_dot_kernelIlLb0ELi512ELi4ELb0EfPKDF16_DF16_EviT5_lT_lS2_lS3_liPT6_PT4_,"axG",@progbits,_ZL18rocblas_dot_kernelIlLb0ELi512ELi4ELb0EfPKDF16_DF16_EviT5_lT_lS2_lS3_liPT6_PT4_,comdat
.Lfunc_end349:
	.size	_ZL18rocblas_dot_kernelIlLb0ELi512ELi4ELb0EfPKDF16_DF16_EviT5_lT_lS2_lS3_liPT6_PT4_, .Lfunc_end349-_ZL18rocblas_dot_kernelIlLb0ELi512ELi4ELb0EfPKDF16_DF16_EviT5_lT_lS2_lS3_liPT6_PT4_
                                        ; -- End function
	.section	.AMDGPU.csdata,"",@progbits
; Kernel info:
; codeLenInByte = 1184
; NumSgprs: 34
; NumVgprs: 11
; NumAgprs: 0
; TotalNumVgprs: 11
; ScratchSize: 0
; MemoryBound: 0
; FloatMode: 240
; IeeeMode: 1
; LDSByteSize: 128 bytes/workgroup (compile time only)
; SGPRBlocks: 4
; VGPRBlocks: 1
; NumSGPRsForWavesPerEU: 34
; NumVGPRsForWavesPerEU: 11
; AccumOffset: 12
; Occupancy: 8
; WaveLimiterHint : 0
; COMPUTE_PGM_RSRC2:SCRATCH_EN: 0
; COMPUTE_PGM_RSRC2:USER_SGPR: 6
; COMPUTE_PGM_RSRC2:TRAP_HANDLER: 0
; COMPUTE_PGM_RSRC2:TGID_X_EN: 1
; COMPUTE_PGM_RSRC2:TGID_Y_EN: 0
; COMPUTE_PGM_RSRC2:TGID_Z_EN: 1
; COMPUTE_PGM_RSRC2:TIDIG_COMP_CNT: 0
; COMPUTE_PGM_RSRC3_GFX90A:ACCUM_OFFSET: 2
; COMPUTE_PGM_RSRC3_GFX90A:TG_SPLIT: 0
	.section	.text._ZL24rocblas_dot_kernel_magsqIlLb0ELi512ELi4ELb0EfPKDF16_DF16_EviT5_lT_liPT6_PT4_,"axG",@progbits,_ZL24rocblas_dot_kernel_magsqIlLb0ELi512ELi4ELb0EfPKDF16_DF16_EviT5_lT_liPT6_PT4_,comdat
	.globl	_ZL24rocblas_dot_kernel_magsqIlLb0ELi512ELi4ELb0EfPKDF16_DF16_EviT5_lT_liPT6_PT4_ ; -- Begin function _ZL24rocblas_dot_kernel_magsqIlLb0ELi512ELi4ELb0EfPKDF16_DF16_EviT5_lT_liPT6_PT4_
	.p2align	8
	.type	_ZL24rocblas_dot_kernel_magsqIlLb0ELi512ELi4ELb0EfPKDF16_DF16_EviT5_lT_liPT6_PT4_,@function
_ZL24rocblas_dot_kernel_magsqIlLb0ELi512ELi4ELb0EfPKDF16_DF16_EviT5_lT_liPT6_PT4_: ; @_ZL24rocblas_dot_kernel_magsqIlLb0ELi512ELi4ELb0EfPKDF16_DF16_EviT5_lT_liPT6_PT4_
; %bb.0:
	s_mov_b32 s2, s7
	s_load_dword s7, s[4:5], 0x0
	s_load_dwordx4 s[8:11], s[4:5], 0x30
	s_load_dword s16, s[4:5], 0x40
	v_lshl_or_b32 v2, s6, 9, v0
	s_mov_b32 s3, 0
	s_waitcnt lgkmcnt(0)
	v_cmp_gt_i32_e32 vcc, s7, v2
	v_mov_b32_e32 v4, 0
	s_and_saveexec_b64 s[12:13], vcc
	s_cbranch_execz .LBB350_4
; %bb.1:
	s_load_dwordx2 s[0:1], s[4:5], 0x8
	s_load_dwordx4 s[20:23], s[4:5], 0x10
	s_load_dwordx2 s[14:15], s[4:5], 0x20
	s_lshl_b32 s17, s16, 9
	v_ashrrev_i32_e32 v3, 31, v2
	v_add_u32_e32 v1, s17, v2
	s_waitcnt lgkmcnt(0)
	v_mul_lo_u32 v4, s23, v2
	v_mul_lo_u32 v5, s22, v3
	v_mad_u64_u32 v[2:3], s[4:5], s22, v2, 0
	s_mul_i32 s4, s15, s2
	s_mul_hi_u32 s5, s14, s2
	s_add_i32 s5, s5, s4
	s_mul_i32 s4, s14, s2
	s_lshl_b64 s[4:5], s[4:5], 1
	s_lshl_b64 s[14:15], s[20:21], 1
	s_add_u32 s0, s0, s14
	v_add3_u32 v3, v3, v5, v4
	s_addc_u32 s1, s1, s15
	v_lshlrev_b64 v[2:3], 1, v[2:3]
	s_add_u32 s0, s0, s4
	s_addc_u32 s1, s1, s5
	v_add_co_u32_e32 v2, vcc, s0, v2
	s_ashr_i32 s0, s17, 31
	v_mov_b32_e32 v4, s1
	s_mul_i32 s0, s22, s0
	s_mul_hi_u32 s1, s22, s17
	s_add_i32 s0, s1, s0
	s_mul_i32 s1, s23, s17
	s_add_i32 s1, s0, s1
	s_mul_i32 s0, s22, s17
	s_lshl_b64 s[14:15], s[0:1], 1
	v_addc_co_u32_e32 v3, vcc, v4, v3, vcc
	s_mov_b64 s[4:5], 0
	v_mov_b32_e32 v4, 0
	v_mov_b32_e32 v5, s15
	s_mov_b32 s15, s3
.LBB350_2:                              ; =>This Inner Loop Header: Depth=1
	global_load_ushort v6, v[2:3], off
	s_add_i32 s18, s15, 1
	v_add_co_u32_e64 v2, s[0:1], s14, v2
	v_addc_co_u32_e64 v3, s[0:1], v3, v5, s[0:1]
	s_cmp_gt_u32 s15, 2
	v_cmp_le_i32_e32 vcc, s7, v1
	s_cselect_b64 s[0:1], -1, 0
	s_or_b64 s[0:1], s[0:1], vcc
	s_and_b64 s[0:1], exec, s[0:1]
	v_add_u32_e32 v1, s17, v1
	s_mov_b32 s15, s18
	s_or_b64 s[4:5], s[0:1], s[4:5]
	s_waitcnt vmcnt(0)
	v_fma_f16 v4, v6, v6, v4
	s_andn2_b64 exec, exec, s[4:5]
	s_cbranch_execnz .LBB350_2
; %bb.3:
	s_or_b64 exec, exec, s[4:5]
.LBB350_4:
	s_or_b64 exec, exec, s[12:13]
	v_and_b32_e32 v2, 63, v0
	v_cmp_gt_u32_e32 vcc, 64, v0
	v_lshlrev_b32_e32 v1, 1, v2
	s_and_saveexec_b64 s[0:1], vcc
	s_cbranch_execz .LBB350_6
; %bb.5:
	v_mov_b32_e32 v3, 0
	ds_write_b16 v1, v3
.LBB350_6:
	s_or_b64 exec, exec, s[0:1]
	v_mbcnt_lo_u32_b32 v3, -1, 0
	v_mbcnt_hi_u32_b32 v5, -1, v3
	v_and_b32_e32 v7, 63, v5
	v_cmp_gt_u32_e64 s[0:1], 32, v7
	v_cndmask_b32_e64 v6, 0, 1, s[0:1]
	v_lshlrev_b32_e32 v6, 5, v6
	v_and_b32_e32 v3, 0xffff, v4
	v_add_lshl_u32 v6, v6, v5, 2
	ds_bpermute_b32 v3, v6, v3
	v_cmp_gt_u32_e64 s[0:1], 48, v7
	v_cndmask_b32_e64 v6, 0, 1, s[0:1]
	s_mov_b32 s4, 0xffff0000
	v_lshlrev_b32_e32 v6, 4, v6
	s_waitcnt lgkmcnt(0)
	v_add_f16_e32 v4, v4, v3
	v_and_or_b32 v3, v3, s4, v4
	v_add_lshl_u32 v6, v6, v5, 2
	ds_bpermute_b32 v3, v6, v3
	v_cmp_gt_u32_e64 s[0:1], 56, v7
	v_cndmask_b32_e64 v6, 0, 1, s[0:1]
	v_lshlrev_b32_e32 v6, 3, v6
	v_add_lshl_u32 v6, v6, v5, 2
	s_waitcnt lgkmcnt(0)
	v_add_f16_e32 v4, v4, v3
	v_and_or_b32 v3, v3, s4, v4
	ds_bpermute_b32 v3, v6, v3
	v_cmp_gt_u32_e64 s[0:1], 60, v7
	s_waitcnt lgkmcnt(0)
	s_barrier
	v_add_f16_e32 v4, v4, v3
	v_and_or_b32 v6, v3, s4, v4
	v_cndmask_b32_e64 v3, 0, 1, s[0:1]
	v_lshlrev_b32_e32 v3, 2, v3
	v_add_lshl_u32 v3, v3, v5, 2
	ds_bpermute_b32 v6, v3, v6
	v_cmp_gt_u32_e64 s[0:1], 62, v7
	s_waitcnt lgkmcnt(0)
	v_add_f16_e32 v8, v4, v6
	v_cndmask_b32_e64 v4, 0, 1, s[0:1]
	v_lshlrev_b32_e32 v4, 1, v4
	v_and_or_b32 v6, v6, s4, v8
	v_add_lshl_u32 v4, v4, v5, 2
	ds_bpermute_b32 v9, v4, v6
	v_cmp_ne_u32_e64 s[0:1], 63, v7
	v_addc_co_u32_e64 v5, s[0:1], 0, v5, s[0:1]
	v_lshlrev_b32_e32 v5, 2, v5
	s_waitcnt lgkmcnt(0)
	v_add_f16_e32 v6, v8, v9
	v_and_or_b32 v8, v9, s4, v6
	ds_bpermute_b32 v7, v5, v8
	v_cmp_eq_u32_e64 s[0:1], 0, v2
	s_and_saveexec_b64 s[4:5], s[0:1]
	s_cbranch_execz .LBB350_8
; %bb.7:
	s_waitcnt lgkmcnt(0)
	v_add_f16_e32 v2, v6, v7
	v_lshrrev_b32_e32 v6, 5, v0
	v_and_b32_e32 v6, 14, v6
	ds_write_b16 v6, v2
.LBB350_8:
	s_or_b64 exec, exec, s[4:5]
	v_cmp_gt_u32_e64 s[0:1], 8, v0
	v_mov_b32_e32 v2, 0
	s_waitcnt lgkmcnt(0)
	s_barrier
	s_and_saveexec_b64 s[4:5], s[0:1]
	s_cbranch_execnz .LBB350_12
; %bb.9:
	s_or_b64 exec, exec, s[4:5]
	s_and_saveexec_b64 s[0:1], vcc
	s_cbranch_execnz .LBB350_13
.LBB350_10:
	s_or_b64 exec, exec, s[0:1]
	v_cmp_eq_u32_e32 vcc, 0, v0
	s_and_saveexec_b64 s[0:1], vcc
	s_cbranch_execnz .LBB350_14
.LBB350_11:
	s_endpgm
.LBB350_12:
	ds_read_u16 v2, v1
	s_or_b64 exec, exec, s[4:5]
	s_and_saveexec_b64 s[0:1], vcc
	s_cbranch_execz .LBB350_10
.LBB350_13:
	s_waitcnt lgkmcnt(0)
	v_and_b32_e32 v1, 0xffff, v2
	ds_bpermute_b32 v1, v3, v1
	s_mov_b32 s4, 0xffff0000
	s_waitcnt lgkmcnt(0)
	v_add_f16_e32 v2, v2, v1
	v_and_or_b32 v1, v1, s4, v2
	ds_bpermute_b32 v1, v4, v1
	s_waitcnt lgkmcnt(0)
	v_add_f16_e32 v2, v2, v1
	v_and_or_b32 v1, v1, s4, v2
	ds_bpermute_b32 v1, v5, v1
	s_waitcnt lgkmcnt(0)
	v_add_f16_e32 v2, v2, v1
	s_or_b64 exec, exec, s[0:1]
	v_cmp_eq_u32_e32 vcc, 0, v0
	s_and_saveexec_b64 s[0:1], vcc
	s_cbranch_execz .LBB350_11
.LBB350_14:
	s_cmp_lg_u32 s16, 1
	s_mov_b64 s[0:1], -1
	s_cbranch_scc0 .LBB350_16
; %bb.15:
	s_mul_hi_u32 s1, s16, s2
	s_mul_i32 s0, s16, s2
	s_lshl_b64 s[0:1], s[0:1], 1
	s_mov_b32 s7, 0
	s_add_u32 s4, s8, s0
	s_addc_u32 s5, s9, s1
	s_lshl_b64 s[0:1], s[6:7], 1
	s_add_u32 s0, s4, s0
	s_addc_u32 s1, s5, s1
	v_mov_b32_e32 v0, 0
	s_waitcnt lgkmcnt(0)
	global_store_short v0, v2, s[0:1]
	s_mov_b64 s[0:1], 0
.LBB350_16:
	s_andn2_b64 vcc, exec, s[0:1]
	s_cbranch_vccnz .LBB350_11
; %bb.17:
	s_waitcnt lgkmcnt(0)
	v_cvt_f32_f16_e32 v0, v2
	s_lshl_b64 s[0:1], s[2:3], 2
	s_add_u32 s0, s10, s0
	s_addc_u32 s1, s11, s1
	v_mov_b32_e32 v1, 0
	global_store_dword v1, v0, s[0:1]
	s_endpgm
	.section	.rodata,"a",@progbits
	.p2align	6, 0x0
	.amdhsa_kernel _ZL24rocblas_dot_kernel_magsqIlLb0ELi512ELi4ELb0EfPKDF16_DF16_EviT5_lT_liPT6_PT4_
		.amdhsa_group_segment_fixed_size 128
		.amdhsa_private_segment_fixed_size 0
		.amdhsa_kernarg_size 320
		.amdhsa_user_sgpr_count 6
		.amdhsa_user_sgpr_private_segment_buffer 1
		.amdhsa_user_sgpr_dispatch_ptr 0
		.amdhsa_user_sgpr_queue_ptr 0
		.amdhsa_user_sgpr_kernarg_segment_ptr 1
		.amdhsa_user_sgpr_dispatch_id 0
		.amdhsa_user_sgpr_flat_scratch_init 0
		.amdhsa_user_sgpr_kernarg_preload_length 0
		.amdhsa_user_sgpr_kernarg_preload_offset 0
		.amdhsa_user_sgpr_private_segment_size 0
		.amdhsa_uses_dynamic_stack 0
		.amdhsa_system_sgpr_private_segment_wavefront_offset 0
		.amdhsa_system_sgpr_workgroup_id_x 1
		.amdhsa_system_sgpr_workgroup_id_y 0
		.amdhsa_system_sgpr_workgroup_id_z 1
		.amdhsa_system_sgpr_workgroup_info 0
		.amdhsa_system_vgpr_workitem_id 0
		.amdhsa_next_free_vgpr 10
		.amdhsa_next_free_sgpr 24
		.amdhsa_accum_offset 12
		.amdhsa_reserve_vcc 1
		.amdhsa_reserve_flat_scratch 0
		.amdhsa_float_round_mode_32 0
		.amdhsa_float_round_mode_16_64 0
		.amdhsa_float_denorm_mode_32 3
		.amdhsa_float_denorm_mode_16_64 3
		.amdhsa_dx10_clamp 1
		.amdhsa_ieee_mode 1
		.amdhsa_fp16_overflow 0
		.amdhsa_tg_split 0
		.amdhsa_exception_fp_ieee_invalid_op 0
		.amdhsa_exception_fp_denorm_src 0
		.amdhsa_exception_fp_ieee_div_zero 0
		.amdhsa_exception_fp_ieee_overflow 0
		.amdhsa_exception_fp_ieee_underflow 0
		.amdhsa_exception_fp_ieee_inexact 0
		.amdhsa_exception_int_div_zero 0
	.end_amdhsa_kernel
	.section	.text._ZL24rocblas_dot_kernel_magsqIlLb0ELi512ELi4ELb0EfPKDF16_DF16_EviT5_lT_liPT6_PT4_,"axG",@progbits,_ZL24rocblas_dot_kernel_magsqIlLb0ELi512ELi4ELb0EfPKDF16_DF16_EviT5_lT_liPT6_PT4_,comdat
.Lfunc_end350:
	.size	_ZL24rocblas_dot_kernel_magsqIlLb0ELi512ELi4ELb0EfPKDF16_DF16_EviT5_lT_liPT6_PT4_, .Lfunc_end350-_ZL24rocblas_dot_kernel_magsqIlLb0ELi512ELi4ELb0EfPKDF16_DF16_EviT5_lT_liPT6_PT4_
                                        ; -- End function
	.section	.AMDGPU.csdata,"",@progbits
; Kernel info:
; codeLenInByte = 1028
; NumSgprs: 28
; NumVgprs: 10
; NumAgprs: 0
; TotalNumVgprs: 10
; ScratchSize: 0
; MemoryBound: 0
; FloatMode: 240
; IeeeMode: 1
; LDSByteSize: 128 bytes/workgroup (compile time only)
; SGPRBlocks: 3
; VGPRBlocks: 1
; NumSGPRsForWavesPerEU: 28
; NumVGPRsForWavesPerEU: 10
; AccumOffset: 12
; Occupancy: 8
; WaveLimiterHint : 0
; COMPUTE_PGM_RSRC2:SCRATCH_EN: 0
; COMPUTE_PGM_RSRC2:USER_SGPR: 6
; COMPUTE_PGM_RSRC2:TRAP_HANDLER: 0
; COMPUTE_PGM_RSRC2:TGID_X_EN: 1
; COMPUTE_PGM_RSRC2:TGID_Y_EN: 0
; COMPUTE_PGM_RSRC2:TGID_Z_EN: 1
; COMPUTE_PGM_RSRC2:TIDIG_COMP_CNT: 0
; COMPUTE_PGM_RSRC3_GFX90A:ACCUM_OFFSET: 2
; COMPUTE_PGM_RSRC3_GFX90A:TG_SPLIT: 0
	.section	.text._ZL28rocblas_dot_batched_4_kernelIlLi32ELi4ELb0EDF16_fPKPKDF16_EviT5_lT_lS4_lS5_liPT4_,"axG",@progbits,_ZL28rocblas_dot_batched_4_kernelIlLi32ELi4ELb0EDF16_fPKPKDF16_EviT5_lT_lS4_lS5_liPT4_,comdat
	.globl	_ZL28rocblas_dot_batched_4_kernelIlLi32ELi4ELb0EDF16_fPKPKDF16_EviT5_lT_lS4_lS5_liPT4_ ; -- Begin function _ZL28rocblas_dot_batched_4_kernelIlLi32ELi4ELb0EDF16_fPKPKDF16_EviT5_lT_lS4_lS5_liPT4_
	.p2align	8
	.type	_ZL28rocblas_dot_batched_4_kernelIlLi32ELi4ELb0EDF16_fPKPKDF16_EviT5_lT_lS4_lS5_liPT4_,@function
_ZL28rocblas_dot_batched_4_kernelIlLi32ELi4ELb0EDF16_fPKPKDF16_EviT5_lT_lS4_lS5_liPT4_: ; @_ZL28rocblas_dot_batched_4_kernelIlLi32ELi4ELb0EDF16_fPKPKDF16_EviT5_lT_lS4_lS5_liPT4_
; %bb.0:
	s_load_dword s0, s[4:5], 0x48
	v_bfe_u32 v1, v0, 10, 10
	v_lshl_add_u32 v2, s6, 2, v1
	s_waitcnt lgkmcnt(0)
	v_cmp_gt_u32_e32 vcc, s0, v2
	s_and_saveexec_b64 s[0:1], vcc
	s_cbranch_execz .LBB351_7
; %bb.1:
	s_load_dword s14, s[4:5], 0x0
	s_load_dwordx2 s[8:9], s[4:5], 0x50
	v_mov_b32_e32 v3, 0
	v_and_b32_e32 v6, 0x3ff, v0
	v_mov_b32_e32 v7, v3
	s_waitcnt lgkmcnt(0)
	v_cmp_gt_i32_e32 vcc, s14, v6
	s_and_saveexec_b64 s[10:11], vcc
	s_cbranch_execz .LBB351_5
; %bb.2:
	s_load_dwordx2 s[6:7], s[4:5], 0x8
	s_load_dwordx2 s[12:13], s[4:5], 0x28
	v_lshlrev_b64 v[0:1], 3, v[2:3]
	s_load_dwordx4 s[0:3], s[4:5], 0x10
	s_waitcnt lgkmcnt(0)
	v_mov_b32_e32 v5, s7
	v_add_co_u32_e32 v4, vcc, s6, v0
	v_addc_co_u32_e32 v5, vcc, v5, v1, vcc
	global_load_dwordx2 v[4:5], v[4:5], off
	v_mov_b32_e32 v7, s13
	v_add_co_u32_e32 v0, vcc, s12, v0
	v_addc_co_u32_e32 v1, vcc, v7, v1, vcc
	global_load_dwordx2 v[10:11], v[0:1], off
	s_load_dwordx4 s[4:7], s[4:5], 0x30
	v_mad_u64_u32 v[0:1], s[16:17], s2, v6, 0
	v_mov_b32_e32 v14, v1
	s_lshl_b64 s[16:17], s[0:1], 1
	s_lshl_b64 s[0:1], s[2:3], 6
	s_waitcnt lgkmcnt(0)
	v_mad_u64_u32 v[12:13], s[18:19], s6, v6, 0
	v_mad_u64_u32 v[14:15], s[2:3], s3, v6, v[14:15]
	v_mov_b32_e32 v16, v13
	v_mov_b32_e32 v1, v14
	v_mad_u64_u32 v[16:17], s[2:3], s7, v6, v[16:17]
	v_lshlrev_b64 v[0:1], 1, v[0:1]
	v_mov_b32_e32 v18, s17
	v_mov_b32_e32 v13, v16
	v_add_co_u32_e32 v0, vcc, s16, v0
	s_lshl_b64 s[18:19], s[4:5], 1
	v_lshlrev_b64 v[12:13], 1, v[12:13]
	v_addc_co_u32_e32 v1, vcc, v1, v18, vcc
	v_mov_b32_e32 v19, s19
	v_add_co_u32_e32 v12, vcc, s18, v12
	v_addc_co_u32_e32 v13, vcc, v13, v19, vcc
	s_lshl_b64 s[4:5], s[6:7], 6
	s_mov_b64 s[12:13], 0
	v_mov_b32_e32 v7, 0
	v_mov_b32_e32 v8, s1
	;; [unrolled: 1-line block ×3, first 2 shown]
	s_waitcnt vmcnt(1)
	v_add_co_u32_e32 v0, vcc, v4, v0
	v_addc_co_u32_e32 v1, vcc, v5, v1, vcc
	s_waitcnt vmcnt(0)
	v_add_co_u32_e32 v4, vcc, v10, v12
	v_addc_co_u32_e32 v5, vcc, v11, v13, vcc
	v_mov_b32_e32 v10, v6
.LBB351_3:                              ; =>This Inner Loop Header: Depth=1
	global_load_ushort v11, v[0:1], off
	global_load_ushort v12, v[4:5], off
	v_add_co_u32_e32 v0, vcc, s0, v0
	v_addc_co_u32_e32 v1, vcc, v1, v8, vcc
	v_add_co_u32_e32 v4, vcc, s4, v4
	v_add_u32_e32 v10, 32, v10
	v_addc_co_u32_e32 v5, vcc, v5, v9, vcc
	v_cmp_le_i32_e32 vcc, s14, v10
	s_or_b64 s[12:13], vcc, s[12:13]
	s_waitcnt vmcnt(0)
	v_fma_f16 v7, v11, v12, v7
	s_andn2_b64 exec, exec, s[12:13]
	s_cbranch_execnz .LBB351_3
; %bb.4:
	s_or_b64 exec, exec, s[12:13]
.LBB351_5:
	s_or_b64 exec, exec, s[10:11]
	v_mbcnt_lo_u32_b32 v0, -1, 0
	v_mbcnt_hi_u32_b32 v1, -1, v0
	v_and_b32_e32 v4, 63, v1
	v_cmp_gt_u32_e32 vcc, 48, v4
	v_cndmask_b32_e64 v5, 0, 1, vcc
	v_lshlrev_b32_e32 v5, 4, v5
	v_and_b32_e32 v0, 0xffff, v7
	v_add_lshl_u32 v5, v5, v1, 2
	ds_bpermute_b32 v0, v5, v0
	v_cmp_gt_u32_e32 vcc, 56, v4
	s_mov_b32 s0, 0xffff0000
	s_waitcnt lgkmcnt(0)
	s_barrier
	v_add_f16_e32 v5, v7, v0
	v_cndmask_b32_e64 v7, 0, 1, vcc
	v_lshlrev_b32_e32 v7, 3, v7
	v_and_or_b32 v0, v0, s0, v5
	v_add_lshl_u32 v7, v7, v1, 2
	ds_bpermute_b32 v0, v7, v0
	v_cmp_gt_u32_e32 vcc, 60, v4
	v_cndmask_b32_e64 v7, 0, 1, vcc
	v_lshlrev_b32_e32 v7, 2, v7
	v_add_lshl_u32 v7, v7, v1, 2
	s_waitcnt lgkmcnt(0)
	v_add_f16_e32 v5, v5, v0
	v_and_or_b32 v0, v0, s0, v5
	ds_bpermute_b32 v0, v7, v0
	v_cmp_gt_u32_e32 vcc, 62, v4
	v_cndmask_b32_e64 v7, 0, 1, vcc
	v_lshlrev_b32_e32 v7, 1, v7
	v_add_lshl_u32 v7, v7, v1, 2
	s_waitcnt lgkmcnt(0)
	v_add_f16_e32 v5, v5, v0
	v_and_or_b32 v0, v0, s0, v5
	ds_bpermute_b32 v7, v7, v0
	v_cmp_ne_u32_e32 vcc, 63, v4
	v_addc_co_u32_e32 v1, vcc, 0, v1, vcc
	v_lshlrev_b32_e32 v1, 2, v1
	s_waitcnt lgkmcnt(0)
	v_add_f16_e32 v0, v5, v7
	v_and_or_b32 v5, v7, s0, v0
	ds_bpermute_b32 v1, v1, v5
	v_cmp_eq_u32_e32 vcc, 0, v6
	s_waitcnt lgkmcnt(0)
	s_and_b64 exec, exec, vcc
	s_cbranch_execz .LBB351_7
; %bb.6:
	v_add_f16_e32 v0, v0, v1
	v_cvt_f32_f16_e32 v5, v0
	v_lshlrev_b64 v[2:3], 2, v[2:3]
	v_mov_b32_e32 v4, s9
	v_add_co_u32_e32 v0, vcc, s8, v2
	v_addc_co_u32_e32 v1, vcc, v4, v3, vcc
	global_store_dword v[0:1], v5, off
.LBB351_7:
	s_endpgm
	.section	.rodata,"a",@progbits
	.p2align	6, 0x0
	.amdhsa_kernel _ZL28rocblas_dot_batched_4_kernelIlLi32ELi4ELb0EDF16_fPKPKDF16_EviT5_lT_lS4_lS5_liPT4_
		.amdhsa_group_segment_fixed_size 0
		.amdhsa_private_segment_fixed_size 0
		.amdhsa_kernarg_size 88
		.amdhsa_user_sgpr_count 6
		.amdhsa_user_sgpr_private_segment_buffer 1
		.amdhsa_user_sgpr_dispatch_ptr 0
		.amdhsa_user_sgpr_queue_ptr 0
		.amdhsa_user_sgpr_kernarg_segment_ptr 1
		.amdhsa_user_sgpr_dispatch_id 0
		.amdhsa_user_sgpr_flat_scratch_init 0
		.amdhsa_user_sgpr_kernarg_preload_length 0
		.amdhsa_user_sgpr_kernarg_preload_offset 0
		.amdhsa_user_sgpr_private_segment_size 0
		.amdhsa_uses_dynamic_stack 0
		.amdhsa_system_sgpr_private_segment_wavefront_offset 0
		.amdhsa_system_sgpr_workgroup_id_x 1
		.amdhsa_system_sgpr_workgroup_id_y 0
		.amdhsa_system_sgpr_workgroup_id_z 0
		.amdhsa_system_sgpr_workgroup_info 0
		.amdhsa_system_vgpr_workitem_id 1
		.amdhsa_next_free_vgpr 20
		.amdhsa_next_free_sgpr 20
		.amdhsa_accum_offset 20
		.amdhsa_reserve_vcc 1
		.amdhsa_reserve_flat_scratch 0
		.amdhsa_float_round_mode_32 0
		.amdhsa_float_round_mode_16_64 0
		.amdhsa_float_denorm_mode_32 3
		.amdhsa_float_denorm_mode_16_64 3
		.amdhsa_dx10_clamp 1
		.amdhsa_ieee_mode 1
		.amdhsa_fp16_overflow 0
		.amdhsa_tg_split 0
		.amdhsa_exception_fp_ieee_invalid_op 0
		.amdhsa_exception_fp_denorm_src 0
		.amdhsa_exception_fp_ieee_div_zero 0
		.amdhsa_exception_fp_ieee_overflow 0
		.amdhsa_exception_fp_ieee_underflow 0
		.amdhsa_exception_fp_ieee_inexact 0
		.amdhsa_exception_int_div_zero 0
	.end_amdhsa_kernel
	.section	.text._ZL28rocblas_dot_batched_4_kernelIlLi32ELi4ELb0EDF16_fPKPKDF16_EviT5_lT_lS4_lS5_liPT4_,"axG",@progbits,_ZL28rocblas_dot_batched_4_kernelIlLi32ELi4ELb0EDF16_fPKPKDF16_EviT5_lT_lS4_lS5_liPT4_,comdat
.Lfunc_end351:
	.size	_ZL28rocblas_dot_batched_4_kernelIlLi32ELi4ELb0EDF16_fPKPKDF16_EviT5_lT_lS4_lS5_liPT4_, .Lfunc_end351-_ZL28rocblas_dot_batched_4_kernelIlLi32ELi4ELb0EDF16_fPKPKDF16_EviT5_lT_lS4_lS5_liPT4_
                                        ; -- End function
	.section	.AMDGPU.csdata,"",@progbits
; Kernel info:
; codeLenInByte = 704
; NumSgprs: 24
; NumVgprs: 20
; NumAgprs: 0
; TotalNumVgprs: 20
; ScratchSize: 0
; MemoryBound: 0
; FloatMode: 240
; IeeeMode: 1
; LDSByteSize: 0 bytes/workgroup (compile time only)
; SGPRBlocks: 2
; VGPRBlocks: 2
; NumSGPRsForWavesPerEU: 24
; NumVGPRsForWavesPerEU: 20
; AccumOffset: 20
; Occupancy: 8
; WaveLimiterHint : 0
; COMPUTE_PGM_RSRC2:SCRATCH_EN: 0
; COMPUTE_PGM_RSRC2:USER_SGPR: 6
; COMPUTE_PGM_RSRC2:TRAP_HANDLER: 0
; COMPUTE_PGM_RSRC2:TGID_X_EN: 1
; COMPUTE_PGM_RSRC2:TGID_Y_EN: 0
; COMPUTE_PGM_RSRC2:TGID_Z_EN: 0
; COMPUTE_PGM_RSRC2:TIDIG_COMP_CNT: 1
; COMPUTE_PGM_RSRC3_GFX90A:ACCUM_OFFSET: 4
; COMPUTE_PGM_RSRC3_GFX90A:TG_SPLIT: 0
	.section	.text._ZL28rocblas_dot_batched_4_kernelIlLi64ELi4ELb0EDF16_fPKPKDF16_EviT5_lT_lS4_lS5_liPT4_,"axG",@progbits,_ZL28rocblas_dot_batched_4_kernelIlLi64ELi4ELb0EDF16_fPKPKDF16_EviT5_lT_lS4_lS5_liPT4_,comdat
	.globl	_ZL28rocblas_dot_batched_4_kernelIlLi64ELi4ELb0EDF16_fPKPKDF16_EviT5_lT_lS4_lS5_liPT4_ ; -- Begin function _ZL28rocblas_dot_batched_4_kernelIlLi64ELi4ELb0EDF16_fPKPKDF16_EviT5_lT_lS4_lS5_liPT4_
	.p2align	8
	.type	_ZL28rocblas_dot_batched_4_kernelIlLi64ELi4ELb0EDF16_fPKPKDF16_EviT5_lT_lS4_lS5_liPT4_,@function
_ZL28rocblas_dot_batched_4_kernelIlLi64ELi4ELb0EDF16_fPKPKDF16_EviT5_lT_lS4_lS5_liPT4_: ; @_ZL28rocblas_dot_batched_4_kernelIlLi64ELi4ELb0EDF16_fPKPKDF16_EviT5_lT_lS4_lS5_liPT4_
; %bb.0:
	s_load_dword s0, s[4:5], 0x48
	v_bfe_u32 v1, v0, 10, 10
	v_lshl_add_u32 v2, s6, 2, v1
	s_waitcnt lgkmcnt(0)
	v_cmp_gt_u32_e32 vcc, s0, v2
	s_and_saveexec_b64 s[0:1], vcc
	s_cbranch_execz .LBB352_7
; %bb.1:
	s_load_dword s14, s[4:5], 0x0
	s_load_dwordx2 s[8:9], s[4:5], 0x50
	v_mov_b32_e32 v3, 0
	v_and_b32_e32 v6, 0x3ff, v0
	v_mov_b32_e32 v7, v3
	s_waitcnt lgkmcnt(0)
	v_cmp_gt_i32_e32 vcc, s14, v6
	s_and_saveexec_b64 s[10:11], vcc
	s_cbranch_execz .LBB352_5
; %bb.2:
	s_load_dwordx2 s[6:7], s[4:5], 0x8
	s_load_dwordx2 s[12:13], s[4:5], 0x28
	v_lshlrev_b64 v[0:1], 3, v[2:3]
	s_load_dwordx4 s[0:3], s[4:5], 0x10
	s_waitcnt lgkmcnt(0)
	v_mov_b32_e32 v5, s7
	v_add_co_u32_e32 v4, vcc, s6, v0
	v_addc_co_u32_e32 v5, vcc, v5, v1, vcc
	global_load_dwordx2 v[4:5], v[4:5], off
	v_mov_b32_e32 v7, s13
	v_add_co_u32_e32 v0, vcc, s12, v0
	v_addc_co_u32_e32 v1, vcc, v7, v1, vcc
	global_load_dwordx2 v[10:11], v[0:1], off
	s_load_dwordx4 s[4:7], s[4:5], 0x30
	v_mad_u64_u32 v[0:1], s[16:17], s2, v6, 0
	v_mov_b32_e32 v14, v1
	s_lshl_b64 s[16:17], s[0:1], 1
	s_lshl_b64 s[0:1], s[2:3], 7
	s_waitcnt lgkmcnt(0)
	v_mad_u64_u32 v[12:13], s[18:19], s6, v6, 0
	v_mad_u64_u32 v[14:15], s[2:3], s3, v6, v[14:15]
	v_mov_b32_e32 v16, v13
	v_mov_b32_e32 v1, v14
	v_mad_u64_u32 v[16:17], s[2:3], s7, v6, v[16:17]
	v_lshlrev_b64 v[0:1], 1, v[0:1]
	v_mov_b32_e32 v18, s17
	v_mov_b32_e32 v13, v16
	v_add_co_u32_e32 v0, vcc, s16, v0
	s_lshl_b64 s[18:19], s[4:5], 1
	v_lshlrev_b64 v[12:13], 1, v[12:13]
	v_addc_co_u32_e32 v1, vcc, v1, v18, vcc
	v_mov_b32_e32 v19, s19
	v_add_co_u32_e32 v12, vcc, s18, v12
	v_addc_co_u32_e32 v13, vcc, v13, v19, vcc
	s_lshl_b64 s[4:5], s[6:7], 7
	s_mov_b64 s[12:13], 0
	v_mov_b32_e32 v7, 0
	v_mov_b32_e32 v8, s1
	;; [unrolled: 1-line block ×3, first 2 shown]
	s_waitcnt vmcnt(1)
	v_add_co_u32_e32 v0, vcc, v4, v0
	v_addc_co_u32_e32 v1, vcc, v5, v1, vcc
	s_waitcnt vmcnt(0)
	v_add_co_u32_e32 v4, vcc, v10, v12
	v_addc_co_u32_e32 v5, vcc, v11, v13, vcc
	v_mov_b32_e32 v10, v6
.LBB352_3:                              ; =>This Inner Loop Header: Depth=1
	global_load_ushort v11, v[0:1], off
	global_load_ushort v12, v[4:5], off
	v_add_co_u32_e32 v0, vcc, s0, v0
	v_addc_co_u32_e32 v1, vcc, v1, v8, vcc
	v_add_co_u32_e32 v4, vcc, s4, v4
	v_add_u32_e32 v10, 64, v10
	v_addc_co_u32_e32 v5, vcc, v5, v9, vcc
	v_cmp_le_i32_e32 vcc, s14, v10
	s_or_b64 s[12:13], vcc, s[12:13]
	s_waitcnt vmcnt(0)
	v_fma_f16 v7, v11, v12, v7
	s_andn2_b64 exec, exec, s[12:13]
	s_cbranch_execnz .LBB352_3
; %bb.4:
	s_or_b64 exec, exec, s[12:13]
.LBB352_5:
	s_or_b64 exec, exec, s[10:11]
	v_mbcnt_lo_u32_b32 v0, -1, 0
	v_mbcnt_hi_u32_b32 v1, -1, v0
	v_and_b32_e32 v4, 63, v1
	v_cmp_gt_u32_e32 vcc, 32, v4
	v_cndmask_b32_e64 v5, 0, 1, vcc
	v_lshlrev_b32_e32 v5, 5, v5
	v_and_b32_e32 v0, 0xffff, v7
	v_add_lshl_u32 v5, v5, v1, 2
	ds_bpermute_b32 v0, v5, v0
	v_cmp_gt_u32_e32 vcc, 48, v4
	s_mov_b32 s0, 0xffff0000
	s_waitcnt lgkmcnt(0)
	s_barrier
	v_add_f16_e32 v5, v7, v0
	v_cndmask_b32_e64 v7, 0, 1, vcc
	v_lshlrev_b32_e32 v7, 4, v7
	v_and_or_b32 v0, v0, s0, v5
	v_add_lshl_u32 v7, v7, v1, 2
	ds_bpermute_b32 v0, v7, v0
	v_cmp_gt_u32_e32 vcc, 56, v4
	v_cndmask_b32_e64 v7, 0, 1, vcc
	v_lshlrev_b32_e32 v7, 3, v7
	v_add_lshl_u32 v7, v7, v1, 2
	s_waitcnt lgkmcnt(0)
	v_add_f16_e32 v5, v5, v0
	v_and_or_b32 v0, v0, s0, v5
	ds_bpermute_b32 v0, v7, v0
	v_cmp_gt_u32_e32 vcc, 60, v4
	v_cndmask_b32_e64 v7, 0, 1, vcc
	v_lshlrev_b32_e32 v7, 2, v7
	v_add_lshl_u32 v7, v7, v1, 2
	s_waitcnt lgkmcnt(0)
	v_add_f16_e32 v5, v5, v0
	v_and_or_b32 v0, v0, s0, v5
	;; [unrolled: 8-line block ×3, first 2 shown]
	ds_bpermute_b32 v7, v7, v0
	v_cmp_ne_u32_e32 vcc, 63, v4
	v_addc_co_u32_e32 v1, vcc, 0, v1, vcc
	v_lshlrev_b32_e32 v1, 2, v1
	s_waitcnt lgkmcnt(0)
	v_add_f16_e32 v0, v5, v7
	v_and_or_b32 v5, v7, s0, v0
	ds_bpermute_b32 v1, v1, v5
	v_cmp_eq_u32_e32 vcc, 0, v6
	s_waitcnt lgkmcnt(0)
	s_and_b64 exec, exec, vcc
	s_cbranch_execz .LBB352_7
; %bb.6:
	v_add_f16_e32 v0, v0, v1
	v_cvt_f32_f16_e32 v5, v0
	v_lshlrev_b64 v[2:3], 2, v[2:3]
	v_mov_b32_e32 v4, s9
	v_add_co_u32_e32 v0, vcc, s8, v2
	v_addc_co_u32_e32 v1, vcc, v4, v3, vcc
	global_store_dword v[0:1], v5, off
.LBB352_7:
	s_endpgm
	.section	.rodata,"a",@progbits
	.p2align	6, 0x0
	.amdhsa_kernel _ZL28rocblas_dot_batched_4_kernelIlLi64ELi4ELb0EDF16_fPKPKDF16_EviT5_lT_lS4_lS5_liPT4_
		.amdhsa_group_segment_fixed_size 0
		.amdhsa_private_segment_fixed_size 0
		.amdhsa_kernarg_size 88
		.amdhsa_user_sgpr_count 6
		.amdhsa_user_sgpr_private_segment_buffer 1
		.amdhsa_user_sgpr_dispatch_ptr 0
		.amdhsa_user_sgpr_queue_ptr 0
		.amdhsa_user_sgpr_kernarg_segment_ptr 1
		.amdhsa_user_sgpr_dispatch_id 0
		.amdhsa_user_sgpr_flat_scratch_init 0
		.amdhsa_user_sgpr_kernarg_preload_length 0
		.amdhsa_user_sgpr_kernarg_preload_offset 0
		.amdhsa_user_sgpr_private_segment_size 0
		.amdhsa_uses_dynamic_stack 0
		.amdhsa_system_sgpr_private_segment_wavefront_offset 0
		.amdhsa_system_sgpr_workgroup_id_x 1
		.amdhsa_system_sgpr_workgroup_id_y 0
		.amdhsa_system_sgpr_workgroup_id_z 0
		.amdhsa_system_sgpr_workgroup_info 0
		.amdhsa_system_vgpr_workitem_id 1
		.amdhsa_next_free_vgpr 20
		.amdhsa_next_free_sgpr 20
		.amdhsa_accum_offset 20
		.amdhsa_reserve_vcc 1
		.amdhsa_reserve_flat_scratch 0
		.amdhsa_float_round_mode_32 0
		.amdhsa_float_round_mode_16_64 0
		.amdhsa_float_denorm_mode_32 3
		.amdhsa_float_denorm_mode_16_64 3
		.amdhsa_dx10_clamp 1
		.amdhsa_ieee_mode 1
		.amdhsa_fp16_overflow 0
		.amdhsa_tg_split 0
		.amdhsa_exception_fp_ieee_invalid_op 0
		.amdhsa_exception_fp_denorm_src 0
		.amdhsa_exception_fp_ieee_div_zero 0
		.amdhsa_exception_fp_ieee_overflow 0
		.amdhsa_exception_fp_ieee_underflow 0
		.amdhsa_exception_fp_ieee_inexact 0
		.amdhsa_exception_int_div_zero 0
	.end_amdhsa_kernel
	.section	.text._ZL28rocblas_dot_batched_4_kernelIlLi64ELi4ELb0EDF16_fPKPKDF16_EviT5_lT_lS4_lS5_liPT4_,"axG",@progbits,_ZL28rocblas_dot_batched_4_kernelIlLi64ELi4ELb0EDF16_fPKPKDF16_EviT5_lT_lS4_lS5_liPT4_,comdat
.Lfunc_end352:
	.size	_ZL28rocblas_dot_batched_4_kernelIlLi64ELi4ELb0EDF16_fPKPKDF16_EviT5_lT_lS4_lS5_liPT4_, .Lfunc_end352-_ZL28rocblas_dot_batched_4_kernelIlLi64ELi4ELb0EDF16_fPKPKDF16_EviT5_lT_lS4_lS5_liPT4_
                                        ; -- End function
	.section	.AMDGPU.csdata,"",@progbits
; Kernel info:
; codeLenInByte = 752
; NumSgprs: 24
; NumVgprs: 20
; NumAgprs: 0
; TotalNumVgprs: 20
; ScratchSize: 0
; MemoryBound: 0
; FloatMode: 240
; IeeeMode: 1
; LDSByteSize: 0 bytes/workgroup (compile time only)
; SGPRBlocks: 2
; VGPRBlocks: 2
; NumSGPRsForWavesPerEU: 24
; NumVGPRsForWavesPerEU: 20
; AccumOffset: 20
; Occupancy: 8
; WaveLimiterHint : 0
; COMPUTE_PGM_RSRC2:SCRATCH_EN: 0
; COMPUTE_PGM_RSRC2:USER_SGPR: 6
; COMPUTE_PGM_RSRC2:TRAP_HANDLER: 0
; COMPUTE_PGM_RSRC2:TGID_X_EN: 1
; COMPUTE_PGM_RSRC2:TGID_Y_EN: 0
; COMPUTE_PGM_RSRC2:TGID_Z_EN: 0
; COMPUTE_PGM_RSRC2:TIDIG_COMP_CNT: 1
; COMPUTE_PGM_RSRC3_GFX90A:ACCUM_OFFSET: 4
; COMPUTE_PGM_RSRC3_GFX90A:TG_SPLIT: 0
	.section	.text._ZL26rocblas_dot_kernel_inc1by2ILb1ELi1024ELi32ELb0EfPKPKDF16_DF16_EviT4_llS4_lliPT5_PT3_,"axG",@progbits,_ZL26rocblas_dot_kernel_inc1by2ILb1ELi1024ELi32ELb0EfPKPKDF16_DF16_EviT4_llS4_lliPT5_PT3_,comdat
	.globl	_ZL26rocblas_dot_kernel_inc1by2ILb1ELi1024ELi32ELb0EfPKPKDF16_DF16_EviT4_llS4_lliPT5_PT3_ ; -- Begin function _ZL26rocblas_dot_kernel_inc1by2ILb1ELi1024ELi32ELb0EfPKPKDF16_DF16_EviT4_llS4_lliPT5_PT3_
	.p2align	8
	.type	_ZL26rocblas_dot_kernel_inc1by2ILb1ELi1024ELi32ELb0EfPKPKDF16_DF16_EviT4_llS4_lliPT5_PT3_,@function
_ZL26rocblas_dot_kernel_inc1by2ILb1ELi1024ELi32ELb0EfPKPKDF16_DF16_EviT4_llS4_lliPT5_PT3_: ; @_ZL26rocblas_dot_kernel_inc1by2ILb1ELi1024ELi32ELb0EfPKPKDF16_DF16_EviT4_llS4_lliPT5_PT3_
; %bb.0:
	s_load_dword s20, s[4:5], 0x0
	s_load_dwordx4 s[0:3], s[4:5], 0x8
	s_load_dwordx2 s[12:13], s[4:5], 0x48
	s_load_dwordx4 s[8:11], s[4:5], 0x20
	s_mov_b32 s6, s7
	s_mov_b32 s7, 0
	s_lshl_b64 s[14:15], s[6:7], 3
	s_waitcnt lgkmcnt(0)
	s_add_u32 s0, s0, s14
	s_addc_u32 s1, s1, s15
	s_load_dwordx2 s[4:5], s[0:1], 0x0
	s_add_u32 s0, s8, s14
	s_addc_u32 s1, s9, s15
	s_load_dwordx2 s[14:15], s[0:1], 0x0
	v_lshlrev_b32_e32 v6, 1, v0
	s_add_i32 s8, s20, -1
	v_cmp_gt_i32_e32 vcc, s8, v6
	v_mov_b32_e32 v1, 0
	s_and_saveexec_b64 s[16:17], vcc
	s_cbranch_execz .LBB353_4
; %bb.1:
	s_lshl_b64 s[0:1], s[10:11], 1
	s_waitcnt lgkmcnt(0)
	s_add_u32 s0, s14, s0
	v_lshlrev_b32_e32 v4, 2, v0
	s_addc_u32 s1, s15, s1
	v_mov_b32_e32 v3, s1
	v_add_co_u32_e32 v2, vcc, s0, v4
	s_lshl_b64 s[0:1], s[2:3], 1
	s_add_u32 s0, s4, s0
	v_addc_co_u32_e32 v3, vcc, 0, v3, vcc
	s_addc_u32 s1, s5, s1
	v_mov_b32_e32 v5, s1
	v_add_co_u32_e32 v4, vcc, s0, v4
	v_mov_b32_e32 v1, 0
	v_addc_co_u32_e32 v5, vcc, 0, v5, vcc
	s_mov_b64 s[18:19], 0
	s_mov_b32 s9, s7
.LBB353_2:                              ; =>This Inner Loop Header: Depth=1
	global_load_dword v7, v[2:3], off
	global_load_dword v8, v[4:5], off
	s_add_i32 s21, s9, 1
	v_add_u32_e32 v6, 0x800, v6
	s_cmp_gt_u32 s9, 30
	v_add_co_u32_e32 v2, vcc, 0x1000, v2
	v_cmp_le_i32_e64 s[0:1], s8, v6
	s_cselect_b64 s[22:23], -1, 0
	v_addc_co_u32_e32 v3, vcc, 0, v3, vcc
	s_or_b64 s[0:1], s[22:23], s[0:1]
	v_add_co_u32_e32 v4, vcc, 0x1000, v4
	s_and_b64 s[0:1], exec, s[0:1]
	s_mov_b32 s9, s21
	v_addc_co_u32_e32 v5, vcc, 0, v5, vcc
	s_or_b64 s[18:19], s[0:1], s[18:19]
	s_waitcnt vmcnt(0)
	v_pk_mul_f16 v7, v7, v8
	v_add_f16_e32 v1, v1, v7
	v_add_f16_sdwa v1, v1, v7 dst_sel:DWORD dst_unused:UNUSED_PAD src0_sel:DWORD src1_sel:WORD_1
	s_andn2_b64 exec, exec, s[18:19]
	s_cbranch_execnz .LBB353_2
; %bb.3:
	s_or_b64 exec, exec, s[18:19]
.LBB353_4:
	s_or_b64 exec, exec, s[16:17]
	s_bitcmp1_b32 s20, 0
	s_cselect_b64 s[0:1], -1, 0
	v_cmp_eq_u32_e32 vcc, s8, v6
	s_and_b64 s[16:17], s[0:1], vcc
	s_and_saveexec_b64 s[0:1], s[16:17]
	s_cbranch_execz .LBB353_6
; %bb.5:
	s_lshl_b64 s[2:3], s[2:3], 1
	s_waitcnt lgkmcnt(0)
	s_add_u32 s4, s4, s2
	s_addc_u32 s5, s5, s3
	s_lshl_b64 s[2:3], s[10:11], 1
	s_add_u32 s10, s14, s2
	s_mov_b32 s9, 0
	s_addc_u32 s11, s15, s3
	s_lshl_b64 s[2:3], s[8:9], 1
	s_add_u32 s4, s4, s2
	s_addc_u32 s5, s5, s3
	s_add_u32 s2, s10, s2
	v_mov_b32_e32 v2, 0
	s_addc_u32 s3, s11, s3
	global_load_ushort v3, v2, s[2:3]
	global_load_ushort v4, v2, s[4:5]
	s_waitcnt vmcnt(0)
	v_fma_f16 v1, v3, v4, v1
.LBB353_6:
	s_or_b64 exec, exec, s[0:1]
	v_and_b32_e32 v3, 63, v0
	v_cmp_gt_u32_e32 vcc, 64, v0
	v_lshlrev_b32_e32 v2, 1, v3
	s_and_saveexec_b64 s[0:1], vcc
	s_cbranch_execz .LBB353_8
; %bb.7:
	v_mov_b32_e32 v4, 0
	ds_write_b16 v2, v4
.LBB353_8:
	s_or_b64 exec, exec, s[0:1]
	v_mbcnt_lo_u32_b32 v4, -1, 0
	v_mbcnt_hi_u32_b32 v6, -1, v4
	v_and_b32_e32 v8, 63, v6
	v_cmp_gt_u32_e64 s[0:1], 32, v8
	v_cndmask_b32_e64 v5, 0, 1, s[0:1]
	v_lshlrev_b32_e32 v5, 5, v5
	v_and_b32_e32 v4, 0xffff, v1
	v_add_lshl_u32 v5, v5, v6, 2
	ds_bpermute_b32 v4, v5, v4
	v_cmp_gt_u32_e64 s[0:1], 48, v8
	v_cndmask_b32_e64 v5, 0, 1, s[0:1]
	s_mov_b32 s2, 0xffff0000
	v_lshlrev_b32_e32 v5, 4, v5
	s_waitcnt lgkmcnt(0)
	v_add_f16_e32 v1, v1, v4
	v_and_or_b32 v4, v4, s2, v1
	v_add_lshl_u32 v5, v5, v6, 2
	ds_bpermute_b32 v4, v5, v4
	v_cmp_gt_u32_e64 s[0:1], 56, v8
	s_waitcnt lgkmcnt(0)
	s_barrier
	v_add_f16_e32 v5, v1, v4
	v_cndmask_b32_e64 v1, 0, 1, s[0:1]
	v_lshlrev_b32_e32 v1, 3, v1
	v_and_or_b32 v4, v4, s2, v5
	v_add_lshl_u32 v1, v1, v6, 2
	ds_bpermute_b32 v4, v1, v4
	v_cmp_gt_u32_e64 s[0:1], 60, v8
	s_waitcnt lgkmcnt(0)
	v_add_f16_e32 v5, v5, v4
	v_and_or_b32 v7, v4, s2, v5
	v_cndmask_b32_e64 v4, 0, 1, s[0:1]
	v_lshlrev_b32_e32 v4, 2, v4
	v_add_lshl_u32 v4, v4, v6, 2
	ds_bpermute_b32 v7, v4, v7
	v_cmp_gt_u32_e64 s[0:1], 62, v8
	s_waitcnt lgkmcnt(0)
	v_add_f16_e32 v9, v5, v7
	v_cndmask_b32_e64 v5, 0, 1, s[0:1]
	v_lshlrev_b32_e32 v5, 1, v5
	v_and_or_b32 v7, v7, s2, v9
	v_add_lshl_u32 v5, v5, v6, 2
	ds_bpermute_b32 v10, v5, v7
	v_cmp_ne_u32_e64 s[0:1], 63, v8
	v_addc_co_u32_e64 v6, s[0:1], 0, v6, s[0:1]
	v_lshlrev_b32_e32 v6, 2, v6
	s_waitcnt lgkmcnt(0)
	v_add_f16_e32 v7, v9, v10
	v_and_or_b32 v9, v10, s2, v7
	ds_bpermute_b32 v8, v6, v9
	v_cmp_eq_u32_e64 s[0:1], 0, v3
	s_and_saveexec_b64 s[2:3], s[0:1]
	s_cbranch_execz .LBB353_10
; %bb.9:
	s_waitcnt lgkmcnt(0)
	v_add_f16_e32 v3, v7, v8
	v_lshrrev_b32_e32 v7, 5, v0
	v_and_b32_e32 v7, 30, v7
	ds_write_b16 v7, v3
.LBB353_10:
	s_or_b64 exec, exec, s[2:3]
	v_cmp_gt_u32_e64 s[0:1], 16, v0
	v_mov_b32_e32 v3, 0
	s_waitcnt lgkmcnt(0)
	s_barrier
	s_and_saveexec_b64 s[2:3], s[0:1]
	s_cbranch_execnz .LBB353_14
; %bb.11:
	s_or_b64 exec, exec, s[2:3]
	s_and_saveexec_b64 s[0:1], vcc
	s_cbranch_execnz .LBB353_15
.LBB353_12:
	s_or_b64 exec, exec, s[0:1]
	v_cmp_eq_u32_e32 vcc, 0, v0
	s_and_saveexec_b64 s[0:1], vcc
	s_cbranch_execnz .LBB353_16
.LBB353_13:
	s_endpgm
.LBB353_14:
	ds_read_u16 v3, v2
	s_or_b64 exec, exec, s[2:3]
	s_and_saveexec_b64 s[0:1], vcc
	s_cbranch_execz .LBB353_12
.LBB353_15:
	s_waitcnt lgkmcnt(0)
	v_and_b32_e32 v2, 0xffff, v3
	ds_bpermute_b32 v1, v1, v2
	s_mov_b32 s2, 0xffff0000
	s_waitcnt lgkmcnt(0)
	v_add_f16_e32 v2, v3, v1
	v_and_or_b32 v1, v1, s2, v2
	ds_bpermute_b32 v1, v4, v1
	s_waitcnt lgkmcnt(0)
	v_add_f16_e32 v2, v2, v1
	v_and_or_b32 v1, v1, s2, v2
	ds_bpermute_b32 v1, v5, v1
	;; [unrolled: 4-line block ×3, first 2 shown]
	s_waitcnt lgkmcnt(0)
	v_add_f16_e32 v3, v2, v1
	s_or_b64 exec, exec, s[0:1]
	v_cmp_eq_u32_e32 vcc, 0, v0
	s_and_saveexec_b64 s[0:1], vcc
	s_cbranch_execz .LBB353_13
.LBB353_16:
	s_waitcnt lgkmcnt(0)
	v_cvt_f32_f16_e32 v0, v3
	s_lshl_b64 s[0:1], s[6:7], 2
	s_add_u32 s0, s12, s0
	s_addc_u32 s1, s13, s1
	v_mov_b32_e32 v1, 0
	global_store_dword v1, v0, s[0:1]
	s_endpgm
	.section	.rodata,"a",@progbits
	.p2align	6, 0x0
	.amdhsa_kernel _ZL26rocblas_dot_kernel_inc1by2ILb1ELi1024ELi32ELb0EfPKPKDF16_DF16_EviT4_llS4_lliPT5_PT3_
		.amdhsa_group_segment_fixed_size 128
		.amdhsa_private_segment_fixed_size 0
		.amdhsa_kernarg_size 80
		.amdhsa_user_sgpr_count 6
		.amdhsa_user_sgpr_private_segment_buffer 1
		.amdhsa_user_sgpr_dispatch_ptr 0
		.amdhsa_user_sgpr_queue_ptr 0
		.amdhsa_user_sgpr_kernarg_segment_ptr 1
		.amdhsa_user_sgpr_dispatch_id 0
		.amdhsa_user_sgpr_flat_scratch_init 0
		.amdhsa_user_sgpr_kernarg_preload_length 0
		.amdhsa_user_sgpr_kernarg_preload_offset 0
		.amdhsa_user_sgpr_private_segment_size 0
		.amdhsa_uses_dynamic_stack 0
		.amdhsa_system_sgpr_private_segment_wavefront_offset 0
		.amdhsa_system_sgpr_workgroup_id_x 1
		.amdhsa_system_sgpr_workgroup_id_y 0
		.amdhsa_system_sgpr_workgroup_id_z 1
		.amdhsa_system_sgpr_workgroup_info 0
		.amdhsa_system_vgpr_workitem_id 0
		.amdhsa_next_free_vgpr 11
		.amdhsa_next_free_sgpr 24
		.amdhsa_accum_offset 12
		.amdhsa_reserve_vcc 1
		.amdhsa_reserve_flat_scratch 0
		.amdhsa_float_round_mode_32 0
		.amdhsa_float_round_mode_16_64 0
		.amdhsa_float_denorm_mode_32 3
		.amdhsa_float_denorm_mode_16_64 3
		.amdhsa_dx10_clamp 1
		.amdhsa_ieee_mode 1
		.amdhsa_fp16_overflow 0
		.amdhsa_tg_split 0
		.amdhsa_exception_fp_ieee_invalid_op 0
		.amdhsa_exception_fp_denorm_src 0
		.amdhsa_exception_fp_ieee_div_zero 0
		.amdhsa_exception_fp_ieee_overflow 0
		.amdhsa_exception_fp_ieee_underflow 0
		.amdhsa_exception_fp_ieee_inexact 0
		.amdhsa_exception_int_div_zero 0
	.end_amdhsa_kernel
	.section	.text._ZL26rocblas_dot_kernel_inc1by2ILb1ELi1024ELi32ELb0EfPKPKDF16_DF16_EviT4_llS4_lliPT5_PT3_,"axG",@progbits,_ZL26rocblas_dot_kernel_inc1by2ILb1ELi1024ELi32ELb0EfPKPKDF16_DF16_EviT4_llS4_lliPT5_PT3_,comdat
.Lfunc_end353:
	.size	_ZL26rocblas_dot_kernel_inc1by2ILb1ELi1024ELi32ELb0EfPKPKDF16_DF16_EviT4_llS4_lliPT5_PT3_, .Lfunc_end353-_ZL26rocblas_dot_kernel_inc1by2ILb1ELi1024ELi32ELb0EfPKPKDF16_DF16_EviT4_llS4_lliPT5_PT3_
                                        ; -- End function
	.section	.AMDGPU.csdata,"",@progbits
; Kernel info:
; codeLenInByte = 1056
; NumSgprs: 28
; NumVgprs: 11
; NumAgprs: 0
; TotalNumVgprs: 11
; ScratchSize: 0
; MemoryBound: 0
; FloatMode: 240
; IeeeMode: 1
; LDSByteSize: 128 bytes/workgroup (compile time only)
; SGPRBlocks: 3
; VGPRBlocks: 1
; NumSGPRsForWavesPerEU: 28
; NumVGPRsForWavesPerEU: 11
; AccumOffset: 12
; Occupancy: 8
; WaveLimiterHint : 1
; COMPUTE_PGM_RSRC2:SCRATCH_EN: 0
; COMPUTE_PGM_RSRC2:USER_SGPR: 6
; COMPUTE_PGM_RSRC2:TRAP_HANDLER: 0
; COMPUTE_PGM_RSRC2:TGID_X_EN: 1
; COMPUTE_PGM_RSRC2:TGID_Y_EN: 0
; COMPUTE_PGM_RSRC2:TGID_Z_EN: 1
; COMPUTE_PGM_RSRC2:TIDIG_COMP_CNT: 0
; COMPUTE_PGM_RSRC3_GFX90A:ACCUM_OFFSET: 2
; COMPUTE_PGM_RSRC3_GFX90A:TG_SPLIT: 0
	.section	.text._ZL18rocblas_dot_kernelIlLb1ELi1024ELi32ELb0EfPKPKDF16_DF16_EviT5_lT_lS4_lS5_liPT6_PT4_,"axG",@progbits,_ZL18rocblas_dot_kernelIlLb1ELi1024ELi32ELb0EfPKPKDF16_DF16_EviT5_lT_lS4_lS5_liPT6_PT4_,comdat
	.globl	_ZL18rocblas_dot_kernelIlLb1ELi1024ELi32ELb0EfPKPKDF16_DF16_EviT5_lT_lS4_lS5_liPT6_PT4_ ; -- Begin function _ZL18rocblas_dot_kernelIlLb1ELi1024ELi32ELb0EfPKPKDF16_DF16_EviT5_lT_lS4_lS5_liPT6_PT4_
	.p2align	8
	.type	_ZL18rocblas_dot_kernelIlLb1ELi1024ELi32ELb0EfPKPKDF16_DF16_EviT5_lT_lS4_lS5_liPT6_PT4_,@function
_ZL18rocblas_dot_kernelIlLb1ELi1024ELi32ELb0EfPKPKDF16_DF16_EviT5_lT_lS4_lS5_liPT6_PT4_: ; @_ZL18rocblas_dot_kernelIlLb1ELi1024ELi32ELb0EfPKPKDF16_DF16_EviT5_lT_lS4_lS5_liPT6_PT4_
; %bb.0:
	s_load_dword s16, s[4:5], 0x0
	s_load_dwordx2 s[12:13], s[4:5], 0x58
	s_mov_b32 s6, s7
	s_mov_b32 s7, 0
	v_mov_b32_e32 v6, 0
	s_waitcnt lgkmcnt(0)
	v_cmp_gt_i32_e32 vcc, s16, v0
	s_and_saveexec_b64 s[14:15], vcc
	s_cbranch_execz .LBB354_4
; %bb.1:
	s_load_dwordx2 s[18:19], s[4:5], 0x8
	s_load_dwordx4 s[8:11], s[4:5], 0x10
	s_load_dwordx2 s[20:21], s[4:5], 0x28
	s_load_dwordx4 s[0:3], s[4:5], 0x30
	s_lshl_b64 s[22:23], s[6:7], 3
	s_waitcnt lgkmcnt(0)
	s_add_u32 s18, s18, s22
	s_addc_u32 s19, s19, s23
	s_load_dword s17, s[4:5], 0x60
	s_load_dwordx2 s[24:25], s[18:19], 0x0
	s_add_u32 s4, s20, s22
	s_addc_u32 s5, s21, s23
	s_load_dwordx2 s[18:19], s[4:5], 0x0
	v_mad_u64_u32 v[2:3], s[4:5], s10, v0, 0
	v_mov_b32_e32 v4, v3
	v_mad_u64_u32 v[4:5], s[4:5], s11, v0, v[4:5]
	s_waitcnt lgkmcnt(0)
	s_lshl_b32 s17, s17, 10
	s_lshl_b64 s[4:5], s[8:9], 1
	v_mov_b32_e32 v3, v4
	s_add_u32 s4, s24, s4
	v_lshlrev_b64 v[2:3], 1, v[2:3]
	s_addc_u32 s5, s25, s5
	s_ashr_i32 s20, s17, 31
	v_mov_b32_e32 v4, s5
	v_add_co_u32_e32 v2, vcc, s4, v2
	s_mul_i32 s4, s10, s20
	s_mul_hi_u32 s5, s10, s17
	v_addc_co_u32_e32 v3, vcc, v4, v3, vcc
	s_add_i32 s4, s5, s4
	s_mul_i32 s5, s11, s17
	v_mad_u64_u32 v[4:5], s[8:9], s2, v0, 0
	s_add_i32 s5, s4, s5
	s_mul_i32 s4, s10, s17
	v_mov_b32_e32 v6, v5
	s_lshl_b64 s[4:5], s[4:5], 1
	v_mad_u64_u32 v[6:7], s[8:9], s3, v0, v[6:7]
	s_lshl_b64 s[0:1], s[0:1], 1
	v_mov_b32_e32 v5, v6
	s_add_u32 s0, s18, s0
	v_lshlrev_b64 v[4:5], 1, v[4:5]
	s_addc_u32 s1, s19, s1
	v_mov_b32_e32 v6, s1
	v_add_co_u32_e32 v4, vcc, s0, v4
	s_mul_i32 s0, s2, s20
	s_mul_hi_u32 s1, s2, s17
	s_add_i32 s0, s1, s0
	s_mul_i32 s1, s3, s17
	s_add_i32 s1, s0, s1
	s_mul_i32 s0, s2, s17
	s_lshl_b64 s[8:9], s[0:1], 1
	v_or_b32_e32 v1, s17, v0
	v_addc_co_u32_e32 v5, vcc, v6, v5, vcc
	s_mov_b64 s[2:3], 0
	v_mov_b32_e32 v6, 0
	v_mov_b32_e32 v7, s5
	;; [unrolled: 1-line block ×3, first 2 shown]
	s_mov_b32 s5, s7
.LBB354_2:                              ; =>This Inner Loop Header: Depth=1
	global_load_ushort v9, v[4:5], off
	global_load_ushort v10, v[2:3], off
	v_add_co_u32_e64 v2, s[0:1], s4, v2
	v_addc_co_u32_e64 v3, s[0:1], v3, v7, s[0:1]
	s_add_i32 s9, s5, 1
	v_add_co_u32_e64 v4, s[0:1], s8, v4
	v_addc_co_u32_e64 v5, s[0:1], v5, v8, s[0:1]
	s_cmp_gt_u32 s5, 30
	v_cmp_le_i32_e32 vcc, s16, v1
	s_cselect_b64 s[0:1], -1, 0
	s_or_b64 s[0:1], s[0:1], vcc
	s_and_b64 s[0:1], exec, s[0:1]
	v_add_u32_e32 v1, s17, v1
	s_mov_b32 s5, s9
	s_or_b64 s[2:3], s[0:1], s[2:3]
	s_waitcnt vmcnt(0)
	v_fma_f16 v6, v9, v10, v6
	s_andn2_b64 exec, exec, s[2:3]
	s_cbranch_execnz .LBB354_2
; %bb.3:
	s_or_b64 exec, exec, s[2:3]
.LBB354_4:
	s_or_b64 exec, exec, s[14:15]
	v_and_b32_e32 v2, 63, v0
	v_cmp_gt_u32_e32 vcc, 64, v0
	v_lshlrev_b32_e32 v1, 1, v2
	s_and_saveexec_b64 s[0:1], vcc
	s_cbranch_execz .LBB354_6
; %bb.5:
	v_mov_b32_e32 v3, 0
	ds_write_b16 v1, v3
.LBB354_6:
	s_or_b64 exec, exec, s[0:1]
	v_mbcnt_lo_u32_b32 v3, -1, 0
	v_mbcnt_hi_u32_b32 v8, -1, v3
	v_and_b32_e32 v9, 63, v8
	v_cmp_gt_u32_e64 s[0:1], 32, v9
	v_cndmask_b32_e64 v4, 0, 1, s[0:1]
	v_lshlrev_b32_e32 v4, 5, v4
	v_and_b32_e32 v3, 0xffff, v6
	v_add_lshl_u32 v4, v4, v8, 2
	ds_bpermute_b32 v3, v4, v3
	v_cmp_gt_u32_e64 s[0:1], 48, v9
	v_cndmask_b32_e64 v5, 0, 1, s[0:1]
	s_mov_b32 s2, 0xffff0000
	v_lshlrev_b32_e32 v5, 4, v5
	s_waitcnt lgkmcnt(0)
	v_add_f16_e32 v4, v6, v3
	v_and_or_b32 v3, v3, s2, v4
	v_add_lshl_u32 v5, v5, v8, 2
	ds_bpermute_b32 v3, v5, v3
	v_cmp_gt_u32_e64 s[0:1], 56, v9
	s_waitcnt lgkmcnt(0)
	s_barrier
	v_add_f16_e32 v4, v4, v3
	v_and_or_b32 v5, v3, s2, v4
	v_cndmask_b32_e64 v3, 0, 1, s[0:1]
	v_lshlrev_b32_e32 v3, 3, v3
	v_add_lshl_u32 v3, v3, v8, 2
	ds_bpermute_b32 v5, v3, v5
	v_cmp_gt_u32_e64 s[0:1], 60, v9
	s_waitcnt lgkmcnt(0)
	v_add_f16_e32 v6, v4, v5
	v_cndmask_b32_e64 v4, 0, 1, s[0:1]
	v_lshlrev_b32_e32 v4, 2, v4
	v_and_or_b32 v5, v5, s2, v6
	v_add_lshl_u32 v4, v4, v8, 2
	ds_bpermute_b32 v5, v4, v5
	v_cmp_gt_u32_e64 s[0:1], 62, v9
	s_waitcnt lgkmcnt(0)
	v_add_f16_e32 v6, v6, v5
	v_and_or_b32 v7, v5, s2, v6
	v_cndmask_b32_e64 v5, 0, 1, s[0:1]
	v_lshlrev_b32_e32 v5, 1, v5
	v_add_lshl_u32 v5, v5, v8, 2
	ds_bpermute_b32 v10, v5, v7
	v_cmp_ne_u32_e64 s[0:1], 63, v9
	s_waitcnt lgkmcnt(0)
	v_add_f16_e32 v7, v6, v10
	v_addc_co_u32_e64 v6, s[0:1], 0, v8, s[0:1]
	v_and_or_b32 v10, v10, s2, v7
	v_lshlrev_b32_e32 v6, 2, v6
	ds_bpermute_b32 v8, v6, v10
	v_cmp_eq_u32_e64 s[0:1], 0, v2
	s_and_saveexec_b64 s[2:3], s[0:1]
	s_cbranch_execz .LBB354_8
; %bb.7:
	s_waitcnt lgkmcnt(0)
	v_add_f16_e32 v2, v7, v8
	v_lshrrev_b32_e32 v7, 5, v0
	v_and_b32_e32 v7, 30, v7
	ds_write_b16 v7, v2
.LBB354_8:
	s_or_b64 exec, exec, s[2:3]
	v_cmp_gt_u32_e64 s[0:1], 16, v0
	v_mov_b32_e32 v2, 0
	s_waitcnt lgkmcnt(0)
	s_barrier
	s_and_saveexec_b64 s[2:3], s[0:1]
	s_cbranch_execnz .LBB354_12
; %bb.9:
	s_or_b64 exec, exec, s[2:3]
	s_and_saveexec_b64 s[0:1], vcc
	s_cbranch_execnz .LBB354_13
.LBB354_10:
	s_or_b64 exec, exec, s[0:1]
	v_cmp_eq_u32_e32 vcc, 0, v0
	s_and_saveexec_b64 s[0:1], vcc
	s_cbranch_execnz .LBB354_14
.LBB354_11:
	s_endpgm
.LBB354_12:
	ds_read_u16 v2, v1
	s_or_b64 exec, exec, s[2:3]
	s_and_saveexec_b64 s[0:1], vcc
	s_cbranch_execz .LBB354_10
.LBB354_13:
	s_waitcnt lgkmcnt(0)
	v_and_b32_e32 v1, 0xffff, v2
	ds_bpermute_b32 v1, v3, v1
	s_mov_b32 s2, 0xffff0000
	s_waitcnt lgkmcnt(0)
	v_add_f16_e32 v2, v2, v1
	v_and_or_b32 v1, v1, s2, v2
	ds_bpermute_b32 v1, v4, v1
	s_waitcnt lgkmcnt(0)
	v_add_f16_e32 v2, v2, v1
	v_and_or_b32 v1, v1, s2, v2
	ds_bpermute_b32 v1, v5, v1
	;; [unrolled: 4-line block ×3, first 2 shown]
	s_waitcnt lgkmcnt(0)
	v_add_f16_e32 v2, v2, v1
	s_or_b64 exec, exec, s[0:1]
	v_cmp_eq_u32_e32 vcc, 0, v0
	s_and_saveexec_b64 s[0:1], vcc
	s_cbranch_execz .LBB354_11
.LBB354_14:
	s_waitcnt lgkmcnt(0)
	v_cvt_f32_f16_e32 v0, v2
	s_lshl_b64 s[0:1], s[6:7], 2
	s_add_u32 s0, s12, s0
	s_addc_u32 s1, s13, s1
	v_mov_b32_e32 v1, 0
	global_store_dword v1, v0, s[0:1]
	s_endpgm
	.section	.rodata,"a",@progbits
	.p2align	6, 0x0
	.amdhsa_kernel _ZL18rocblas_dot_kernelIlLb1ELi1024ELi32ELb0EfPKPKDF16_DF16_EviT5_lT_lS4_lS5_liPT6_PT4_
		.amdhsa_group_segment_fixed_size 128
		.amdhsa_private_segment_fixed_size 0
		.amdhsa_kernarg_size 352
		.amdhsa_user_sgpr_count 6
		.amdhsa_user_sgpr_private_segment_buffer 1
		.amdhsa_user_sgpr_dispatch_ptr 0
		.amdhsa_user_sgpr_queue_ptr 0
		.amdhsa_user_sgpr_kernarg_segment_ptr 1
		.amdhsa_user_sgpr_dispatch_id 0
		.amdhsa_user_sgpr_flat_scratch_init 0
		.amdhsa_user_sgpr_kernarg_preload_length 0
		.amdhsa_user_sgpr_kernarg_preload_offset 0
		.amdhsa_user_sgpr_private_segment_size 0
		.amdhsa_uses_dynamic_stack 0
		.amdhsa_system_sgpr_private_segment_wavefront_offset 0
		.amdhsa_system_sgpr_workgroup_id_x 1
		.amdhsa_system_sgpr_workgroup_id_y 0
		.amdhsa_system_sgpr_workgroup_id_z 1
		.amdhsa_system_sgpr_workgroup_info 0
		.amdhsa_system_vgpr_workitem_id 0
		.amdhsa_next_free_vgpr 11
		.amdhsa_next_free_sgpr 26
		.amdhsa_accum_offset 12
		.amdhsa_reserve_vcc 1
		.amdhsa_reserve_flat_scratch 0
		.amdhsa_float_round_mode_32 0
		.amdhsa_float_round_mode_16_64 0
		.amdhsa_float_denorm_mode_32 3
		.amdhsa_float_denorm_mode_16_64 3
		.amdhsa_dx10_clamp 1
		.amdhsa_ieee_mode 1
		.amdhsa_fp16_overflow 0
		.amdhsa_tg_split 0
		.amdhsa_exception_fp_ieee_invalid_op 0
		.amdhsa_exception_fp_denorm_src 0
		.amdhsa_exception_fp_ieee_div_zero 0
		.amdhsa_exception_fp_ieee_overflow 0
		.amdhsa_exception_fp_ieee_underflow 0
		.amdhsa_exception_fp_ieee_inexact 0
		.amdhsa_exception_int_div_zero 0
	.end_amdhsa_kernel
	.section	.text._ZL18rocblas_dot_kernelIlLb1ELi1024ELi32ELb0EfPKPKDF16_DF16_EviT5_lT_lS4_lS5_liPT6_PT4_,"axG",@progbits,_ZL18rocblas_dot_kernelIlLb1ELi1024ELi32ELb0EfPKPKDF16_DF16_EviT5_lT_lS4_lS5_liPT6_PT4_,comdat
.Lfunc_end354:
	.size	_ZL18rocblas_dot_kernelIlLb1ELi1024ELi32ELb0EfPKPKDF16_DF16_EviT5_lT_lS4_lS5_liPT6_PT4_, .Lfunc_end354-_ZL18rocblas_dot_kernelIlLb1ELi1024ELi32ELb0EfPKPKDF16_DF16_EviT5_lT_lS4_lS5_liPT6_PT4_
                                        ; -- End function
	.section	.AMDGPU.csdata,"",@progbits
; Kernel info:
; codeLenInByte = 1088
; NumSgprs: 30
; NumVgprs: 11
; NumAgprs: 0
; TotalNumVgprs: 11
; ScratchSize: 0
; MemoryBound: 0
; FloatMode: 240
; IeeeMode: 1
; LDSByteSize: 128 bytes/workgroup (compile time only)
; SGPRBlocks: 3
; VGPRBlocks: 1
; NumSGPRsForWavesPerEU: 30
; NumVGPRsForWavesPerEU: 11
; AccumOffset: 12
; Occupancy: 8
; WaveLimiterHint : 0
; COMPUTE_PGM_RSRC2:SCRATCH_EN: 0
; COMPUTE_PGM_RSRC2:USER_SGPR: 6
; COMPUTE_PGM_RSRC2:TRAP_HANDLER: 0
; COMPUTE_PGM_RSRC2:TGID_X_EN: 1
; COMPUTE_PGM_RSRC2:TGID_Y_EN: 0
; COMPUTE_PGM_RSRC2:TGID_Z_EN: 1
; COMPUTE_PGM_RSRC2:TIDIG_COMP_CNT: 0
; COMPUTE_PGM_RSRC3_GFX90A:ACCUM_OFFSET: 2
; COMPUTE_PGM_RSRC3_GFX90A:TG_SPLIT: 0
	.section	.text._ZL24rocblas_dot_kernel_magsqIlLb1ELi1024ELi32ELb0EfPKPKDF16_DF16_EviT5_lT_liPT6_PT4_,"axG",@progbits,_ZL24rocblas_dot_kernel_magsqIlLb1ELi1024ELi32ELb0EfPKPKDF16_DF16_EviT5_lT_liPT6_PT4_,comdat
	.globl	_ZL24rocblas_dot_kernel_magsqIlLb1ELi1024ELi32ELb0EfPKPKDF16_DF16_EviT5_lT_liPT6_PT4_ ; -- Begin function _ZL24rocblas_dot_kernel_magsqIlLb1ELi1024ELi32ELb0EfPKPKDF16_DF16_EviT5_lT_liPT6_PT4_
	.p2align	8
	.type	_ZL24rocblas_dot_kernel_magsqIlLb1ELi1024ELi32ELb0EfPKPKDF16_DF16_EviT5_lT_liPT6_PT4_,@function
_ZL24rocblas_dot_kernel_magsqIlLb1ELi1024ELi32ELb0EfPKPKDF16_DF16_EviT5_lT_liPT6_PT4_: ; @_ZL24rocblas_dot_kernel_magsqIlLb1ELi1024ELi32ELb0EfPKPKDF16_DF16_EviT5_lT_liPT6_PT4_
; %bb.0:
	s_mov_b32 s2, s7
	s_load_dword s12, s[4:5], 0x0
	s_load_dwordx2 s[6:7], s[4:5], 0x38
	s_mov_b32 s3, 0
	v_mov_b32_e32 v4, 0
	s_waitcnt lgkmcnt(0)
	v_cmp_gt_i32_e32 vcc, s12, v0
	s_and_saveexec_b64 s[8:9], vcc
	s_cbranch_execz .LBB355_4
; %bb.1:
	s_load_dwordx2 s[0:1], s[4:5], 0x8
	s_load_dword s10, s[4:5], 0x40
	s_load_dwordx4 s[16:19], s[4:5], 0x10
	s_lshl_b64 s[4:5], s[2:3], 3
	s_waitcnt lgkmcnt(0)
	s_add_u32 s0, s0, s4
	s_addc_u32 s1, s1, s5
	s_load_dwordx2 s[0:1], s[0:1], 0x0
	v_mad_u64_u32 v[2:3], s[4:5], s18, v0, 0
	v_mov_b32_e32 v4, v3
	v_mad_u64_u32 v[4:5], s[4:5], s19, v0, v[4:5]
	s_lshl_b32 s13, s10, 10
	v_mov_b32_e32 v3, v4
	s_lshl_b64 s[4:5], s[16:17], 1
	v_lshlrev_b64 v[2:3], 1, v[2:3]
	s_waitcnt lgkmcnt(0)
	s_add_u32 s0, s0, s4
	s_addc_u32 s1, s1, s5
	v_add_co_u32_e32 v2, vcc, s0, v2
	s_ashr_i32 s0, s13, 31
	v_mov_b32_e32 v4, s1
	s_mul_i32 s0, s18, s0
	s_mul_hi_u32 s1, s18, s13
	s_add_i32 s0, s1, s0
	s_mul_i32 s1, s19, s13
	s_add_i32 s1, s0, s1
	s_mul_i32 s0, s18, s13
	s_lshl_b64 s[10:11], s[0:1], 1
	v_or_b32_e32 v1, s13, v0
	v_addc_co_u32_e32 v3, vcc, v4, v3, vcc
	s_mov_b64 s[4:5], 0
	v_mov_b32_e32 v4, 0
	v_mov_b32_e32 v5, s11
	s_mov_b32 s11, s3
.LBB355_2:                              ; =>This Inner Loop Header: Depth=1
	global_load_ushort v6, v[2:3], off
	s_add_i32 s14, s11, 1
	v_add_co_u32_e64 v2, s[0:1], s10, v2
	v_addc_co_u32_e64 v3, s[0:1], v3, v5, s[0:1]
	s_cmp_gt_u32 s11, 30
	v_cmp_le_i32_e32 vcc, s12, v1
	s_cselect_b64 s[0:1], -1, 0
	s_or_b64 s[0:1], s[0:1], vcc
	s_and_b64 s[0:1], exec, s[0:1]
	v_add_u32_e32 v1, s13, v1
	s_mov_b32 s11, s14
	s_or_b64 s[4:5], s[0:1], s[4:5]
	s_waitcnt vmcnt(0)
	v_fma_f16 v4, v6, v6, v4
	s_andn2_b64 exec, exec, s[4:5]
	s_cbranch_execnz .LBB355_2
; %bb.3:
	s_or_b64 exec, exec, s[4:5]
.LBB355_4:
	s_or_b64 exec, exec, s[8:9]
	v_and_b32_e32 v2, 63, v0
	v_cmp_gt_u32_e32 vcc, 64, v0
	v_lshlrev_b32_e32 v1, 1, v2
	s_and_saveexec_b64 s[0:1], vcc
	s_cbranch_execz .LBB355_6
; %bb.5:
	v_mov_b32_e32 v3, 0
	ds_write_b16 v1, v3
.LBB355_6:
	s_or_b64 exec, exec, s[0:1]
	v_mbcnt_lo_u32_b32 v3, -1, 0
	v_mbcnt_hi_u32_b32 v6, -1, v3
	v_and_b32_e32 v8, 63, v6
	v_cmp_gt_u32_e64 s[0:1], 32, v8
	v_cndmask_b32_e64 v5, 0, 1, s[0:1]
	v_lshlrev_b32_e32 v5, 5, v5
	v_and_b32_e32 v3, 0xffff, v4
	v_add_lshl_u32 v5, v5, v6, 2
	ds_bpermute_b32 v3, v5, v3
	v_cmp_gt_u32_e64 s[0:1], 48, v8
	v_cndmask_b32_e64 v5, 0, 1, s[0:1]
	s_mov_b32 s4, 0xffff0000
	v_lshlrev_b32_e32 v5, 4, v5
	s_waitcnt lgkmcnt(0)
	v_add_f16_e32 v4, v4, v3
	v_and_or_b32 v3, v3, s4, v4
	v_add_lshl_u32 v5, v5, v6, 2
	ds_bpermute_b32 v3, v5, v3
	v_cmp_gt_u32_e64 s[0:1], 56, v8
	s_waitcnt lgkmcnt(0)
	s_barrier
	v_add_f16_e32 v4, v4, v3
	v_and_or_b32 v5, v3, s4, v4
	v_cndmask_b32_e64 v3, 0, 1, s[0:1]
	v_lshlrev_b32_e32 v3, 3, v3
	v_add_lshl_u32 v3, v3, v6, 2
	ds_bpermute_b32 v5, v3, v5
	v_cmp_gt_u32_e64 s[0:1], 60, v8
	s_waitcnt lgkmcnt(0)
	v_add_f16_e32 v7, v4, v5
	v_cndmask_b32_e64 v4, 0, 1, s[0:1]
	v_lshlrev_b32_e32 v4, 2, v4
	v_and_or_b32 v5, v5, s4, v7
	v_add_lshl_u32 v4, v4, v6, 2
	ds_bpermute_b32 v5, v4, v5
	v_cmp_gt_u32_e64 s[0:1], 62, v8
	s_waitcnt lgkmcnt(0)
	v_add_f16_e32 v7, v7, v5
	v_and_or_b32 v9, v5, s4, v7
	v_cndmask_b32_e64 v5, 0, 1, s[0:1]
	v_lshlrev_b32_e32 v5, 1, v5
	v_add_lshl_u32 v5, v5, v6, 2
	ds_bpermute_b32 v9, v5, v9
	v_cmp_ne_u32_e64 s[0:1], 63, v8
	v_addc_co_u32_e64 v6, s[0:1], 0, v6, s[0:1]
	v_lshlrev_b32_e32 v6, 2, v6
	s_waitcnt lgkmcnt(0)
	v_add_f16_e32 v7, v7, v9
	v_and_or_b32 v9, v9, s4, v7
	ds_bpermute_b32 v8, v6, v9
	v_cmp_eq_u32_e64 s[0:1], 0, v2
	s_and_saveexec_b64 s[4:5], s[0:1]
	s_cbranch_execz .LBB355_8
; %bb.7:
	s_waitcnt lgkmcnt(0)
	v_add_f16_e32 v2, v7, v8
	v_lshrrev_b32_e32 v7, 5, v0
	v_and_b32_e32 v7, 30, v7
	ds_write_b16 v7, v2
.LBB355_8:
	s_or_b64 exec, exec, s[4:5]
	v_cmp_gt_u32_e64 s[0:1], 16, v0
	v_mov_b32_e32 v2, 0
	s_waitcnt lgkmcnt(0)
	s_barrier
	s_and_saveexec_b64 s[4:5], s[0:1]
	s_cbranch_execnz .LBB355_12
; %bb.9:
	s_or_b64 exec, exec, s[4:5]
	s_and_saveexec_b64 s[0:1], vcc
	s_cbranch_execnz .LBB355_13
.LBB355_10:
	s_or_b64 exec, exec, s[0:1]
	v_cmp_eq_u32_e32 vcc, 0, v0
	s_and_saveexec_b64 s[0:1], vcc
	s_cbranch_execnz .LBB355_14
.LBB355_11:
	s_endpgm
.LBB355_12:
	ds_read_u16 v2, v1
	s_or_b64 exec, exec, s[4:5]
	s_and_saveexec_b64 s[0:1], vcc
	s_cbranch_execz .LBB355_10
.LBB355_13:
	s_waitcnt lgkmcnt(0)
	v_and_b32_e32 v1, 0xffff, v2
	ds_bpermute_b32 v1, v3, v1
	s_mov_b32 s4, 0xffff0000
	s_waitcnt lgkmcnt(0)
	v_add_f16_e32 v2, v2, v1
	v_and_or_b32 v1, v1, s4, v2
	ds_bpermute_b32 v1, v4, v1
	s_waitcnt lgkmcnt(0)
	v_add_f16_e32 v2, v2, v1
	v_and_or_b32 v1, v1, s4, v2
	ds_bpermute_b32 v1, v5, v1
	;; [unrolled: 4-line block ×3, first 2 shown]
	s_waitcnt lgkmcnt(0)
	v_add_f16_e32 v2, v2, v1
	s_or_b64 exec, exec, s[0:1]
	v_cmp_eq_u32_e32 vcc, 0, v0
	s_and_saveexec_b64 s[0:1], vcc
	s_cbranch_execz .LBB355_11
.LBB355_14:
	s_waitcnt lgkmcnt(0)
	v_cvt_f32_f16_e32 v0, v2
	s_lshl_b64 s[0:1], s[2:3], 2
	s_add_u32 s0, s6, s0
	s_addc_u32 s1, s7, s1
	v_mov_b32_e32 v1, 0
	global_store_dword v1, v0, s[0:1]
	s_endpgm
	.section	.rodata,"a",@progbits
	.p2align	6, 0x0
	.amdhsa_kernel _ZL24rocblas_dot_kernel_magsqIlLb1ELi1024ELi32ELb0EfPKPKDF16_DF16_EviT5_lT_liPT6_PT4_
		.amdhsa_group_segment_fixed_size 128
		.amdhsa_private_segment_fixed_size 0
		.amdhsa_kernarg_size 320
		.amdhsa_user_sgpr_count 6
		.amdhsa_user_sgpr_private_segment_buffer 1
		.amdhsa_user_sgpr_dispatch_ptr 0
		.amdhsa_user_sgpr_queue_ptr 0
		.amdhsa_user_sgpr_kernarg_segment_ptr 1
		.amdhsa_user_sgpr_dispatch_id 0
		.amdhsa_user_sgpr_flat_scratch_init 0
		.amdhsa_user_sgpr_kernarg_preload_length 0
		.amdhsa_user_sgpr_kernarg_preload_offset 0
		.amdhsa_user_sgpr_private_segment_size 0
		.amdhsa_uses_dynamic_stack 0
		.amdhsa_system_sgpr_private_segment_wavefront_offset 0
		.amdhsa_system_sgpr_workgroup_id_x 1
		.amdhsa_system_sgpr_workgroup_id_y 0
		.amdhsa_system_sgpr_workgroup_id_z 1
		.amdhsa_system_sgpr_workgroup_info 0
		.amdhsa_system_vgpr_workitem_id 0
		.amdhsa_next_free_vgpr 10
		.amdhsa_next_free_sgpr 20
		.amdhsa_accum_offset 12
		.amdhsa_reserve_vcc 1
		.amdhsa_reserve_flat_scratch 0
		.amdhsa_float_round_mode_32 0
		.amdhsa_float_round_mode_16_64 0
		.amdhsa_float_denorm_mode_32 3
		.amdhsa_float_denorm_mode_16_64 3
		.amdhsa_dx10_clamp 1
		.amdhsa_ieee_mode 1
		.amdhsa_fp16_overflow 0
		.amdhsa_tg_split 0
		.amdhsa_exception_fp_ieee_invalid_op 0
		.amdhsa_exception_fp_denorm_src 0
		.amdhsa_exception_fp_ieee_div_zero 0
		.amdhsa_exception_fp_ieee_overflow 0
		.amdhsa_exception_fp_ieee_underflow 0
		.amdhsa_exception_fp_ieee_inexact 0
		.amdhsa_exception_int_div_zero 0
	.end_amdhsa_kernel
	.section	.text._ZL24rocblas_dot_kernel_magsqIlLb1ELi1024ELi32ELb0EfPKPKDF16_DF16_EviT5_lT_liPT6_PT4_,"axG",@progbits,_ZL24rocblas_dot_kernel_magsqIlLb1ELi1024ELi32ELb0EfPKPKDF16_DF16_EviT5_lT_liPT6_PT4_,comdat
.Lfunc_end355:
	.size	_ZL24rocblas_dot_kernel_magsqIlLb1ELi1024ELi32ELb0EfPKPKDF16_DF16_EviT5_lT_liPT6_PT4_, .Lfunc_end355-_ZL24rocblas_dot_kernel_magsqIlLb1ELi1024ELi32ELb0EfPKPKDF16_DF16_EviT5_lT_liPT6_PT4_
                                        ; -- End function
	.section	.AMDGPU.csdata,"",@progbits
; Kernel info:
; codeLenInByte = 944
; NumSgprs: 24
; NumVgprs: 10
; NumAgprs: 0
; TotalNumVgprs: 10
; ScratchSize: 0
; MemoryBound: 0
; FloatMode: 240
; IeeeMode: 1
; LDSByteSize: 128 bytes/workgroup (compile time only)
; SGPRBlocks: 2
; VGPRBlocks: 1
; NumSGPRsForWavesPerEU: 24
; NumVGPRsForWavesPerEU: 10
; AccumOffset: 12
; Occupancy: 8
; WaveLimiterHint : 0
; COMPUTE_PGM_RSRC2:SCRATCH_EN: 0
; COMPUTE_PGM_RSRC2:USER_SGPR: 6
; COMPUTE_PGM_RSRC2:TRAP_HANDLER: 0
; COMPUTE_PGM_RSRC2:TGID_X_EN: 1
; COMPUTE_PGM_RSRC2:TGID_Y_EN: 0
; COMPUTE_PGM_RSRC2:TGID_Z_EN: 1
; COMPUTE_PGM_RSRC2:TIDIG_COMP_CNT: 0
; COMPUTE_PGM_RSRC3_GFX90A:ACCUM_OFFSET: 2
; COMPUTE_PGM_RSRC3_GFX90A:TG_SPLIT: 0
	.section	.text._ZL23rocblas_dot_kernel_inc1ILb0ELi512ELi4ELb0EfPKPKDF16_DF16_EviT4_llS4_lliPT5_PT3_,"axG",@progbits,_ZL23rocblas_dot_kernel_inc1ILb0ELi512ELi4ELb0EfPKPKDF16_DF16_EviT4_llS4_lliPT5_PT3_,comdat
	.globl	_ZL23rocblas_dot_kernel_inc1ILb0ELi512ELi4ELb0EfPKPKDF16_DF16_EviT4_llS4_lliPT5_PT3_ ; -- Begin function _ZL23rocblas_dot_kernel_inc1ILb0ELi512ELi4ELb0EfPKPKDF16_DF16_EviT4_llS4_lliPT5_PT3_
	.p2align	8
	.type	_ZL23rocblas_dot_kernel_inc1ILb0ELi512ELi4ELb0EfPKPKDF16_DF16_EviT4_llS4_lliPT5_PT3_,@function
_ZL23rocblas_dot_kernel_inc1ILb0ELi512ELi4ELb0EfPKPKDF16_DF16_EviT4_llS4_lliPT5_PT3_: ; @_ZL23rocblas_dot_kernel_inc1ILb0ELi512ELi4ELb0EfPKPKDF16_DF16_EviT4_llS4_lliPT5_PT3_
; %bb.0:
	s_mov_b32 s2, s7
	s_load_dword s18, s[4:5], 0x50
	s_load_dword s7, s[4:5], 0x0
	s_load_dwordx4 s[8:11], s[4:5], 0x40
	v_lshl_or_b32 v4, s6, 9, v0
	s_mov_b32 s3, 0
	v_mov_b32_e32 v1, 0
	s_waitcnt lgkmcnt(0)
	v_cmp_gt_i32_e32 vcc, s7, v4
	s_and_saveexec_b64 s[12:13], vcc
	s_cbranch_execz .LBB356_4
; %bb.1:
	s_load_dwordx4 s[20:23], s[4:5], 0x8
	s_load_dwordx4 s[24:27], s[4:5], 0x20
	s_lshl_b64 s[0:1], s[2:3], 3
	v_ashrrev_i32_e32 v5, 31, v4
	v_lshlrev_b64 v[2:3], 1, v[4:5]
	s_waitcnt lgkmcnt(0)
	s_add_u32 s4, s20, s0
	s_addc_u32 s5, s21, s1
	s_load_dwordx2 s[14:15], s[4:5], 0x0
	s_lshl_b64 s[16:17], s[22:23], 1
	s_mov_b64 s[4:5], 0
	v_mov_b32_e32 v1, 0
	s_waitcnt lgkmcnt(0)
	s_add_u32 s19, s14, s16
	s_addc_u32 s14, s15, s17
	s_add_u32 s0, s24, s0
	s_addc_u32 s1, s25, s1
	s_load_dwordx2 s[0:1], s[0:1], 0x0
	v_mov_b32_e32 v5, s14
	s_lshl_b64 s[14:15], s[26:27], 1
	s_waitcnt lgkmcnt(0)
	s_add_u32 s20, s0, s14
	s_addc_u32 s0, s1, s15
	s_lshl_b32 s14, s18, 9
	s_ashr_i32 s15, s14, 31
	s_lshl_b64 s[16:17], s[14:15], 1
	v_add_u32_e32 v4, s14, v4
	v_mov_b32_e32 v6, s0
	v_mov_b32_e32 v7, s17
	s_mov_b32 s15, s3
.LBB356_2:                              ; =>This Inner Loop Header: Depth=1
	v_add_co_u32_e32 v8, vcc, s20, v2
	v_addc_co_u32_e32 v9, vcc, v6, v3, vcc
	v_add_co_u32_e32 v10, vcc, s19, v2
	v_addc_co_u32_e32 v11, vcc, v5, v3, vcc
	global_load_ushort v12, v[8:9], off
	global_load_ushort v13, v[10:11], off
	s_add_i32 s17, s15, 1
	v_add_co_u32_e64 v2, s[0:1], s16, v2
	v_addc_co_u32_e64 v3, s[0:1], v3, v7, s[0:1]
	s_cmp_gt_u32 s15, 2
	v_cmp_le_i32_e32 vcc, s7, v4
	s_cselect_b64 s[0:1], -1, 0
	s_or_b64 s[0:1], s[0:1], vcc
	s_and_b64 s[0:1], exec, s[0:1]
	v_add_u32_e32 v4, s14, v4
	s_mov_b32 s15, s17
	s_or_b64 s[4:5], s[0:1], s[4:5]
	s_waitcnt vmcnt(0)
	v_fma_f16 v1, v12, v13, v1
	s_andn2_b64 exec, exec, s[4:5]
	s_cbranch_execnz .LBB356_2
; %bb.3:
	s_or_b64 exec, exec, s[4:5]
.LBB356_4:
	s_or_b64 exec, exec, s[12:13]
	v_and_b32_e32 v3, 63, v0
	v_cmp_gt_u32_e32 vcc, 64, v0
	v_lshlrev_b32_e32 v2, 1, v3
	s_and_saveexec_b64 s[0:1], vcc
	s_cbranch_execz .LBB356_6
; %bb.5:
	v_mov_b32_e32 v4, 0
	ds_write_b16 v2, v4
.LBB356_6:
	s_or_b64 exec, exec, s[0:1]
	v_mbcnt_lo_u32_b32 v4, -1, 0
	v_mbcnt_hi_u32_b32 v6, -1, v4
	v_and_b32_e32 v7, 63, v6
	v_cmp_gt_u32_e64 s[0:1], 32, v7
	v_cndmask_b32_e64 v5, 0, 1, s[0:1]
	v_lshlrev_b32_e32 v5, 5, v5
	v_and_b32_e32 v4, 0xffff, v1
	v_add_lshl_u32 v5, v5, v6, 2
	ds_bpermute_b32 v4, v5, v4
	v_cmp_gt_u32_e64 s[0:1], 48, v7
	v_cndmask_b32_e64 v5, 0, 1, s[0:1]
	s_mov_b32 s4, 0xffff0000
	v_lshlrev_b32_e32 v5, 4, v5
	s_waitcnt lgkmcnt(0)
	v_add_f16_e32 v1, v1, v4
	v_and_or_b32 v4, v4, s4, v1
	v_add_lshl_u32 v5, v5, v6, 2
	ds_bpermute_b32 v4, v5, v4
	v_cmp_gt_u32_e64 s[0:1], 56, v7
	v_cndmask_b32_e64 v5, 0, 1, s[0:1]
	v_lshlrev_b32_e32 v5, 3, v5
	v_add_lshl_u32 v5, v5, v6, 2
	s_waitcnt lgkmcnt(0)
	v_add_f16_e32 v1, v1, v4
	v_and_or_b32 v4, v4, s4, v1
	ds_bpermute_b32 v4, v5, v4
	v_cmp_gt_u32_e64 s[0:1], 60, v7
	s_waitcnt lgkmcnt(0)
	s_barrier
	v_add_f16_e32 v1, v1, v4
	v_and_or_b32 v5, v4, s4, v1
	v_cndmask_b32_e64 v4, 0, 1, s[0:1]
	v_lshlrev_b32_e32 v4, 2, v4
	v_add_lshl_u32 v4, v4, v6, 2
	ds_bpermute_b32 v5, v4, v5
	v_cmp_gt_u32_e64 s[0:1], 62, v7
	s_waitcnt lgkmcnt(0)
	v_add_f16_e32 v1, v1, v5
	v_and_or_b32 v8, v5, s4, v1
	v_cndmask_b32_e64 v5, 0, 1, s[0:1]
	v_lshlrev_b32_e32 v5, 1, v5
	v_add_lshl_u32 v5, v5, v6, 2
	ds_bpermute_b32 v8, v5, v8
	v_cmp_ne_u32_e64 s[0:1], 63, v7
	v_addc_co_u32_e64 v6, s[0:1], 0, v6, s[0:1]
	v_lshlrev_b32_e32 v6, 2, v6
	s_waitcnt lgkmcnt(0)
	v_add_f16_e32 v1, v1, v8
	v_and_or_b32 v8, v8, s4, v1
	ds_bpermute_b32 v7, v6, v8
	v_cmp_eq_u32_e64 s[0:1], 0, v3
	s_and_saveexec_b64 s[4:5], s[0:1]
	s_cbranch_execz .LBB356_8
; %bb.7:
	v_lshrrev_b32_e32 v3, 5, v0
	s_waitcnt lgkmcnt(0)
	v_add_f16_e32 v1, v1, v7
	v_and_b32_e32 v3, 14, v3
	ds_write_b16 v3, v1
.LBB356_8:
	s_or_b64 exec, exec, s[4:5]
	v_cmp_gt_u32_e64 s[0:1], 8, v0
	v_mov_b32_e32 v1, 0
	s_waitcnt lgkmcnt(0)
	s_barrier
	s_and_saveexec_b64 s[4:5], s[0:1]
	s_cbranch_execnz .LBB356_12
; %bb.9:
	s_or_b64 exec, exec, s[4:5]
	s_and_saveexec_b64 s[0:1], vcc
	s_cbranch_execnz .LBB356_13
.LBB356_10:
	s_or_b64 exec, exec, s[0:1]
	v_cmp_eq_u32_e32 vcc, 0, v0
	s_and_saveexec_b64 s[0:1], vcc
	s_cbranch_execnz .LBB356_14
.LBB356_11:
	s_endpgm
.LBB356_12:
	ds_read_u16 v1, v2
	s_or_b64 exec, exec, s[4:5]
	s_and_saveexec_b64 s[0:1], vcc
	s_cbranch_execz .LBB356_10
.LBB356_13:
	s_waitcnt lgkmcnt(0)
	v_and_b32_e32 v2, 0xffff, v1
	ds_bpermute_b32 v2, v4, v2
	s_mov_b32 s4, 0xffff0000
	s_waitcnt lgkmcnt(0)
	v_add_f16_e32 v1, v1, v2
	v_and_or_b32 v2, v2, s4, v1
	ds_bpermute_b32 v2, v5, v2
	s_waitcnt lgkmcnt(0)
	v_add_f16_e32 v1, v1, v2
	v_and_or_b32 v2, v2, s4, v1
	ds_bpermute_b32 v2, v6, v2
	s_waitcnt lgkmcnt(0)
	v_add_f16_e32 v1, v1, v2
	s_or_b64 exec, exec, s[0:1]
	v_cmp_eq_u32_e32 vcc, 0, v0
	s_and_saveexec_b64 s[0:1], vcc
	s_cbranch_execz .LBB356_11
.LBB356_14:
	s_cmp_lg_u32 s18, 1
	s_mov_b64 s[0:1], -1
	s_cbranch_scc0 .LBB356_16
; %bb.15:
	s_mul_hi_u32 s1, s18, s2
	s_mul_i32 s0, s18, s2
	s_lshl_b64 s[0:1], s[0:1], 1
	s_mov_b32 s7, 0
	s_add_u32 s4, s8, s0
	s_addc_u32 s5, s9, s1
	s_lshl_b64 s[0:1], s[6:7], 1
	s_add_u32 s0, s4, s0
	s_addc_u32 s1, s5, s1
	v_mov_b32_e32 v0, 0
	s_waitcnt lgkmcnt(0)
	global_store_short v0, v1, s[0:1]
	s_mov_b64 s[0:1], 0
.LBB356_16:
	s_andn2_b64 vcc, exec, s[0:1]
	s_cbranch_vccnz .LBB356_11
; %bb.17:
	s_waitcnt lgkmcnt(0)
	v_cvt_f32_f16_e32 v0, v1
	s_lshl_b64 s[0:1], s[2:3], 2
	s_add_u32 s0, s10, s0
	s_addc_u32 s1, s11, s1
	v_mov_b32_e32 v1, 0
	global_store_dword v1, v0, s[0:1]
	s_endpgm
	.section	.rodata,"a",@progbits
	.p2align	6, 0x0
	.amdhsa_kernel _ZL23rocblas_dot_kernel_inc1ILb0ELi512ELi4ELb0EfPKPKDF16_DF16_EviT4_llS4_lliPT5_PT3_
		.amdhsa_group_segment_fixed_size 128
		.amdhsa_private_segment_fixed_size 0
		.amdhsa_kernarg_size 336
		.amdhsa_user_sgpr_count 6
		.amdhsa_user_sgpr_private_segment_buffer 1
		.amdhsa_user_sgpr_dispatch_ptr 0
		.amdhsa_user_sgpr_queue_ptr 0
		.amdhsa_user_sgpr_kernarg_segment_ptr 1
		.amdhsa_user_sgpr_dispatch_id 0
		.amdhsa_user_sgpr_flat_scratch_init 0
		.amdhsa_user_sgpr_kernarg_preload_length 0
		.amdhsa_user_sgpr_kernarg_preload_offset 0
		.amdhsa_user_sgpr_private_segment_size 0
		.amdhsa_uses_dynamic_stack 0
		.amdhsa_system_sgpr_private_segment_wavefront_offset 0
		.amdhsa_system_sgpr_workgroup_id_x 1
		.amdhsa_system_sgpr_workgroup_id_y 0
		.amdhsa_system_sgpr_workgroup_id_z 1
		.amdhsa_system_sgpr_workgroup_info 0
		.amdhsa_system_vgpr_workitem_id 0
		.amdhsa_next_free_vgpr 14
		.amdhsa_next_free_sgpr 28
		.amdhsa_accum_offset 16
		.amdhsa_reserve_vcc 1
		.amdhsa_reserve_flat_scratch 0
		.amdhsa_float_round_mode_32 0
		.amdhsa_float_round_mode_16_64 0
		.amdhsa_float_denorm_mode_32 3
		.amdhsa_float_denorm_mode_16_64 3
		.amdhsa_dx10_clamp 1
		.amdhsa_ieee_mode 1
		.amdhsa_fp16_overflow 0
		.amdhsa_tg_split 0
		.amdhsa_exception_fp_ieee_invalid_op 0
		.amdhsa_exception_fp_denorm_src 0
		.amdhsa_exception_fp_ieee_div_zero 0
		.amdhsa_exception_fp_ieee_overflow 0
		.amdhsa_exception_fp_ieee_underflow 0
		.amdhsa_exception_fp_ieee_inexact 0
		.amdhsa_exception_int_div_zero 0
	.end_amdhsa_kernel
	.section	.text._ZL23rocblas_dot_kernel_inc1ILb0ELi512ELi4ELb0EfPKPKDF16_DF16_EviT4_llS4_lliPT5_PT3_,"axG",@progbits,_ZL23rocblas_dot_kernel_inc1ILb0ELi512ELi4ELb0EfPKPKDF16_DF16_EviT4_llS4_lliPT5_PT3_,comdat
.Lfunc_end356:
	.size	_ZL23rocblas_dot_kernel_inc1ILb0ELi512ELi4ELb0EfPKPKDF16_DF16_EviT4_llS4_lliPT5_PT3_, .Lfunc_end356-_ZL23rocblas_dot_kernel_inc1ILb0ELi512ELi4ELb0EfPKPKDF16_DF16_EviT4_llS4_lliPT5_PT3_
                                        ; -- End function
	.section	.AMDGPU.csdata,"",@progbits
; Kernel info:
; codeLenInByte = 1012
; NumSgprs: 32
; NumVgprs: 14
; NumAgprs: 0
; TotalNumVgprs: 14
; ScratchSize: 0
; MemoryBound: 0
; FloatMode: 240
; IeeeMode: 1
; LDSByteSize: 128 bytes/workgroup (compile time only)
; SGPRBlocks: 3
; VGPRBlocks: 1
; NumSGPRsForWavesPerEU: 32
; NumVGPRsForWavesPerEU: 14
; AccumOffset: 16
; Occupancy: 8
; WaveLimiterHint : 1
; COMPUTE_PGM_RSRC2:SCRATCH_EN: 0
; COMPUTE_PGM_RSRC2:USER_SGPR: 6
; COMPUTE_PGM_RSRC2:TRAP_HANDLER: 0
; COMPUTE_PGM_RSRC2:TGID_X_EN: 1
; COMPUTE_PGM_RSRC2:TGID_Y_EN: 0
; COMPUTE_PGM_RSRC2:TGID_Z_EN: 1
; COMPUTE_PGM_RSRC2:TIDIG_COMP_CNT: 0
; COMPUTE_PGM_RSRC3_GFX90A:ACCUM_OFFSET: 3
; COMPUTE_PGM_RSRC3_GFX90A:TG_SPLIT: 0
	.section	.text._ZL18rocblas_dot_kernelIlLb0ELi512ELi4ELb0EfPKPKDF16_DF16_EviT5_lT_lS4_lS5_liPT6_PT4_,"axG",@progbits,_ZL18rocblas_dot_kernelIlLb0ELi512ELi4ELb0EfPKPKDF16_DF16_EviT5_lT_lS4_lS5_liPT6_PT4_,comdat
	.globl	_ZL18rocblas_dot_kernelIlLb0ELi512ELi4ELb0EfPKPKDF16_DF16_EviT5_lT_lS4_lS5_liPT6_PT4_ ; -- Begin function _ZL18rocblas_dot_kernelIlLb0ELi512ELi4ELb0EfPKPKDF16_DF16_EviT5_lT_lS4_lS5_liPT6_PT4_
	.p2align	8
	.type	_ZL18rocblas_dot_kernelIlLb0ELi512ELi4ELb0EfPKPKDF16_DF16_EviT5_lT_lS4_lS5_liPT6_PT4_,@function
_ZL18rocblas_dot_kernelIlLb0ELi512ELi4ELb0EfPKPKDF16_DF16_EviT5_lT_lS4_lS5_liPT6_PT4_: ; @_ZL18rocblas_dot_kernelIlLb0ELi512ELi4ELb0EfPKPKDF16_DF16_EviT5_lT_lS4_lS5_liPT6_PT4_
; %bb.0:
	s_mov_b32 s16, s7
	s_load_dword s20, s[4:5], 0x60
	s_load_dword s7, s[4:5], 0x0
	s_load_dwordx4 s[8:11], s[4:5], 0x50
	v_lshl_or_b32 v4, s6, 9, v0
	s_mov_b32 s17, 0
	v_mov_b32_e32 v6, 0
	s_waitcnt lgkmcnt(0)
	v_cmp_gt_i32_e32 vcc, s7, v4
	s_and_saveexec_b64 s[18:19], vcc
	s_cbranch_execz .LBB357_4
; %bb.1:
	s_load_dwordx2 s[22:23], s[4:5], 0x8
	s_load_dwordx4 s[12:15], s[4:5], 0x10
	s_load_dwordx2 s[24:25], s[4:5], 0x28
	s_load_dwordx4 s[0:3], s[4:5], 0x30
	s_lshl_b64 s[4:5], s[16:17], 3
	s_waitcnt lgkmcnt(0)
	s_add_u32 s22, s22, s4
	s_addc_u32 s23, s23, s5
	s_load_dwordx2 s[22:23], s[22:23], 0x0
	s_add_u32 s4, s24, s4
	s_addc_u32 s5, s25, s5
	s_load_dwordx2 s[24:25], s[4:5], 0x0
	v_ashrrev_i32_e32 v5, 31, v4
	v_mad_u64_u32 v[2:3], s[4:5], s14, v4, 0
	s_lshl_b32 s21, s20, 9
	v_mul_lo_u32 v6, s15, v4
	v_mul_lo_u32 v7, s14, v5
	s_lshl_b64 s[4:5], s[12:13], 1
	v_add3_u32 v3, v3, v7, v6
	s_waitcnt lgkmcnt(0)
	s_add_u32 s4, s22, s4
	v_lshlrev_b64 v[2:3], 1, v[2:3]
	s_addc_u32 s5, s23, s5
	s_ashr_i32 s22, s21, 31
	v_mov_b32_e32 v6, s5
	v_add_co_u32_e32 v2, vcc, s4, v2
	s_mul_i32 s4, s14, s22
	s_mul_hi_u32 s5, s14, s21
	s_add_i32 s4, s5, s4
	s_mul_i32 s5, s15, s21
	s_add_i32 s5, s4, s5
	s_mul_i32 s4, s14, s21
	v_add_u32_e32 v1, s21, v4
	v_addc_co_u32_e32 v3, vcc, v6, v3, vcc
	s_lshl_b64 s[4:5], s[4:5], 1
	v_mul_lo_u32 v6, s3, v4
	v_mul_lo_u32 v7, s2, v5
	v_mad_u64_u32 v[4:5], s[12:13], s2, v4, 0
	s_lshl_b64 s[0:1], s[0:1], 1
	v_add3_u32 v5, v5, v7, v6
	s_add_u32 s0, s24, s0
	v_lshlrev_b64 v[4:5], 1, v[4:5]
	s_addc_u32 s1, s25, s1
	v_mov_b32_e32 v6, s1
	v_add_co_u32_e32 v4, vcc, s0, v4
	s_mul_i32 s0, s2, s22
	s_mul_hi_u32 s1, s2, s21
	s_add_i32 s0, s1, s0
	s_mul_i32 s1, s3, s21
	s_add_i32 s1, s0, s1
	s_mul_i32 s0, s2, s21
	s_lshl_b64 s[12:13], s[0:1], 1
	v_addc_co_u32_e32 v5, vcc, v6, v5, vcc
	s_mov_b64 s[2:3], 0
	v_mov_b32_e32 v6, 0
	v_mov_b32_e32 v7, s5
	v_mov_b32_e32 v8, s13
	s_mov_b32 s5, s17
.LBB357_2:                              ; =>This Inner Loop Header: Depth=1
	global_load_ushort v9, v[4:5], off
	global_load_ushort v10, v[2:3], off
	v_add_co_u32_e64 v2, s[0:1], s4, v2
	v_addc_co_u32_e64 v3, s[0:1], v3, v7, s[0:1]
	s_add_i32 s13, s5, 1
	v_add_co_u32_e64 v4, s[0:1], s12, v4
	v_addc_co_u32_e64 v5, s[0:1], v5, v8, s[0:1]
	s_cmp_gt_u32 s5, 2
	v_cmp_le_i32_e32 vcc, s7, v1
	s_cselect_b64 s[0:1], -1, 0
	s_or_b64 s[0:1], s[0:1], vcc
	s_and_b64 s[0:1], exec, s[0:1]
	v_add_u32_e32 v1, s21, v1
	s_mov_b32 s5, s13
	s_or_b64 s[2:3], s[0:1], s[2:3]
	s_waitcnt vmcnt(0)
	v_fma_f16 v6, v9, v10, v6
	s_andn2_b64 exec, exec, s[2:3]
	s_cbranch_execnz .LBB357_2
; %bb.3:
	s_or_b64 exec, exec, s[2:3]
.LBB357_4:
	s_or_b64 exec, exec, s[18:19]
	v_and_b32_e32 v2, 63, v0
	v_cmp_gt_u32_e32 vcc, 64, v0
	v_lshlrev_b32_e32 v1, 1, v2
	s_and_saveexec_b64 s[0:1], vcc
	s_cbranch_execz .LBB357_6
; %bb.5:
	v_mov_b32_e32 v3, 0
	ds_write_b16 v1, v3
.LBB357_6:
	s_or_b64 exec, exec, s[0:1]
	v_mbcnt_lo_u32_b32 v3, -1, 0
	v_mbcnt_hi_u32_b32 v5, -1, v3
	v_and_b32_e32 v7, 63, v5
	v_cmp_gt_u32_e64 s[0:1], 32, v7
	v_cndmask_b32_e64 v4, 0, 1, s[0:1]
	v_lshlrev_b32_e32 v4, 5, v4
	v_and_b32_e32 v3, 0xffff, v6
	v_add_lshl_u32 v4, v4, v5, 2
	ds_bpermute_b32 v3, v4, v3
	v_cmp_gt_u32_e64 s[0:1], 48, v7
	s_mov_b32 s2, 0xffff0000
	s_waitcnt lgkmcnt(0)
	s_barrier
	v_add_f16_e32 v4, v6, v3
	v_cndmask_b32_e64 v6, 0, 1, s[0:1]
	v_lshlrev_b32_e32 v6, 4, v6
	v_and_or_b32 v3, v3, s2, v4
	v_add_lshl_u32 v6, v6, v5, 2
	ds_bpermute_b32 v3, v6, v3
	v_cmp_gt_u32_e64 s[0:1], 56, v7
	v_cndmask_b32_e64 v6, 0, 1, s[0:1]
	v_lshlrev_b32_e32 v6, 3, v6
	v_add_lshl_u32 v6, v6, v5, 2
	s_waitcnt lgkmcnt(0)
	v_add_f16_e32 v4, v4, v3
	v_and_or_b32 v3, v3, s2, v4
	ds_bpermute_b32 v3, v6, v3
	v_cmp_gt_u32_e64 s[0:1], 60, v7
	s_waitcnt lgkmcnt(0)
	v_add_f16_e32 v4, v4, v3
	v_and_or_b32 v6, v3, s2, v4
	v_cndmask_b32_e64 v3, 0, 1, s[0:1]
	v_lshlrev_b32_e32 v3, 2, v3
	v_add_lshl_u32 v3, v3, v5, 2
	ds_bpermute_b32 v6, v3, v6
	v_cmp_gt_u32_e64 s[0:1], 62, v7
	s_waitcnt lgkmcnt(0)
	v_add_f16_e32 v8, v4, v6
	v_cndmask_b32_e64 v4, 0, 1, s[0:1]
	v_lshlrev_b32_e32 v4, 1, v4
	v_and_or_b32 v6, v6, s2, v8
	v_add_lshl_u32 v4, v4, v5, 2
	ds_bpermute_b32 v9, v4, v6
	v_cmp_ne_u32_e64 s[0:1], 63, v7
	v_addc_co_u32_e64 v5, s[0:1], 0, v5, s[0:1]
	v_lshlrev_b32_e32 v5, 2, v5
	s_waitcnt lgkmcnt(0)
	v_add_f16_e32 v6, v8, v9
	v_and_or_b32 v8, v9, s2, v6
	ds_bpermute_b32 v7, v5, v8
	v_cmp_eq_u32_e64 s[0:1], 0, v2
	s_and_saveexec_b64 s[2:3], s[0:1]
	s_cbranch_execz .LBB357_8
; %bb.7:
	s_waitcnt lgkmcnt(0)
	v_add_f16_e32 v2, v6, v7
	v_lshrrev_b32_e32 v6, 5, v0
	v_and_b32_e32 v6, 14, v6
	ds_write_b16 v6, v2
.LBB357_8:
	s_or_b64 exec, exec, s[2:3]
	v_cmp_gt_u32_e64 s[0:1], 8, v0
	v_mov_b32_e32 v2, 0
	s_waitcnt lgkmcnt(0)
	s_barrier
	s_and_saveexec_b64 s[2:3], s[0:1]
	s_cbranch_execnz .LBB357_12
; %bb.9:
	s_or_b64 exec, exec, s[2:3]
	s_and_saveexec_b64 s[0:1], vcc
	s_cbranch_execnz .LBB357_13
.LBB357_10:
	s_or_b64 exec, exec, s[0:1]
	v_cmp_eq_u32_e32 vcc, 0, v0
	s_and_saveexec_b64 s[0:1], vcc
	s_cbranch_execnz .LBB357_14
.LBB357_11:
	s_endpgm
.LBB357_12:
	ds_read_u16 v2, v1
	s_or_b64 exec, exec, s[2:3]
	s_and_saveexec_b64 s[0:1], vcc
	s_cbranch_execz .LBB357_10
.LBB357_13:
	s_waitcnt lgkmcnt(0)
	v_and_b32_e32 v1, 0xffff, v2
	ds_bpermute_b32 v1, v3, v1
	s_mov_b32 s2, 0xffff0000
	s_waitcnt lgkmcnt(0)
	v_add_f16_e32 v2, v2, v1
	v_and_or_b32 v1, v1, s2, v2
	ds_bpermute_b32 v1, v4, v1
	s_waitcnt lgkmcnt(0)
	v_add_f16_e32 v2, v2, v1
	v_and_or_b32 v1, v1, s2, v2
	ds_bpermute_b32 v1, v5, v1
	s_waitcnt lgkmcnt(0)
	v_add_f16_e32 v2, v2, v1
	s_or_b64 exec, exec, s[0:1]
	v_cmp_eq_u32_e32 vcc, 0, v0
	s_and_saveexec_b64 s[0:1], vcc
	s_cbranch_execz .LBB357_11
.LBB357_14:
	s_cmp_lg_u32 s20, 1
	s_mov_b64 s[0:1], -1
	s_cbranch_scc0 .LBB357_16
; %bb.15:
	s_mul_hi_u32 s1, s20, s16
	s_mul_i32 s0, s20, s16
	s_lshl_b64 s[0:1], s[0:1], 1
	s_mov_b32 s7, 0
	s_add_u32 s2, s8, s0
	s_addc_u32 s3, s9, s1
	s_lshl_b64 s[0:1], s[6:7], 1
	s_add_u32 s0, s2, s0
	s_addc_u32 s1, s3, s1
	v_mov_b32_e32 v0, 0
	s_waitcnt lgkmcnt(0)
	global_store_short v0, v2, s[0:1]
	s_mov_b64 s[0:1], 0
.LBB357_16:
	s_andn2_b64 vcc, exec, s[0:1]
	s_cbranch_vccnz .LBB357_11
; %bb.17:
	s_waitcnt lgkmcnt(0)
	v_cvt_f32_f16_e32 v0, v2
	s_lshl_b64 s[0:1], s[16:17], 2
	s_add_u32 s0, s10, s0
	s_addc_u32 s1, s11, s1
	v_mov_b32_e32 v1, 0
	global_store_dword v1, v0, s[0:1]
	s_endpgm
	.section	.rodata,"a",@progbits
	.p2align	6, 0x0
	.amdhsa_kernel _ZL18rocblas_dot_kernelIlLb0ELi512ELi4ELb0EfPKPKDF16_DF16_EviT5_lT_lS4_lS5_liPT6_PT4_
		.amdhsa_group_segment_fixed_size 128
		.amdhsa_private_segment_fixed_size 0
		.amdhsa_kernarg_size 352
		.amdhsa_user_sgpr_count 6
		.amdhsa_user_sgpr_private_segment_buffer 1
		.amdhsa_user_sgpr_dispatch_ptr 0
		.amdhsa_user_sgpr_queue_ptr 0
		.amdhsa_user_sgpr_kernarg_segment_ptr 1
		.amdhsa_user_sgpr_dispatch_id 0
		.amdhsa_user_sgpr_flat_scratch_init 0
		.amdhsa_user_sgpr_kernarg_preload_length 0
		.amdhsa_user_sgpr_kernarg_preload_offset 0
		.amdhsa_user_sgpr_private_segment_size 0
		.amdhsa_uses_dynamic_stack 0
		.amdhsa_system_sgpr_private_segment_wavefront_offset 0
		.amdhsa_system_sgpr_workgroup_id_x 1
		.amdhsa_system_sgpr_workgroup_id_y 0
		.amdhsa_system_sgpr_workgroup_id_z 1
		.amdhsa_system_sgpr_workgroup_info 0
		.amdhsa_system_vgpr_workitem_id 0
		.amdhsa_next_free_vgpr 11
		.amdhsa_next_free_sgpr 26
		.amdhsa_accum_offset 12
		.amdhsa_reserve_vcc 1
		.amdhsa_reserve_flat_scratch 0
		.amdhsa_float_round_mode_32 0
		.amdhsa_float_round_mode_16_64 0
		.amdhsa_float_denorm_mode_32 3
		.amdhsa_float_denorm_mode_16_64 3
		.amdhsa_dx10_clamp 1
		.amdhsa_ieee_mode 1
		.amdhsa_fp16_overflow 0
		.amdhsa_tg_split 0
		.amdhsa_exception_fp_ieee_invalid_op 0
		.amdhsa_exception_fp_denorm_src 0
		.amdhsa_exception_fp_ieee_div_zero 0
		.amdhsa_exception_fp_ieee_overflow 0
		.amdhsa_exception_fp_ieee_underflow 0
		.amdhsa_exception_fp_ieee_inexact 0
		.amdhsa_exception_int_div_zero 0
	.end_amdhsa_kernel
	.section	.text._ZL18rocblas_dot_kernelIlLb0ELi512ELi4ELb0EfPKPKDF16_DF16_EviT5_lT_lS4_lS5_liPT6_PT4_,"axG",@progbits,_ZL18rocblas_dot_kernelIlLb0ELi512ELi4ELb0EfPKPKDF16_DF16_EviT5_lT_lS4_lS5_liPT6_PT4_,comdat
.Lfunc_end357:
	.size	_ZL18rocblas_dot_kernelIlLb0ELi512ELi4ELb0EfPKPKDF16_DF16_EviT5_lT_lS4_lS5_liPT6_PT4_, .Lfunc_end357-_ZL18rocblas_dot_kernelIlLb0ELi512ELi4ELb0EfPKPKDF16_DF16_EviT5_lT_lS4_lS5_liPT6_PT4_
                                        ; -- End function
	.section	.AMDGPU.csdata,"",@progbits
; Kernel info:
; codeLenInByte = 1168
; NumSgprs: 30
; NumVgprs: 11
; NumAgprs: 0
; TotalNumVgprs: 11
; ScratchSize: 0
; MemoryBound: 0
; FloatMode: 240
; IeeeMode: 1
; LDSByteSize: 128 bytes/workgroup (compile time only)
; SGPRBlocks: 3
; VGPRBlocks: 1
; NumSGPRsForWavesPerEU: 30
; NumVGPRsForWavesPerEU: 11
; AccumOffset: 12
; Occupancy: 8
; WaveLimiterHint : 0
; COMPUTE_PGM_RSRC2:SCRATCH_EN: 0
; COMPUTE_PGM_RSRC2:USER_SGPR: 6
; COMPUTE_PGM_RSRC2:TRAP_HANDLER: 0
; COMPUTE_PGM_RSRC2:TGID_X_EN: 1
; COMPUTE_PGM_RSRC2:TGID_Y_EN: 0
; COMPUTE_PGM_RSRC2:TGID_Z_EN: 1
; COMPUTE_PGM_RSRC2:TIDIG_COMP_CNT: 0
; COMPUTE_PGM_RSRC3_GFX90A:ACCUM_OFFSET: 2
; COMPUTE_PGM_RSRC3_GFX90A:TG_SPLIT: 0
	.section	.text._ZL24rocblas_dot_kernel_magsqIlLb0ELi512ELi4ELb0EfPKPKDF16_DF16_EviT5_lT_liPT6_PT4_,"axG",@progbits,_ZL24rocblas_dot_kernel_magsqIlLb0ELi512ELi4ELb0EfPKPKDF16_DF16_EviT5_lT_liPT6_PT4_,comdat
	.globl	_ZL24rocblas_dot_kernel_magsqIlLb0ELi512ELi4ELb0EfPKPKDF16_DF16_EviT5_lT_liPT6_PT4_ ; -- Begin function _ZL24rocblas_dot_kernel_magsqIlLb0ELi512ELi4ELb0EfPKPKDF16_DF16_EviT5_lT_liPT6_PT4_
	.p2align	8
	.type	_ZL24rocblas_dot_kernel_magsqIlLb0ELi512ELi4ELb0EfPKPKDF16_DF16_EviT5_lT_liPT6_PT4_,@function
_ZL24rocblas_dot_kernel_magsqIlLb0ELi512ELi4ELb0EfPKPKDF16_DF16_EviT5_lT_liPT6_PT4_: ; @_ZL24rocblas_dot_kernel_magsqIlLb0ELi512ELi4ELb0EfPKPKDF16_DF16_EviT5_lT_liPT6_PT4_
; %bb.0:
	s_mov_b32 s2, s7
	s_load_dword s7, s[4:5], 0x0
	s_load_dwordx4 s[8:11], s[4:5], 0x30
	s_load_dword s16, s[4:5], 0x40
	v_lshl_or_b32 v2, s6, 9, v0
	s_mov_b32 s3, 0
	s_waitcnt lgkmcnt(0)
	v_cmp_gt_i32_e32 vcc, s7, v2
	v_mov_b32_e32 v4, 0
	s_and_saveexec_b64 s[12:13], vcc
	s_cbranch_execz .LBB358_4
; %bb.1:
	s_load_dwordx2 s[0:1], s[4:5], 0x8
	s_load_dwordx4 s[20:23], s[4:5], 0x10
	s_lshl_b64 s[4:5], s[2:3], 3
	v_ashrrev_i32_e32 v3, 31, v2
	s_waitcnt lgkmcnt(0)
	s_add_u32 s0, s0, s4
	s_addc_u32 s1, s1, s5
	s_load_dwordx2 s[0:1], s[0:1], 0x0
	s_lshl_b32 s17, s16, 9
	v_add_u32_e32 v1, s17, v2
	v_mul_lo_u32 v4, s23, v2
	v_mul_lo_u32 v5, s22, v3
	v_mad_u64_u32 v[2:3], s[4:5], s22, v2, 0
	v_add3_u32 v3, v3, v5, v4
	s_lshl_b64 s[4:5], s[20:21], 1
	v_lshlrev_b64 v[2:3], 1, v[2:3]
	s_waitcnt lgkmcnt(0)
	s_add_u32 s0, s0, s4
	s_addc_u32 s1, s1, s5
	v_add_co_u32_e32 v2, vcc, s0, v2
	s_ashr_i32 s0, s17, 31
	v_mov_b32_e32 v4, s1
	s_mul_i32 s0, s22, s0
	s_mul_hi_u32 s1, s22, s17
	s_add_i32 s0, s1, s0
	s_mul_i32 s1, s23, s17
	s_add_i32 s1, s0, s1
	s_mul_i32 s0, s22, s17
	s_lshl_b64 s[14:15], s[0:1], 1
	v_addc_co_u32_e32 v3, vcc, v4, v3, vcc
	s_mov_b64 s[4:5], 0
	v_mov_b32_e32 v4, 0
	v_mov_b32_e32 v5, s15
	s_mov_b32 s15, s3
.LBB358_2:                              ; =>This Inner Loop Header: Depth=1
	global_load_ushort v6, v[2:3], off
	s_add_i32 s18, s15, 1
	v_add_co_u32_e64 v2, s[0:1], s14, v2
	v_addc_co_u32_e64 v3, s[0:1], v3, v5, s[0:1]
	s_cmp_gt_u32 s15, 2
	v_cmp_le_i32_e32 vcc, s7, v1
	s_cselect_b64 s[0:1], -1, 0
	s_or_b64 s[0:1], s[0:1], vcc
	s_and_b64 s[0:1], exec, s[0:1]
	v_add_u32_e32 v1, s17, v1
	s_mov_b32 s15, s18
	s_or_b64 s[4:5], s[0:1], s[4:5]
	s_waitcnt vmcnt(0)
	v_fma_f16 v4, v6, v6, v4
	s_andn2_b64 exec, exec, s[4:5]
	s_cbranch_execnz .LBB358_2
; %bb.3:
	s_or_b64 exec, exec, s[4:5]
.LBB358_4:
	s_or_b64 exec, exec, s[12:13]
	v_and_b32_e32 v2, 63, v0
	v_cmp_gt_u32_e32 vcc, 64, v0
	v_lshlrev_b32_e32 v1, 1, v2
	s_and_saveexec_b64 s[0:1], vcc
	s_cbranch_execz .LBB358_6
; %bb.5:
	v_mov_b32_e32 v3, 0
	ds_write_b16 v1, v3
.LBB358_6:
	s_or_b64 exec, exec, s[0:1]
	v_mbcnt_lo_u32_b32 v3, -1, 0
	v_mbcnt_hi_u32_b32 v5, -1, v3
	v_and_b32_e32 v7, 63, v5
	v_cmp_gt_u32_e64 s[0:1], 32, v7
	v_cndmask_b32_e64 v6, 0, 1, s[0:1]
	v_lshlrev_b32_e32 v6, 5, v6
	v_and_b32_e32 v3, 0xffff, v4
	v_add_lshl_u32 v6, v6, v5, 2
	ds_bpermute_b32 v3, v6, v3
	v_cmp_gt_u32_e64 s[0:1], 48, v7
	v_cndmask_b32_e64 v6, 0, 1, s[0:1]
	s_mov_b32 s4, 0xffff0000
	v_lshlrev_b32_e32 v6, 4, v6
	s_waitcnt lgkmcnt(0)
	v_add_f16_e32 v4, v4, v3
	v_and_or_b32 v3, v3, s4, v4
	v_add_lshl_u32 v6, v6, v5, 2
	ds_bpermute_b32 v3, v6, v3
	v_cmp_gt_u32_e64 s[0:1], 56, v7
	v_cndmask_b32_e64 v6, 0, 1, s[0:1]
	v_lshlrev_b32_e32 v6, 3, v6
	v_add_lshl_u32 v6, v6, v5, 2
	s_waitcnt lgkmcnt(0)
	v_add_f16_e32 v4, v4, v3
	v_and_or_b32 v3, v3, s4, v4
	ds_bpermute_b32 v3, v6, v3
	v_cmp_gt_u32_e64 s[0:1], 60, v7
	s_waitcnt lgkmcnt(0)
	s_barrier
	v_add_f16_e32 v4, v4, v3
	v_and_or_b32 v6, v3, s4, v4
	v_cndmask_b32_e64 v3, 0, 1, s[0:1]
	v_lshlrev_b32_e32 v3, 2, v3
	v_add_lshl_u32 v3, v3, v5, 2
	ds_bpermute_b32 v6, v3, v6
	v_cmp_gt_u32_e64 s[0:1], 62, v7
	s_waitcnt lgkmcnt(0)
	v_add_f16_e32 v8, v4, v6
	v_cndmask_b32_e64 v4, 0, 1, s[0:1]
	v_lshlrev_b32_e32 v4, 1, v4
	v_and_or_b32 v6, v6, s4, v8
	v_add_lshl_u32 v4, v4, v5, 2
	ds_bpermute_b32 v9, v4, v6
	v_cmp_ne_u32_e64 s[0:1], 63, v7
	v_addc_co_u32_e64 v5, s[0:1], 0, v5, s[0:1]
	v_lshlrev_b32_e32 v5, 2, v5
	s_waitcnt lgkmcnt(0)
	v_add_f16_e32 v6, v8, v9
	v_and_or_b32 v8, v9, s4, v6
	ds_bpermute_b32 v7, v5, v8
	v_cmp_eq_u32_e64 s[0:1], 0, v2
	s_and_saveexec_b64 s[4:5], s[0:1]
	s_cbranch_execz .LBB358_8
; %bb.7:
	s_waitcnt lgkmcnt(0)
	v_add_f16_e32 v2, v6, v7
	v_lshrrev_b32_e32 v6, 5, v0
	v_and_b32_e32 v6, 14, v6
	ds_write_b16 v6, v2
.LBB358_8:
	s_or_b64 exec, exec, s[4:5]
	v_cmp_gt_u32_e64 s[0:1], 8, v0
	v_mov_b32_e32 v2, 0
	s_waitcnt lgkmcnt(0)
	s_barrier
	s_and_saveexec_b64 s[4:5], s[0:1]
	s_cbranch_execnz .LBB358_12
; %bb.9:
	s_or_b64 exec, exec, s[4:5]
	s_and_saveexec_b64 s[0:1], vcc
	s_cbranch_execnz .LBB358_13
.LBB358_10:
	s_or_b64 exec, exec, s[0:1]
	v_cmp_eq_u32_e32 vcc, 0, v0
	s_and_saveexec_b64 s[0:1], vcc
	s_cbranch_execnz .LBB358_14
.LBB358_11:
	s_endpgm
.LBB358_12:
	ds_read_u16 v2, v1
	s_or_b64 exec, exec, s[4:5]
	s_and_saveexec_b64 s[0:1], vcc
	s_cbranch_execz .LBB358_10
.LBB358_13:
	s_waitcnt lgkmcnt(0)
	v_and_b32_e32 v1, 0xffff, v2
	ds_bpermute_b32 v1, v3, v1
	s_mov_b32 s4, 0xffff0000
	s_waitcnt lgkmcnt(0)
	v_add_f16_e32 v2, v2, v1
	v_and_or_b32 v1, v1, s4, v2
	ds_bpermute_b32 v1, v4, v1
	s_waitcnt lgkmcnt(0)
	v_add_f16_e32 v2, v2, v1
	v_and_or_b32 v1, v1, s4, v2
	ds_bpermute_b32 v1, v5, v1
	s_waitcnt lgkmcnt(0)
	v_add_f16_e32 v2, v2, v1
	s_or_b64 exec, exec, s[0:1]
	v_cmp_eq_u32_e32 vcc, 0, v0
	s_and_saveexec_b64 s[0:1], vcc
	s_cbranch_execz .LBB358_11
.LBB358_14:
	s_cmp_lg_u32 s16, 1
	s_mov_b64 s[0:1], -1
	s_cbranch_scc0 .LBB358_16
; %bb.15:
	s_mul_hi_u32 s1, s16, s2
	s_mul_i32 s0, s16, s2
	s_lshl_b64 s[0:1], s[0:1], 1
	s_mov_b32 s7, 0
	s_add_u32 s4, s8, s0
	s_addc_u32 s5, s9, s1
	s_lshl_b64 s[0:1], s[6:7], 1
	s_add_u32 s0, s4, s0
	s_addc_u32 s1, s5, s1
	v_mov_b32_e32 v0, 0
	s_waitcnt lgkmcnt(0)
	global_store_short v0, v2, s[0:1]
	s_mov_b64 s[0:1], 0
.LBB358_16:
	s_andn2_b64 vcc, exec, s[0:1]
	s_cbranch_vccnz .LBB358_11
; %bb.17:
	s_waitcnt lgkmcnt(0)
	v_cvt_f32_f16_e32 v0, v2
	s_lshl_b64 s[0:1], s[2:3], 2
	s_add_u32 s0, s10, s0
	s_addc_u32 s1, s11, s1
	v_mov_b32_e32 v1, 0
	global_store_dword v1, v0, s[0:1]
	s_endpgm
	.section	.rodata,"a",@progbits
	.p2align	6, 0x0
	.amdhsa_kernel _ZL24rocblas_dot_kernel_magsqIlLb0ELi512ELi4ELb0EfPKPKDF16_DF16_EviT5_lT_liPT6_PT4_
		.amdhsa_group_segment_fixed_size 128
		.amdhsa_private_segment_fixed_size 0
		.amdhsa_kernarg_size 320
		.amdhsa_user_sgpr_count 6
		.amdhsa_user_sgpr_private_segment_buffer 1
		.amdhsa_user_sgpr_dispatch_ptr 0
		.amdhsa_user_sgpr_queue_ptr 0
		.amdhsa_user_sgpr_kernarg_segment_ptr 1
		.amdhsa_user_sgpr_dispatch_id 0
		.amdhsa_user_sgpr_flat_scratch_init 0
		.amdhsa_user_sgpr_kernarg_preload_length 0
		.amdhsa_user_sgpr_kernarg_preload_offset 0
		.amdhsa_user_sgpr_private_segment_size 0
		.amdhsa_uses_dynamic_stack 0
		.amdhsa_system_sgpr_private_segment_wavefront_offset 0
		.amdhsa_system_sgpr_workgroup_id_x 1
		.amdhsa_system_sgpr_workgroup_id_y 0
		.amdhsa_system_sgpr_workgroup_id_z 1
		.amdhsa_system_sgpr_workgroup_info 0
		.amdhsa_system_vgpr_workitem_id 0
		.amdhsa_next_free_vgpr 10
		.amdhsa_next_free_sgpr 24
		.amdhsa_accum_offset 12
		.amdhsa_reserve_vcc 1
		.amdhsa_reserve_flat_scratch 0
		.amdhsa_float_round_mode_32 0
		.amdhsa_float_round_mode_16_64 0
		.amdhsa_float_denorm_mode_32 3
		.amdhsa_float_denorm_mode_16_64 3
		.amdhsa_dx10_clamp 1
		.amdhsa_ieee_mode 1
		.amdhsa_fp16_overflow 0
		.amdhsa_tg_split 0
		.amdhsa_exception_fp_ieee_invalid_op 0
		.amdhsa_exception_fp_denorm_src 0
		.amdhsa_exception_fp_ieee_div_zero 0
		.amdhsa_exception_fp_ieee_overflow 0
		.amdhsa_exception_fp_ieee_underflow 0
		.amdhsa_exception_fp_ieee_inexact 0
		.amdhsa_exception_int_div_zero 0
	.end_amdhsa_kernel
	.section	.text._ZL24rocblas_dot_kernel_magsqIlLb0ELi512ELi4ELb0EfPKPKDF16_DF16_EviT5_lT_liPT6_PT4_,"axG",@progbits,_ZL24rocblas_dot_kernel_magsqIlLb0ELi512ELi4ELb0EfPKPKDF16_DF16_EviT5_lT_liPT6_PT4_,comdat
.Lfunc_end358:
	.size	_ZL24rocblas_dot_kernel_magsqIlLb0ELi512ELi4ELb0EfPKPKDF16_DF16_EviT5_lT_liPT6_PT4_, .Lfunc_end358-_ZL24rocblas_dot_kernel_magsqIlLb0ELi512ELi4ELb0EfPKPKDF16_DF16_EviT5_lT_liPT6_PT4_
                                        ; -- End function
	.section	.AMDGPU.csdata,"",@progbits
; Kernel info:
; codeLenInByte = 1016
; NumSgprs: 28
; NumVgprs: 10
; NumAgprs: 0
; TotalNumVgprs: 10
; ScratchSize: 0
; MemoryBound: 0
; FloatMode: 240
; IeeeMode: 1
; LDSByteSize: 128 bytes/workgroup (compile time only)
; SGPRBlocks: 3
; VGPRBlocks: 1
; NumSGPRsForWavesPerEU: 28
; NumVGPRsForWavesPerEU: 10
; AccumOffset: 12
; Occupancy: 8
; WaveLimiterHint : 0
; COMPUTE_PGM_RSRC2:SCRATCH_EN: 0
; COMPUTE_PGM_RSRC2:USER_SGPR: 6
; COMPUTE_PGM_RSRC2:TRAP_HANDLER: 0
; COMPUTE_PGM_RSRC2:TGID_X_EN: 1
; COMPUTE_PGM_RSRC2:TGID_Y_EN: 0
; COMPUTE_PGM_RSRC2:TGID_Z_EN: 1
; COMPUTE_PGM_RSRC2:TIDIG_COMP_CNT: 0
; COMPUTE_PGM_RSRC3_GFX90A:ACCUM_OFFSET: 2
; COMPUTE_PGM_RSRC3_GFX90A:TG_SPLIT: 0
	.section	.text._ZL28rocblas_dot_batched_4_kernelIlLi32ELi4ELb0EffPK16rocblas_bfloat16EviT5_lT_lS3_lS4_liPT4_,"axG",@progbits,_ZL28rocblas_dot_batched_4_kernelIlLi32ELi4ELb0EffPK16rocblas_bfloat16EviT5_lT_lS3_lS4_liPT4_,comdat
	.globl	_ZL28rocblas_dot_batched_4_kernelIlLi32ELi4ELb0EffPK16rocblas_bfloat16EviT5_lT_lS3_lS4_liPT4_ ; -- Begin function _ZL28rocblas_dot_batched_4_kernelIlLi32ELi4ELb0EffPK16rocblas_bfloat16EviT5_lT_lS3_lS4_liPT4_
	.p2align	8
	.type	_ZL28rocblas_dot_batched_4_kernelIlLi32ELi4ELb0EffPK16rocblas_bfloat16EviT5_lT_lS3_lS4_liPT4_,@function
_ZL28rocblas_dot_batched_4_kernelIlLi32ELi4ELb0EffPK16rocblas_bfloat16EviT5_lT_lS3_lS4_liPT4_: ; @_ZL28rocblas_dot_batched_4_kernelIlLi32ELi4ELb0EffPK16rocblas_bfloat16EviT5_lT_lS3_lS4_liPT4_
; %bb.0:
	s_load_dword s0, s[4:5], 0x48
	v_bfe_u32 v1, v0, 10, 10
	v_lshl_add_u32 v2, s6, 2, v1
	s_waitcnt lgkmcnt(0)
	v_cmp_gt_u32_e32 vcc, s0, v2
	s_and_saveexec_b64 s[0:1], vcc
	s_cbranch_execz .LBB359_7
; %bb.1:
	s_load_dword s16, s[4:5], 0x0
	s_load_dwordx2 s[0:1], s[4:5], 0x50
	v_mov_b32_e32 v3, 0
	v_and_b32_e32 v6, 0x3ff, v0
	v_mov_b32_e32 v7, v3
	s_waitcnt lgkmcnt(0)
	v_cmp_gt_i32_e32 vcc, s16, v6
	s_and_saveexec_b64 s[2:3], vcc
	s_cbranch_execz .LBB359_5
; %bb.2:
	s_load_dwordx4 s[20:23], s[4:5], 0x10
	s_load_dwordx2 s[6:7], s[4:5], 0x8
	s_load_dwordx8 s[8:15], s[4:5], 0x20
	s_load_dwordx2 s[18:19], s[4:5], 0x40
	s_waitcnt lgkmcnt(0)
	v_mad_u64_u32 v[0:1], s[4:5], s22, v6, 0
	v_mov_b32_e32 v4, v1
	v_mad_u64_u32 v[4:5], s[4:5], s23, v6, v[4:5]
	v_mov_b32_e32 v1, v4
	;; [unrolled: 2-line block ×4, first 2 shown]
	v_lshlrev_b64 v[0:1], 1, v[0:1]
	v_lshlrev_b64 v[4:5], 1, v[4:5]
	s_lshl_b64 s[4:5], s[20:21], 1
	v_add_co_u32_e32 v0, vcc, v0, v4
	s_add_u32 s4, s6, s4
	v_addc_co_u32_e32 v1, vcc, v1, v5, vcc
	s_addc_u32 s5, s7, s5
	v_mov_b32_e32 v4, s5
	v_add_co_u32_e32 v0, vcc, s4, v0
	v_addc_co_u32_e32 v1, vcc, v4, v1, vcc
	v_mad_u64_u32 v[4:5], s[6:7], s14, v6, 0
	v_mov_b32_e32 v8, v5
	v_mad_u64_u32 v[8:9], s[6:7], s15, v6, v[8:9]
	v_mov_b32_e32 v5, v8
	;; [unrolled: 2-line block ×4, first 2 shown]
	s_lshl_b64 s[4:5], s[22:23], 6
	v_lshlrev_b64 v[4:5], 1, v[4:5]
	v_lshlrev_b64 v[8:9], 1, v[8:9]
	s_lshl_b64 s[6:7], s[12:13], 1
	v_add_co_u32_e32 v4, vcc, v4, v8
	s_add_u32 s6, s10, s6
	v_addc_co_u32_e32 v5, vcc, v5, v9, vcc
	s_addc_u32 s7, s11, s7
	v_mov_b32_e32 v7, s7
	v_add_co_u32_e32 v4, vcc, s6, v4
	s_lshl_b64 s[8:9], s[14:15], 6
	v_addc_co_u32_e32 v5, vcc, v7, v5, vcc
	s_mov_b64 s[6:7], 0
	v_mov_b32_e32 v7, 0
	v_mov_b32_e32 v8, s5
	;; [unrolled: 1-line block ×4, first 2 shown]
.LBB359_3:                              ; =>This Inner Loop Header: Depth=1
	global_load_ushort v11, v[0:1], off
	global_load_ushort v12, v[4:5], off
	v_add_co_u32_e32 v0, vcc, s4, v0
	v_addc_co_u32_e32 v1, vcc, v1, v8, vcc
	v_add_co_u32_e32 v4, vcc, s8, v4
	v_add_u32_e32 v10, 32, v10
	v_addc_co_u32_e32 v5, vcc, v5, v9, vcc
	v_cmp_le_i32_e32 vcc, s16, v10
	s_or_b64 s[6:7], vcc, s[6:7]
	s_waitcnt vmcnt(1)
	v_lshlrev_b32_e32 v11, 16, v11
	s_waitcnt vmcnt(0)
	v_lshlrev_b32_e32 v12, 16, v12
	v_fmac_f32_e32 v7, v12, v11
	s_andn2_b64 exec, exec, s[6:7]
	s_cbranch_execnz .LBB359_3
; %bb.4:
	s_or_b64 exec, exec, s[6:7]
.LBB359_5:
	s_or_b64 exec, exec, s[2:3]
	v_mbcnt_lo_u32_b32 v0, -1, 0
	v_mbcnt_hi_u32_b32 v0, -1, v0
	v_and_b32_e32 v1, 63, v0
	v_cmp_gt_u32_e32 vcc, 48, v1
	v_cndmask_b32_e64 v4, 0, 1, vcc
	v_lshlrev_b32_e32 v4, 4, v4
	v_add_lshl_u32 v4, v4, v0, 2
	ds_bpermute_b32 v4, v4, v7
	v_cmp_gt_u32_e32 vcc, 56, v1
	v_cndmask_b32_e64 v5, 0, 1, vcc
	v_lshlrev_b32_e32 v5, 3, v5
	v_add_lshl_u32 v5, v5, v0, 2
	s_waitcnt lgkmcnt(0)
	v_add_f32_e32 v4, v7, v4
	ds_bpermute_b32 v5, v5, v4
	v_cmp_gt_u32_e32 vcc, 60, v1
	v_cndmask_b32_e64 v7, 0, 1, vcc
	v_lshlrev_b32_e32 v7, 2, v7
	v_cmp_gt_u32_e32 vcc, 62, v1
	s_waitcnt lgkmcnt(0)
	v_add_f32_e32 v4, v4, v5
	v_add_lshl_u32 v5, v7, v0, 2
	ds_bpermute_b32 v5, v5, v4
	v_cndmask_b32_e64 v7, 0, 1, vcc
	v_lshlrev_b32_e32 v7, 1, v7
	v_cmp_ne_u32_e32 vcc, 63, v1
	v_addc_co_u32_e32 v1, vcc, 0, v0, vcc
	s_waitcnt lgkmcnt(0)
	v_add_f32_e32 v4, v4, v5
	v_add_lshl_u32 v5, v7, v0, 2
	ds_bpermute_b32 v5, v5, v4
	v_lshlrev_b32_e32 v1, 2, v1
	v_cmp_eq_u32_e32 vcc, 0, v6
	s_waitcnt lgkmcnt(0)
	s_barrier
	v_add_f32_e32 v0, v4, v5
	ds_bpermute_b32 v1, v1, v0
	s_waitcnt lgkmcnt(0)
	s_and_b64 exec, exec, vcc
	s_cbranch_execz .LBB359_7
; %bb.6:
	v_lshlrev_b64 v[2:3], 2, v[2:3]
	v_mov_b32_e32 v4, s1
	v_add_co_u32_e32 v2, vcc, s0, v2
	v_addc_co_u32_e32 v3, vcc, v4, v3, vcc
	v_add_f32_e32 v0, v0, v1
	global_store_dword v[2:3], v0, off
.LBB359_7:
	s_endpgm
	.section	.rodata,"a",@progbits
	.p2align	6, 0x0
	.amdhsa_kernel _ZL28rocblas_dot_batched_4_kernelIlLi32ELi4ELb0EffPK16rocblas_bfloat16EviT5_lT_lS3_lS4_liPT4_
		.amdhsa_group_segment_fixed_size 0
		.amdhsa_private_segment_fixed_size 0
		.amdhsa_kernarg_size 88
		.amdhsa_user_sgpr_count 6
		.amdhsa_user_sgpr_private_segment_buffer 1
		.amdhsa_user_sgpr_dispatch_ptr 0
		.amdhsa_user_sgpr_queue_ptr 0
		.amdhsa_user_sgpr_kernarg_segment_ptr 1
		.amdhsa_user_sgpr_dispatch_id 0
		.amdhsa_user_sgpr_flat_scratch_init 0
		.amdhsa_user_sgpr_kernarg_preload_length 0
		.amdhsa_user_sgpr_kernarg_preload_offset 0
		.amdhsa_user_sgpr_private_segment_size 0
		.amdhsa_uses_dynamic_stack 0
		.amdhsa_system_sgpr_private_segment_wavefront_offset 0
		.amdhsa_system_sgpr_workgroup_id_x 1
		.amdhsa_system_sgpr_workgroup_id_y 0
		.amdhsa_system_sgpr_workgroup_id_z 0
		.amdhsa_system_sgpr_workgroup_info 0
		.amdhsa_system_vgpr_workitem_id 1
		.amdhsa_next_free_vgpr 13
		.amdhsa_next_free_sgpr 24
		.amdhsa_accum_offset 16
		.amdhsa_reserve_vcc 1
		.amdhsa_reserve_flat_scratch 0
		.amdhsa_float_round_mode_32 0
		.amdhsa_float_round_mode_16_64 0
		.amdhsa_float_denorm_mode_32 3
		.amdhsa_float_denorm_mode_16_64 3
		.amdhsa_dx10_clamp 1
		.amdhsa_ieee_mode 1
		.amdhsa_fp16_overflow 0
		.amdhsa_tg_split 0
		.amdhsa_exception_fp_ieee_invalid_op 0
		.amdhsa_exception_fp_denorm_src 0
		.amdhsa_exception_fp_ieee_div_zero 0
		.amdhsa_exception_fp_ieee_overflow 0
		.amdhsa_exception_fp_ieee_underflow 0
		.amdhsa_exception_fp_ieee_inexact 0
		.amdhsa_exception_int_div_zero 0
	.end_amdhsa_kernel
	.section	.text._ZL28rocblas_dot_batched_4_kernelIlLi32ELi4ELb0EffPK16rocblas_bfloat16EviT5_lT_lS3_lS4_liPT4_,"axG",@progbits,_ZL28rocblas_dot_batched_4_kernelIlLi32ELi4ELb0EffPK16rocblas_bfloat16EviT5_lT_lS3_lS4_liPT4_,comdat
.Lfunc_end359:
	.size	_ZL28rocblas_dot_batched_4_kernelIlLi32ELi4ELb0EffPK16rocblas_bfloat16EviT5_lT_lS3_lS4_liPT4_, .Lfunc_end359-_ZL28rocblas_dot_batched_4_kernelIlLi32ELi4ELb0EffPK16rocblas_bfloat16EviT5_lT_lS3_lS4_liPT4_
                                        ; -- End function
	.section	.AMDGPU.csdata,"",@progbits
; Kernel info:
; codeLenInByte = 680
; NumSgprs: 28
; NumVgprs: 13
; NumAgprs: 0
; TotalNumVgprs: 13
; ScratchSize: 0
; MemoryBound: 0
; FloatMode: 240
; IeeeMode: 1
; LDSByteSize: 0 bytes/workgroup (compile time only)
; SGPRBlocks: 3
; VGPRBlocks: 1
; NumSGPRsForWavesPerEU: 28
; NumVGPRsForWavesPerEU: 13
; AccumOffset: 16
; Occupancy: 8
; WaveLimiterHint : 0
; COMPUTE_PGM_RSRC2:SCRATCH_EN: 0
; COMPUTE_PGM_RSRC2:USER_SGPR: 6
; COMPUTE_PGM_RSRC2:TRAP_HANDLER: 0
; COMPUTE_PGM_RSRC2:TGID_X_EN: 1
; COMPUTE_PGM_RSRC2:TGID_Y_EN: 0
; COMPUTE_PGM_RSRC2:TGID_Z_EN: 0
; COMPUTE_PGM_RSRC2:TIDIG_COMP_CNT: 1
; COMPUTE_PGM_RSRC3_GFX90A:ACCUM_OFFSET: 3
; COMPUTE_PGM_RSRC3_GFX90A:TG_SPLIT: 0
	.section	.text._ZL28rocblas_dot_batched_4_kernelIlLi64ELi4ELb0EffPK16rocblas_bfloat16EviT5_lT_lS3_lS4_liPT4_,"axG",@progbits,_ZL28rocblas_dot_batched_4_kernelIlLi64ELi4ELb0EffPK16rocblas_bfloat16EviT5_lT_lS3_lS4_liPT4_,comdat
	.globl	_ZL28rocblas_dot_batched_4_kernelIlLi64ELi4ELb0EffPK16rocblas_bfloat16EviT5_lT_lS3_lS4_liPT4_ ; -- Begin function _ZL28rocblas_dot_batched_4_kernelIlLi64ELi4ELb0EffPK16rocblas_bfloat16EviT5_lT_lS3_lS4_liPT4_
	.p2align	8
	.type	_ZL28rocblas_dot_batched_4_kernelIlLi64ELi4ELb0EffPK16rocblas_bfloat16EviT5_lT_lS3_lS4_liPT4_,@function
_ZL28rocblas_dot_batched_4_kernelIlLi64ELi4ELb0EffPK16rocblas_bfloat16EviT5_lT_lS3_lS4_liPT4_: ; @_ZL28rocblas_dot_batched_4_kernelIlLi64ELi4ELb0EffPK16rocblas_bfloat16EviT5_lT_lS3_lS4_liPT4_
; %bb.0:
	s_load_dword s0, s[4:5], 0x48
	v_bfe_u32 v1, v0, 10, 10
	v_lshl_add_u32 v2, s6, 2, v1
	s_waitcnt lgkmcnt(0)
	v_cmp_gt_u32_e32 vcc, s0, v2
	s_and_saveexec_b64 s[0:1], vcc
	s_cbranch_execz .LBB360_7
; %bb.1:
	s_load_dword s16, s[4:5], 0x0
	s_load_dwordx2 s[0:1], s[4:5], 0x50
	v_mov_b32_e32 v3, 0
	v_and_b32_e32 v6, 0x3ff, v0
	v_mov_b32_e32 v7, v3
	s_waitcnt lgkmcnt(0)
	v_cmp_gt_i32_e32 vcc, s16, v6
	s_and_saveexec_b64 s[2:3], vcc
	s_cbranch_execz .LBB360_5
; %bb.2:
	s_load_dwordx4 s[20:23], s[4:5], 0x10
	s_load_dwordx2 s[6:7], s[4:5], 0x8
	s_load_dwordx8 s[8:15], s[4:5], 0x20
	s_load_dwordx2 s[18:19], s[4:5], 0x40
	s_waitcnt lgkmcnt(0)
	v_mad_u64_u32 v[0:1], s[4:5], s22, v6, 0
	v_mov_b32_e32 v4, v1
	v_mad_u64_u32 v[4:5], s[4:5], s23, v6, v[4:5]
	v_mov_b32_e32 v1, v4
	;; [unrolled: 2-line block ×4, first 2 shown]
	v_lshlrev_b64 v[0:1], 1, v[0:1]
	v_lshlrev_b64 v[4:5], 1, v[4:5]
	s_lshl_b64 s[4:5], s[20:21], 1
	v_add_co_u32_e32 v0, vcc, v0, v4
	s_add_u32 s4, s6, s4
	v_addc_co_u32_e32 v1, vcc, v1, v5, vcc
	s_addc_u32 s5, s7, s5
	v_mov_b32_e32 v4, s5
	v_add_co_u32_e32 v0, vcc, s4, v0
	v_addc_co_u32_e32 v1, vcc, v4, v1, vcc
	v_mad_u64_u32 v[4:5], s[6:7], s14, v6, 0
	v_mov_b32_e32 v8, v5
	v_mad_u64_u32 v[8:9], s[6:7], s15, v6, v[8:9]
	v_mov_b32_e32 v5, v8
	;; [unrolled: 2-line block ×4, first 2 shown]
	s_lshl_b64 s[4:5], s[22:23], 7
	v_lshlrev_b64 v[4:5], 1, v[4:5]
	v_lshlrev_b64 v[8:9], 1, v[8:9]
	s_lshl_b64 s[6:7], s[12:13], 1
	v_add_co_u32_e32 v4, vcc, v4, v8
	s_add_u32 s6, s10, s6
	v_addc_co_u32_e32 v5, vcc, v5, v9, vcc
	s_addc_u32 s7, s11, s7
	v_mov_b32_e32 v7, s7
	v_add_co_u32_e32 v4, vcc, s6, v4
	s_lshl_b64 s[8:9], s[14:15], 7
	v_addc_co_u32_e32 v5, vcc, v7, v5, vcc
	s_mov_b64 s[6:7], 0
	v_mov_b32_e32 v7, 0
	v_mov_b32_e32 v8, s5
	;; [unrolled: 1-line block ×4, first 2 shown]
.LBB360_3:                              ; =>This Inner Loop Header: Depth=1
	global_load_ushort v11, v[0:1], off
	global_load_ushort v12, v[4:5], off
	v_add_co_u32_e32 v0, vcc, s4, v0
	v_addc_co_u32_e32 v1, vcc, v1, v8, vcc
	v_add_co_u32_e32 v4, vcc, s8, v4
	v_add_u32_e32 v10, 64, v10
	v_addc_co_u32_e32 v5, vcc, v5, v9, vcc
	v_cmp_le_i32_e32 vcc, s16, v10
	s_or_b64 s[6:7], vcc, s[6:7]
	s_waitcnt vmcnt(1)
	v_lshlrev_b32_e32 v11, 16, v11
	s_waitcnt vmcnt(0)
	v_lshlrev_b32_e32 v12, 16, v12
	v_fmac_f32_e32 v7, v12, v11
	s_andn2_b64 exec, exec, s[6:7]
	s_cbranch_execnz .LBB360_3
; %bb.4:
	s_or_b64 exec, exec, s[6:7]
.LBB360_5:
	s_or_b64 exec, exec, s[2:3]
	v_mbcnt_lo_u32_b32 v0, -1, 0
	v_mbcnt_hi_u32_b32 v0, -1, v0
	v_and_b32_e32 v1, 63, v0
	v_cmp_gt_u32_e32 vcc, 32, v1
	v_cndmask_b32_e64 v4, 0, 1, vcc
	v_lshlrev_b32_e32 v4, 5, v4
	v_add_lshl_u32 v4, v4, v0, 2
	ds_bpermute_b32 v4, v4, v7
	v_cmp_gt_u32_e32 vcc, 48, v1
	v_cndmask_b32_e64 v5, 0, 1, vcc
	v_lshlrev_b32_e32 v5, 4, v5
	v_add_lshl_u32 v5, v5, v0, 2
	s_waitcnt lgkmcnt(0)
	v_add_f32_e32 v4, v7, v4
	ds_bpermute_b32 v5, v5, v4
	v_cmp_gt_u32_e32 vcc, 56, v1
	v_cndmask_b32_e64 v7, 0, 1, vcc
	v_lshlrev_b32_e32 v7, 3, v7
	v_cmp_gt_u32_e32 vcc, 60, v1
	s_waitcnt lgkmcnt(0)
	v_add_f32_e32 v4, v4, v5
	v_add_lshl_u32 v5, v7, v0, 2
	ds_bpermute_b32 v5, v5, v4
	v_cndmask_b32_e64 v7, 0, 1, vcc
	v_lshlrev_b32_e32 v7, 2, v7
	v_cmp_gt_u32_e32 vcc, 62, v1
	s_waitcnt lgkmcnt(0)
	v_add_f32_e32 v4, v4, v5
	v_add_lshl_u32 v5, v7, v0, 2
	ds_bpermute_b32 v5, v5, v4
	v_cndmask_b32_e64 v7, 0, 1, vcc
	v_lshlrev_b32_e32 v7, 1, v7
	v_cmp_ne_u32_e32 vcc, 63, v1
	v_addc_co_u32_e32 v1, vcc, 0, v0, vcc
	s_waitcnt lgkmcnt(0)
	v_add_f32_e32 v4, v4, v5
	v_add_lshl_u32 v5, v7, v0, 2
	ds_bpermute_b32 v5, v5, v4
	v_lshlrev_b32_e32 v1, 2, v1
	v_cmp_eq_u32_e32 vcc, 0, v6
	s_barrier
	s_waitcnt lgkmcnt(0)
	v_add_f32_e32 v0, v4, v5
	ds_bpermute_b32 v1, v1, v0
	s_and_b64 exec, exec, vcc
	s_cbranch_execz .LBB360_7
; %bb.6:
	v_lshlrev_b64 v[2:3], 2, v[2:3]
	v_mov_b32_e32 v4, s1
	v_add_co_u32_e32 v2, vcc, s0, v2
	v_addc_co_u32_e32 v3, vcc, v4, v3, vcc
	s_waitcnt lgkmcnt(0)
	v_add_f32_e32 v0, v0, v1
	global_store_dword v[2:3], v0, off
.LBB360_7:
	s_endpgm
	.section	.rodata,"a",@progbits
	.p2align	6, 0x0
	.amdhsa_kernel _ZL28rocblas_dot_batched_4_kernelIlLi64ELi4ELb0EffPK16rocblas_bfloat16EviT5_lT_lS3_lS4_liPT4_
		.amdhsa_group_segment_fixed_size 0
		.amdhsa_private_segment_fixed_size 0
		.amdhsa_kernarg_size 88
		.amdhsa_user_sgpr_count 6
		.amdhsa_user_sgpr_private_segment_buffer 1
		.amdhsa_user_sgpr_dispatch_ptr 0
		.amdhsa_user_sgpr_queue_ptr 0
		.amdhsa_user_sgpr_kernarg_segment_ptr 1
		.amdhsa_user_sgpr_dispatch_id 0
		.amdhsa_user_sgpr_flat_scratch_init 0
		.amdhsa_user_sgpr_kernarg_preload_length 0
		.amdhsa_user_sgpr_kernarg_preload_offset 0
		.amdhsa_user_sgpr_private_segment_size 0
		.amdhsa_uses_dynamic_stack 0
		.amdhsa_system_sgpr_private_segment_wavefront_offset 0
		.amdhsa_system_sgpr_workgroup_id_x 1
		.amdhsa_system_sgpr_workgroup_id_y 0
		.amdhsa_system_sgpr_workgroup_id_z 0
		.amdhsa_system_sgpr_workgroup_info 0
		.amdhsa_system_vgpr_workitem_id 1
		.amdhsa_next_free_vgpr 13
		.amdhsa_next_free_sgpr 24
		.amdhsa_accum_offset 16
		.amdhsa_reserve_vcc 1
		.amdhsa_reserve_flat_scratch 0
		.amdhsa_float_round_mode_32 0
		.amdhsa_float_round_mode_16_64 0
		.amdhsa_float_denorm_mode_32 3
		.amdhsa_float_denorm_mode_16_64 3
		.amdhsa_dx10_clamp 1
		.amdhsa_ieee_mode 1
		.amdhsa_fp16_overflow 0
		.amdhsa_tg_split 0
		.amdhsa_exception_fp_ieee_invalid_op 0
		.amdhsa_exception_fp_denorm_src 0
		.amdhsa_exception_fp_ieee_div_zero 0
		.amdhsa_exception_fp_ieee_overflow 0
		.amdhsa_exception_fp_ieee_underflow 0
		.amdhsa_exception_fp_ieee_inexact 0
		.amdhsa_exception_int_div_zero 0
	.end_amdhsa_kernel
	.section	.text._ZL28rocblas_dot_batched_4_kernelIlLi64ELi4ELb0EffPK16rocblas_bfloat16EviT5_lT_lS3_lS4_liPT4_,"axG",@progbits,_ZL28rocblas_dot_batched_4_kernelIlLi64ELi4ELb0EffPK16rocblas_bfloat16EviT5_lT_lS3_lS4_liPT4_,comdat
.Lfunc_end360:
	.size	_ZL28rocblas_dot_batched_4_kernelIlLi64ELi4ELb0EffPK16rocblas_bfloat16EviT5_lT_lS3_lS4_liPT4_, .Lfunc_end360-_ZL28rocblas_dot_batched_4_kernelIlLi64ELi4ELb0EffPK16rocblas_bfloat16EviT5_lT_lS3_lS4_liPT4_
                                        ; -- End function
	.section	.AMDGPU.csdata,"",@progbits
; Kernel info:
; codeLenInByte = 720
; NumSgprs: 28
; NumVgprs: 13
; NumAgprs: 0
; TotalNumVgprs: 13
; ScratchSize: 0
; MemoryBound: 0
; FloatMode: 240
; IeeeMode: 1
; LDSByteSize: 0 bytes/workgroup (compile time only)
; SGPRBlocks: 3
; VGPRBlocks: 1
; NumSGPRsForWavesPerEU: 28
; NumVGPRsForWavesPerEU: 13
; AccumOffset: 16
; Occupancy: 8
; WaveLimiterHint : 0
; COMPUTE_PGM_RSRC2:SCRATCH_EN: 0
; COMPUTE_PGM_RSRC2:USER_SGPR: 6
; COMPUTE_PGM_RSRC2:TRAP_HANDLER: 0
; COMPUTE_PGM_RSRC2:TGID_X_EN: 1
; COMPUTE_PGM_RSRC2:TGID_Y_EN: 0
; COMPUTE_PGM_RSRC2:TGID_Z_EN: 0
; COMPUTE_PGM_RSRC2:TIDIG_COMP_CNT: 1
; COMPUTE_PGM_RSRC3_GFX90A:ACCUM_OFFSET: 3
; COMPUTE_PGM_RSRC3_GFX90A:TG_SPLIT: 0
	.section	.text._ZL26rocblas_dot_kernel_inc1by2ILb1ELi1024ELi32ELb0EfPK16rocblas_bfloat16fEviT4_llS3_lliPT5_PT3_,"axG",@progbits,_ZL26rocblas_dot_kernel_inc1by2ILb1ELi1024ELi32ELb0EfPK16rocblas_bfloat16fEviT4_llS3_lliPT5_PT3_,comdat
	.globl	_ZL26rocblas_dot_kernel_inc1by2ILb1ELi1024ELi32ELb0EfPK16rocblas_bfloat16fEviT4_llS3_lliPT5_PT3_ ; -- Begin function _ZL26rocblas_dot_kernel_inc1by2ILb1ELi1024ELi32ELb0EfPK16rocblas_bfloat16fEviT4_llS3_lliPT5_PT3_
	.p2align	8
	.type	_ZL26rocblas_dot_kernel_inc1by2ILb1ELi1024ELi32ELb0EfPK16rocblas_bfloat16fEviT4_llS3_lliPT5_PT3_,@function
_ZL26rocblas_dot_kernel_inc1by2ILb1ELi1024ELi32ELb0EfPK16rocblas_bfloat16fEviT4_llS3_lliPT5_PT3_: ; @_ZL26rocblas_dot_kernel_inc1by2ILb1ELi1024ELi32ELb0EfPK16rocblas_bfloat16fEviT4_llS3_lliPT5_PT3_
; %bb.0:
	s_mov_b32 s2, s7
	s_load_dword s24, s[4:5], 0x0
	s_load_dwordx2 s[18:19], s[4:5], 0x8
	s_load_dwordx4 s[12:15], s[4:5], 0x10
	s_load_dwordx2 s[16:17], s[4:5], 0x20
	s_load_dwordx2 s[6:7], s[4:5], 0x48
	s_load_dwordx4 s[8:11], s[4:5], 0x28
	v_lshlrev_b32_e32 v6, 1, v0
	s_waitcnt lgkmcnt(0)
	s_mul_i32 s0, s2, s15
	s_mul_hi_u32 s1, s2, s14
	s_add_i32 s15, s1, s0
	s_mul_i32 s0, s2, s11
	s_mul_hi_u32 s1, s2, s10
	s_add_i32 s4, s24, -1
	s_mov_b32 s3, 0
	s_mul_i32 s14, s2, s14
	s_add_i32 s11, s1, s0
	s_mul_i32 s10, s2, s10
	v_cmp_gt_i32_e32 vcc, s4, v6
	v_mov_b32_e32 v1, 0
	s_and_saveexec_b64 s[20:21], vcc
	s_cbranch_execz .LBB361_4
; %bb.1:
	s_lshl_b64 s[0:1], s[10:11], 1
	s_lshl_b64 s[22:23], s[8:9], 1
	s_add_u32 s5, s16, s22
	s_addc_u32 s22, s17, s23
	s_add_u32 s0, s5, s0
	v_lshlrev_b32_e32 v4, 2, v0
	s_addc_u32 s1, s22, s1
	v_mov_b32_e32 v3, s1
	v_add_co_u32_e32 v2, vcc, s0, v4
	s_lshl_b64 s[0:1], s[14:15], 1
	s_lshl_b64 s[22:23], s[12:13], 1
	s_add_u32 s5, s18, s22
	s_addc_u32 s22, s19, s23
	s_add_u32 s0, s5, s0
	v_addc_co_u32_e32 v3, vcc, 0, v3, vcc
	s_addc_u32 s1, s22, s1
	v_mov_b32_e32 v5, s1
	v_add_co_u32_e32 v4, vcc, s0, v4
	v_mov_b32_e32 v1, 0
	v_addc_co_u32_e32 v5, vcc, 0, v5, vcc
	s_mov_b64 s[22:23], 0
	s_mov_b32 s5, s3
.LBB361_2:                              ; =>This Inner Loop Header: Depth=1
	global_load_dword v7, v[2:3], off
	global_load_dword v10, v[4:5], off
	s_add_i32 s25, s5, 1
	v_add_u32_e32 v6, 0x800, v6
	s_cmp_gt_u32 s5, 30
	v_add_co_u32_e32 v2, vcc, 0x1000, v2
	v_cmp_le_i32_e64 s[0:1], s4, v6
	s_cselect_b64 s[26:27], -1, 0
	v_addc_co_u32_e32 v3, vcc, 0, v3, vcc
	s_or_b64 s[0:1], s[26:27], s[0:1]
	v_add_co_u32_e32 v4, vcc, 0x1000, v4
	s_and_b64 s[0:1], exec, s[0:1]
	s_mov_b32 s5, s25
	v_addc_co_u32_e32 v5, vcc, 0, v5, vcc
	s_or_b64 s[22:23], s[0:1], s[22:23]
	s_waitcnt vmcnt(1)
	v_and_b32_e32 v9, 0xffff0000, v7
	v_lshlrev_b32_e32 v8, 16, v7
	s_waitcnt vmcnt(0)
	v_and_b32_e32 v11, 0xffff0000, v10
	v_lshlrev_b32_e32 v10, 16, v10
	v_pk_mul_f32 v[8:9], v[8:9], v[10:11]
	v_add_f32_e32 v1, v1, v8
	v_add_f32_e32 v1, v1, v9
	s_andn2_b64 exec, exec, s[22:23]
	s_cbranch_execnz .LBB361_2
; %bb.3:
	s_or_b64 exec, exec, s[22:23]
.LBB361_4:
	s_or_b64 exec, exec, s[20:21]
	s_bitcmp1_b32 s24, 0
	s_cselect_b64 s[0:1], -1, 0
	v_cmp_eq_u32_e32 vcc, s4, v6
	s_and_b64 s[20:21], s[0:1], vcc
	s_and_saveexec_b64 s[0:1], s[20:21]
	s_cbranch_execz .LBB361_6
; %bb.5:
	s_lshl_b64 s[14:15], s[14:15], 1
	s_add_u32 s5, s18, s14
	s_addc_u32 s14, s19, s15
	s_lshl_b64 s[12:13], s[12:13], 1
	s_add_u32 s12, s5, s12
	s_addc_u32 s13, s14, s13
	;; [unrolled: 3-line block ×3, first 2 shown]
	s_lshl_b64 s[8:9], s[8:9], 1
	s_add_u32 s8, s5, s8
	s_mov_b32 s5, 0
	s_addc_u32 s9, s10, s9
	s_lshl_b64 s[4:5], s[4:5], 1
	s_add_u32 s8, s8, s4
	s_addc_u32 s9, s9, s5
	v_mov_b32_e32 v2, 0
	s_add_u32 s4, s12, s4
	s_addc_u32 s5, s13, s5
	global_load_ushort v3, v2, s[8:9]
	global_load_ushort v4, v2, s[4:5]
	s_waitcnt vmcnt(1)
	v_lshlrev_b32_e32 v2, 16, v3
	s_waitcnt vmcnt(0)
	v_lshlrev_b32_e32 v3, 16, v4
	v_fmac_f32_e32 v1, v3, v2
.LBB361_6:
	s_or_b64 exec, exec, s[0:1]
	v_and_b32_e32 v3, 63, v0
	v_cmp_gt_u32_e32 vcc, 64, v0
	v_lshlrev_b32_e32 v2, 2, v3
	s_and_saveexec_b64 s[0:1], vcc
	s_cbranch_execz .LBB361_8
; %bb.7:
	v_mov_b32_e32 v4, 0
	ds_write_b32 v2, v4
.LBB361_8:
	s_or_b64 exec, exec, s[0:1]
	v_mbcnt_lo_u32_b32 v4, -1, 0
	v_mbcnt_hi_u32_b32 v6, -1, v4
	v_and_b32_e32 v7, 63, v6
	v_cmp_gt_u32_e64 s[0:1], 32, v7
	v_cndmask_b32_e64 v4, 0, 1, s[0:1]
	v_lshlrev_b32_e32 v4, 5, v4
	v_add_lshl_u32 v4, v4, v6, 2
	ds_bpermute_b32 v4, v4, v1
	v_cmp_gt_u32_e64 s[0:1], 48, v7
	v_cndmask_b32_e64 v5, 0, 1, s[0:1]
	v_lshlrev_b32_e32 v5, 4, v5
	v_cmp_gt_u32_e64 s[0:1], 56, v7
	s_waitcnt lgkmcnt(0)
	v_add_f32_e32 v1, v1, v4
	v_add_lshl_u32 v4, v5, v6, 2
	ds_bpermute_b32 v4, v4, v1
	v_cndmask_b32_e64 v5, 0, 1, s[0:1]
	v_lshlrev_b32_e32 v5, 3, v5
	v_cmp_gt_u32_e64 s[0:1], 60, v7
	v_cndmask_b32_e64 v8, 0, 1, s[0:1]
	s_waitcnt lgkmcnt(0)
	v_add_f32_e32 v4, v1, v4
	v_add_lshl_u32 v1, v5, v6, 2
	ds_bpermute_b32 v5, v1, v4
	v_lshlrev_b32_e32 v8, 2, v8
	v_cmp_gt_u32_e64 s[0:1], 62, v7
	v_cndmask_b32_e64 v9, 0, 1, s[0:1]
	v_lshlrev_b32_e32 v9, 1, v9
	s_waitcnt lgkmcnt(0)
	v_add_f32_e32 v5, v4, v5
	v_add_lshl_u32 v4, v8, v6, 2
	ds_bpermute_b32 v8, v4, v5
	v_cmp_ne_u32_e64 s[0:1], 63, v7
	s_waitcnt lgkmcnt(0)
	s_barrier
	v_add_f32_e32 v8, v5, v8
	v_add_lshl_u32 v5, v9, v6, 2
	ds_bpermute_b32 v9, v5, v8
	v_addc_co_u32_e64 v6, s[0:1], 0, v6, s[0:1]
	v_lshlrev_b32_e32 v6, 2, v6
	v_cmp_eq_u32_e64 s[0:1], 0, v3
	s_waitcnt lgkmcnt(0)
	v_add_f32_e32 v7, v8, v9
	ds_bpermute_b32 v8, v6, v7
	s_and_saveexec_b64 s[4:5], s[0:1]
	s_cbranch_execz .LBB361_10
; %bb.9:
	s_waitcnt lgkmcnt(0)
	v_add_f32_e32 v3, v7, v8
	v_lshrrev_b32_e32 v7, 4, v0
	v_and_b32_e32 v7, 60, v7
	ds_write_b32 v7, v3
.LBB361_10:
	s_or_b64 exec, exec, s[4:5]
	v_cmp_gt_u32_e64 s[0:1], 16, v0
	v_mov_b32_e32 v3, 0
	s_waitcnt lgkmcnt(0)
	s_barrier
	s_and_saveexec_b64 s[4:5], s[0:1]
	s_cbranch_execnz .LBB361_14
; %bb.11:
	s_or_b64 exec, exec, s[4:5]
	s_and_saveexec_b64 s[0:1], vcc
	s_cbranch_execnz .LBB361_15
.LBB361_12:
	s_or_b64 exec, exec, s[0:1]
	v_cmp_eq_u32_e32 vcc, 0, v0
	s_and_saveexec_b64 s[0:1], vcc
	s_cbranch_execnz .LBB361_16
.LBB361_13:
	s_endpgm
.LBB361_14:
	ds_read_b32 v3, v2
	s_or_b64 exec, exec, s[4:5]
	s_and_saveexec_b64 s[0:1], vcc
	s_cbranch_execz .LBB361_12
.LBB361_15:
	s_waitcnt lgkmcnt(0)
	ds_bpermute_b32 v1, v1, v3
	s_waitcnt lgkmcnt(0)
	v_add_f32_e32 v1, v3, v1
	ds_bpermute_b32 v2, v4, v1
	s_waitcnt lgkmcnt(0)
	v_add_f32_e32 v1, v1, v2
	ds_bpermute_b32 v2, v5, v1
	s_waitcnt lgkmcnt(0)
	v_add_f32_e32 v1, v1, v2
	ds_bpermute_b32 v2, v6, v1
	s_waitcnt lgkmcnt(0)
	v_add_f32_e32 v3, v1, v2
	s_or_b64 exec, exec, s[0:1]
	v_cmp_eq_u32_e32 vcc, 0, v0
	s_and_saveexec_b64 s[0:1], vcc
	s_cbranch_execz .LBB361_13
.LBB361_16:
	s_lshl_b64 s[0:1], s[2:3], 2
	s_add_u32 s0, s6, s0
	s_addc_u32 s1, s7, s1
	v_mov_b32_e32 v0, 0
	s_waitcnt lgkmcnt(0)
	global_store_dword v0, v3, s[0:1]
	s_endpgm
	.section	.rodata,"a",@progbits
	.p2align	6, 0x0
	.amdhsa_kernel _ZL26rocblas_dot_kernel_inc1by2ILb1ELi1024ELi32ELb0EfPK16rocblas_bfloat16fEviT4_llS3_lliPT5_PT3_
		.amdhsa_group_segment_fixed_size 256
		.amdhsa_private_segment_fixed_size 0
		.amdhsa_kernarg_size 80
		.amdhsa_user_sgpr_count 6
		.amdhsa_user_sgpr_private_segment_buffer 1
		.amdhsa_user_sgpr_dispatch_ptr 0
		.amdhsa_user_sgpr_queue_ptr 0
		.amdhsa_user_sgpr_kernarg_segment_ptr 1
		.amdhsa_user_sgpr_dispatch_id 0
		.amdhsa_user_sgpr_flat_scratch_init 0
		.amdhsa_user_sgpr_kernarg_preload_length 0
		.amdhsa_user_sgpr_kernarg_preload_offset 0
		.amdhsa_user_sgpr_private_segment_size 0
		.amdhsa_uses_dynamic_stack 0
		.amdhsa_system_sgpr_private_segment_wavefront_offset 0
		.amdhsa_system_sgpr_workgroup_id_x 1
		.amdhsa_system_sgpr_workgroup_id_y 0
		.amdhsa_system_sgpr_workgroup_id_z 1
		.amdhsa_system_sgpr_workgroup_info 0
		.amdhsa_system_vgpr_workitem_id 0
		.amdhsa_next_free_vgpr 12
		.amdhsa_next_free_sgpr 28
		.amdhsa_accum_offset 12
		.amdhsa_reserve_vcc 1
		.amdhsa_reserve_flat_scratch 0
		.amdhsa_float_round_mode_32 0
		.amdhsa_float_round_mode_16_64 0
		.amdhsa_float_denorm_mode_32 3
		.amdhsa_float_denorm_mode_16_64 3
		.amdhsa_dx10_clamp 1
		.amdhsa_ieee_mode 1
		.amdhsa_fp16_overflow 0
		.amdhsa_tg_split 0
		.amdhsa_exception_fp_ieee_invalid_op 0
		.amdhsa_exception_fp_denorm_src 0
		.amdhsa_exception_fp_ieee_div_zero 0
		.amdhsa_exception_fp_ieee_overflow 0
		.amdhsa_exception_fp_ieee_underflow 0
		.amdhsa_exception_fp_ieee_inexact 0
		.amdhsa_exception_int_div_zero 0
	.end_amdhsa_kernel
	.section	.text._ZL26rocblas_dot_kernel_inc1by2ILb1ELi1024ELi32ELb0EfPK16rocblas_bfloat16fEviT4_llS3_lliPT5_PT3_,"axG",@progbits,_ZL26rocblas_dot_kernel_inc1by2ILb1ELi1024ELi32ELb0EfPK16rocblas_bfloat16fEviT4_llS3_lliPT5_PT3_,comdat
.Lfunc_end361:
	.size	_ZL26rocblas_dot_kernel_inc1by2ILb1ELi1024ELi32ELb0EfPK16rocblas_bfloat16fEviT4_llS3_lliPT5_PT3_, .Lfunc_end361-_ZL26rocblas_dot_kernel_inc1by2ILb1ELi1024ELi32ELb0EfPK16rocblas_bfloat16fEviT4_llS3_lliPT5_PT3_
                                        ; -- End function
	.section	.AMDGPU.csdata,"",@progbits
; Kernel info:
; codeLenInByte = 1040
; NumSgprs: 32
; NumVgprs: 12
; NumAgprs: 0
; TotalNumVgprs: 12
; ScratchSize: 0
; MemoryBound: 0
; FloatMode: 240
; IeeeMode: 1
; LDSByteSize: 256 bytes/workgroup (compile time only)
; SGPRBlocks: 3
; VGPRBlocks: 1
; NumSGPRsForWavesPerEU: 32
; NumVGPRsForWavesPerEU: 12
; AccumOffset: 12
; Occupancy: 8
; WaveLimiterHint : 0
; COMPUTE_PGM_RSRC2:SCRATCH_EN: 0
; COMPUTE_PGM_RSRC2:USER_SGPR: 6
; COMPUTE_PGM_RSRC2:TRAP_HANDLER: 0
; COMPUTE_PGM_RSRC2:TGID_X_EN: 1
; COMPUTE_PGM_RSRC2:TGID_Y_EN: 0
; COMPUTE_PGM_RSRC2:TGID_Z_EN: 1
; COMPUTE_PGM_RSRC2:TIDIG_COMP_CNT: 0
; COMPUTE_PGM_RSRC3_GFX90A:ACCUM_OFFSET: 2
; COMPUTE_PGM_RSRC3_GFX90A:TG_SPLIT: 0
	.section	.text._ZL18rocblas_dot_kernelIlLb1ELi1024ELi32ELb0EfPK16rocblas_bfloat16fEviT5_lT_lS3_lS4_liPT6_PT4_,"axG",@progbits,_ZL18rocblas_dot_kernelIlLb1ELi1024ELi32ELb0EfPK16rocblas_bfloat16fEviT5_lT_lS3_lS4_liPT6_PT4_,comdat
	.globl	_ZL18rocblas_dot_kernelIlLb1ELi1024ELi32ELb0EfPK16rocblas_bfloat16fEviT5_lT_lS3_lS4_liPT6_PT4_ ; -- Begin function _ZL18rocblas_dot_kernelIlLb1ELi1024ELi32ELb0EfPK16rocblas_bfloat16fEviT5_lT_lS3_lS4_liPT6_PT4_
	.p2align	8
	.type	_ZL18rocblas_dot_kernelIlLb1ELi1024ELi32ELb0EfPK16rocblas_bfloat16fEviT5_lT_lS3_lS4_liPT6_PT4_,@function
_ZL18rocblas_dot_kernelIlLb1ELi1024ELi32ELb0EfPK16rocblas_bfloat16fEviT5_lT_lS3_lS4_liPT6_PT4_: ; @_ZL18rocblas_dot_kernelIlLb1ELi1024ELi32ELb0EfPK16rocblas_bfloat16fEviT5_lT_lS3_lS4_liPT6_PT4_
; %bb.0:
	s_mov_b32 s2, s7
	s_load_dword s18, s[4:5], 0x0
	s_load_dwordx2 s[6:7], s[4:5], 0x58
	s_mov_b32 s3, 0
	v_mov_b32_e32 v6, 0
	s_waitcnt lgkmcnt(0)
	v_cmp_gt_i32_e32 vcc, s18, v0
	s_and_saveexec_b64 s[16:17], vcc
	s_cbranch_execz .LBB362_4
; %bb.1:
	s_load_dword s19, s[4:5], 0x60
	s_load_dwordx2 s[0:1], s[4:5], 0x40
	s_load_dwordx8 s[8:15], s[4:5], 0x20
	s_load_dwordx2 s[24:25], s[4:5], 0x8
	s_load_dwordx4 s[20:23], s[4:5], 0x10
	s_waitcnt lgkmcnt(0)
	s_lshl_b32 s19, s19, 10
	s_mul_i32 s1, s1, s2
	s_mul_i32 s4, s9, s2
	s_mul_hi_u32 s5, s8, s2
	s_add_i32 s5, s5, s4
	s_mul_i32 s4, s8, s2
	v_mad_u64_u32 v[2:3], s[8:9], s22, v0, 0
	v_mov_b32_e32 v4, v3
	v_mad_u64_u32 v[4:5], s[8:9], s23, v0, v[4:5]
	s_lshl_b64 s[4:5], s[4:5], 1
	s_lshl_b64 s[8:9], s[20:21], 1
	s_add_u32 s8, s24, s8
	s_addc_u32 s9, s25, s9
	v_mov_b32_e32 v3, v4
	s_add_u32 s4, s8, s4
	v_lshlrev_b64 v[2:3], 1, v[2:3]
	s_addc_u32 s5, s9, s5
	v_mov_b32_e32 v4, s5
	v_add_co_u32_e32 v2, vcc, s4, v2
	s_ashr_i32 s20, s19, 31
	s_mul_hi_u32 s8, s0, s2
	v_addc_co_u32_e32 v3, vcc, v4, v3, vcc
	s_mul_i32 s4, s22, s20
	s_mul_hi_u32 s5, s22, s19
	s_add_i32 s1, s8, s1
	v_mad_u64_u32 v[4:5], s[8:9], s14, v0, 0
	s_add_i32 s4, s5, s4
	s_mul_i32 s5, s23, s19
	v_mov_b32_e32 v6, v5
	s_add_i32 s5, s4, s5
	s_mul_i32 s4, s22, s19
	s_mul_i32 s0, s0, s2
	v_mad_u64_u32 v[6:7], s[8:9], s15, v0, v[6:7]
	s_lshl_b64 s[4:5], s[4:5], 1
	s_lshl_b64 s[0:1], s[0:1], 1
	;; [unrolled: 1-line block ×3, first 2 shown]
	s_add_u32 s8, s10, s8
	s_addc_u32 s9, s11, s9
	v_mov_b32_e32 v5, v6
	s_add_u32 s0, s8, s0
	v_lshlrev_b64 v[4:5], 1, v[4:5]
	s_addc_u32 s1, s9, s1
	v_mov_b32_e32 v6, s1
	v_add_co_u32_e32 v4, vcc, s0, v4
	s_mul_i32 s0, s14, s20
	s_mul_hi_u32 s1, s14, s19
	s_add_i32 s0, s1, s0
	s_mul_i32 s1, s15, s19
	s_add_i32 s1, s0, s1
	s_mul_i32 s0, s14, s19
	s_lshl_b64 s[10:11], s[0:1], 1
	v_or_b32_e32 v1, s19, v0
	v_addc_co_u32_e32 v5, vcc, v6, v5, vcc
	s_mov_b64 s[8:9], 0
	v_mov_b32_e32 v6, 0
	v_mov_b32_e32 v7, s5
	;; [unrolled: 1-line block ×3, first 2 shown]
	s_mov_b32 s5, s3
.LBB362_2:                              ; =>This Inner Loop Header: Depth=1
	global_load_ushort v9, v[4:5], off
	global_load_ushort v10, v[2:3], off
	v_add_co_u32_e64 v2, s[0:1], s4, v2
	v_addc_co_u32_e64 v3, s[0:1], v3, v7, s[0:1]
	s_add_i32 s11, s5, 1
	v_add_co_u32_e64 v4, s[0:1], s10, v4
	v_addc_co_u32_e64 v5, s[0:1], v5, v8, s[0:1]
	s_cmp_gt_u32 s5, 30
	v_cmp_le_i32_e32 vcc, s18, v1
	s_cselect_b64 s[0:1], -1, 0
	s_or_b64 s[0:1], s[0:1], vcc
	s_and_b64 s[0:1], exec, s[0:1]
	v_add_u32_e32 v1, s19, v1
	s_mov_b32 s5, s11
	s_or_b64 s[8:9], s[0:1], s[8:9]
	s_waitcnt vmcnt(1)
	v_lshlrev_b32_e32 v9, 16, v9
	s_waitcnt vmcnt(0)
	v_lshlrev_b32_e32 v10, 16, v10
	v_fmac_f32_e32 v6, v10, v9
	s_andn2_b64 exec, exec, s[8:9]
	s_cbranch_execnz .LBB362_2
; %bb.3:
	s_or_b64 exec, exec, s[8:9]
.LBB362_4:
	s_or_b64 exec, exec, s[16:17]
	v_and_b32_e32 v2, 63, v0
	v_cmp_gt_u32_e32 vcc, 64, v0
	v_lshlrev_b32_e32 v1, 2, v2
	s_and_saveexec_b64 s[0:1], vcc
	s_cbranch_execz .LBB362_6
; %bb.5:
	v_mov_b32_e32 v3, 0
	ds_write_b32 v1, v3
.LBB362_6:
	s_or_b64 exec, exec, s[0:1]
	v_mbcnt_lo_u32_b32 v3, -1, 0
	v_mbcnt_hi_u32_b32 v7, -1, v3
	v_and_b32_e32 v8, 63, v7
	v_cmp_gt_u32_e64 s[0:1], 32, v8
	v_cndmask_b32_e64 v3, 0, 1, s[0:1]
	v_lshlrev_b32_e32 v3, 5, v3
	v_add_lshl_u32 v3, v3, v7, 2
	ds_bpermute_b32 v3, v3, v6
	v_cmp_gt_u32_e64 s[0:1], 48, v8
	v_cndmask_b32_e64 v4, 0, 1, s[0:1]
	v_lshlrev_b32_e32 v4, 4, v4
	v_add_lshl_u32 v4, v4, v7, 2
	s_waitcnt lgkmcnt(0)
	v_add_f32_e32 v3, v6, v3
	ds_bpermute_b32 v4, v4, v3
	v_cmp_gt_u32_e64 s[0:1], 56, v8
	v_cndmask_b32_e64 v5, 0, 1, s[0:1]
	v_lshlrev_b32_e32 v5, 3, v5
	v_cmp_gt_u32_e64 s[0:1], 60, v8
	s_waitcnt lgkmcnt(0)
	v_add_f32_e32 v4, v3, v4
	v_add_lshl_u32 v3, v5, v7, 2
	ds_bpermute_b32 v5, v3, v4
	v_cndmask_b32_e64 v6, 0, 1, s[0:1]
	v_lshlrev_b32_e32 v6, 2, v6
	v_cmp_gt_u32_e64 s[0:1], 62, v8
	v_cndmask_b32_e64 v9, 0, 1, s[0:1]
	s_waitcnt lgkmcnt(0)
	v_add_f32_e32 v5, v4, v5
	v_add_lshl_u32 v4, v6, v7, 2
	ds_bpermute_b32 v6, v4, v5
	v_lshlrev_b32_e32 v9, 1, v9
	v_cmp_ne_u32_e64 s[0:1], 63, v8
	v_addc_co_u32_e64 v8, s[0:1], 0, v7, s[0:1]
	s_waitcnt lgkmcnt(0)
	v_add_f32_e32 v6, v5, v6
	v_add_lshl_u32 v5, v9, v7, 2
	ds_bpermute_b32 v9, v5, v6
	v_cmp_eq_u32_e64 s[0:1], 0, v2
	s_waitcnt lgkmcnt(0)
	s_barrier
	v_add_f32_e32 v7, v6, v9
	v_lshlrev_b32_e32 v6, 2, v8
	ds_bpermute_b32 v8, v6, v7
	s_and_saveexec_b64 s[4:5], s[0:1]
	s_cbranch_execz .LBB362_8
; %bb.7:
	s_waitcnt lgkmcnt(0)
	v_add_f32_e32 v2, v7, v8
	v_lshrrev_b32_e32 v7, 4, v0
	v_and_b32_e32 v7, 60, v7
	ds_write_b32 v7, v2
.LBB362_8:
	s_or_b64 exec, exec, s[4:5]
	v_cmp_gt_u32_e64 s[0:1], 16, v0
	v_mov_b32_e32 v2, 0
	s_waitcnt lgkmcnt(0)
	s_barrier
	s_and_saveexec_b64 s[4:5], s[0:1]
	s_cbranch_execnz .LBB362_12
; %bb.9:
	s_or_b64 exec, exec, s[4:5]
	s_and_saveexec_b64 s[0:1], vcc
	s_cbranch_execnz .LBB362_13
.LBB362_10:
	s_or_b64 exec, exec, s[0:1]
	v_cmp_eq_u32_e32 vcc, 0, v0
	s_and_saveexec_b64 s[0:1], vcc
	s_cbranch_execnz .LBB362_14
.LBB362_11:
	s_endpgm
.LBB362_12:
	ds_read_b32 v2, v1
	s_or_b64 exec, exec, s[4:5]
	s_and_saveexec_b64 s[0:1], vcc
	s_cbranch_execz .LBB362_10
.LBB362_13:
	s_waitcnt lgkmcnt(0)
	ds_bpermute_b32 v1, v3, v2
	s_waitcnt lgkmcnt(0)
	v_add_f32_e32 v1, v2, v1
	ds_bpermute_b32 v2, v4, v1
	s_waitcnt lgkmcnt(0)
	v_add_f32_e32 v1, v1, v2
	;; [unrolled: 3-line block ×4, first 2 shown]
	s_or_b64 exec, exec, s[0:1]
	v_cmp_eq_u32_e32 vcc, 0, v0
	s_and_saveexec_b64 s[0:1], vcc
	s_cbranch_execz .LBB362_11
.LBB362_14:
	s_lshl_b64 s[0:1], s[2:3], 2
	s_add_u32 s0, s6, s0
	s_addc_u32 s1, s7, s1
	v_mov_b32_e32 v0, 0
	s_waitcnt lgkmcnt(0)
	global_store_dword v0, v2, s[0:1]
	s_endpgm
	.section	.rodata,"a",@progbits
	.p2align	6, 0x0
	.amdhsa_kernel _ZL18rocblas_dot_kernelIlLb1ELi1024ELi32ELb0EfPK16rocblas_bfloat16fEviT5_lT_lS3_lS4_liPT6_PT4_
		.amdhsa_group_segment_fixed_size 256
		.amdhsa_private_segment_fixed_size 0
		.amdhsa_kernarg_size 352
		.amdhsa_user_sgpr_count 6
		.amdhsa_user_sgpr_private_segment_buffer 1
		.amdhsa_user_sgpr_dispatch_ptr 0
		.amdhsa_user_sgpr_queue_ptr 0
		.amdhsa_user_sgpr_kernarg_segment_ptr 1
		.amdhsa_user_sgpr_dispatch_id 0
		.amdhsa_user_sgpr_flat_scratch_init 0
		.amdhsa_user_sgpr_kernarg_preload_length 0
		.amdhsa_user_sgpr_kernarg_preload_offset 0
		.amdhsa_user_sgpr_private_segment_size 0
		.amdhsa_uses_dynamic_stack 0
		.amdhsa_system_sgpr_private_segment_wavefront_offset 0
		.amdhsa_system_sgpr_workgroup_id_x 1
		.amdhsa_system_sgpr_workgroup_id_y 0
		.amdhsa_system_sgpr_workgroup_id_z 1
		.amdhsa_system_sgpr_workgroup_info 0
		.amdhsa_system_vgpr_workitem_id 0
		.amdhsa_next_free_vgpr 11
		.amdhsa_next_free_sgpr 26
		.amdhsa_accum_offset 12
		.amdhsa_reserve_vcc 1
		.amdhsa_reserve_flat_scratch 0
		.amdhsa_float_round_mode_32 0
		.amdhsa_float_round_mode_16_64 0
		.amdhsa_float_denorm_mode_32 3
		.amdhsa_float_denorm_mode_16_64 3
		.amdhsa_dx10_clamp 1
		.amdhsa_ieee_mode 1
		.amdhsa_fp16_overflow 0
		.amdhsa_tg_split 0
		.amdhsa_exception_fp_ieee_invalid_op 0
		.amdhsa_exception_fp_denorm_src 0
		.amdhsa_exception_fp_ieee_div_zero 0
		.amdhsa_exception_fp_ieee_overflow 0
		.amdhsa_exception_fp_ieee_underflow 0
		.amdhsa_exception_fp_ieee_inexact 0
		.amdhsa_exception_int_div_zero 0
	.end_amdhsa_kernel
	.section	.text._ZL18rocblas_dot_kernelIlLb1ELi1024ELi32ELb0EfPK16rocblas_bfloat16fEviT5_lT_lS3_lS4_liPT6_PT4_,"axG",@progbits,_ZL18rocblas_dot_kernelIlLb1ELi1024ELi32ELb0EfPK16rocblas_bfloat16fEviT5_lT_lS3_lS4_liPT6_PT4_,comdat
.Lfunc_end362:
	.size	_ZL18rocblas_dot_kernelIlLb1ELi1024ELi32ELb0EfPK16rocblas_bfloat16fEviT5_lT_lS3_lS4_liPT6_PT4_, .Lfunc_end362-_ZL18rocblas_dot_kernelIlLb1ELi1024ELi32ELb0EfPK16rocblas_bfloat16fEviT5_lT_lS3_lS4_liPT6_PT4_
                                        ; -- End function
	.section	.AMDGPU.csdata,"",@progbits
; Kernel info:
; codeLenInByte = 1012
; NumSgprs: 30
; NumVgprs: 11
; NumAgprs: 0
; TotalNumVgprs: 11
; ScratchSize: 0
; MemoryBound: 0
; FloatMode: 240
; IeeeMode: 1
; LDSByteSize: 256 bytes/workgroup (compile time only)
; SGPRBlocks: 3
; VGPRBlocks: 1
; NumSGPRsForWavesPerEU: 30
; NumVGPRsForWavesPerEU: 11
; AccumOffset: 12
; Occupancy: 8
; WaveLimiterHint : 0
; COMPUTE_PGM_RSRC2:SCRATCH_EN: 0
; COMPUTE_PGM_RSRC2:USER_SGPR: 6
; COMPUTE_PGM_RSRC2:TRAP_HANDLER: 0
; COMPUTE_PGM_RSRC2:TGID_X_EN: 1
; COMPUTE_PGM_RSRC2:TGID_Y_EN: 0
; COMPUTE_PGM_RSRC2:TGID_Z_EN: 1
; COMPUTE_PGM_RSRC2:TIDIG_COMP_CNT: 0
; COMPUTE_PGM_RSRC3_GFX90A:ACCUM_OFFSET: 2
; COMPUTE_PGM_RSRC3_GFX90A:TG_SPLIT: 0
	.section	.text._ZL24rocblas_dot_kernel_magsqIlLb1ELi1024ELi32ELb0EfPK16rocblas_bfloat16fEviT5_lT_liPT6_PT4_,"axG",@progbits,_ZL24rocblas_dot_kernel_magsqIlLb1ELi1024ELi32ELb0EfPK16rocblas_bfloat16fEviT5_lT_liPT6_PT4_,comdat
	.globl	_ZL24rocblas_dot_kernel_magsqIlLb1ELi1024ELi32ELb0EfPK16rocblas_bfloat16fEviT5_lT_liPT6_PT4_ ; -- Begin function _ZL24rocblas_dot_kernel_magsqIlLb1ELi1024ELi32ELb0EfPK16rocblas_bfloat16fEviT5_lT_liPT6_PT4_
	.p2align	8
	.type	_ZL24rocblas_dot_kernel_magsqIlLb1ELi1024ELi32ELb0EfPK16rocblas_bfloat16fEviT5_lT_liPT6_PT4_,@function
_ZL24rocblas_dot_kernel_magsqIlLb1ELi1024ELi32ELb0EfPK16rocblas_bfloat16fEviT5_lT_liPT6_PT4_: ; @_ZL24rocblas_dot_kernel_magsqIlLb1ELi1024ELi32ELb0EfPK16rocblas_bfloat16fEviT5_lT_liPT6_PT4_
; %bb.0:
	s_mov_b32 s2, s7
	s_load_dword s12, s[4:5], 0x0
	s_load_dwordx2 s[6:7], s[4:5], 0x38
	s_mov_b32 s3, 0
	v_mov_b32_e32 v1, 0
	s_waitcnt lgkmcnt(0)
	v_cmp_gt_i32_e32 vcc, s12, v0
	s_and_saveexec_b64 s[8:9], vcc
	s_cbranch_execz .LBB363_4
; %bb.1:
	s_load_dword s13, s[4:5], 0x40
	s_load_dwordx2 s[0:1], s[4:5], 0x20
	s_load_dwordx2 s[10:11], s[4:5], 0x8
	s_load_dwordx4 s[16:19], s[4:5], 0x10
	s_waitcnt lgkmcnt(0)
	s_lshl_b32 s13, s13, 10
	s_mul_i32 s1, s1, s2
	s_mul_hi_u32 s4, s0, s2
	s_add_i32 s1, s4, s1
	v_mad_u64_u32 v[2:3], s[4:5], s18, v0, 0
	v_mov_b32_e32 v6, v3
	s_mul_i32 s0, s0, s2
	v_mad_u64_u32 v[6:7], s[4:5], s19, v0, v[6:7]
	s_lshl_b64 s[0:1], s[0:1], 1
	s_lshl_b64 s[4:5], s[16:17], 1
	s_add_u32 s4, s10, s4
	v_mov_b32_e32 v3, v6
	s_addc_u32 s5, s11, s5
	v_lshlrev_b64 v[2:3], 1, v[2:3]
	s_add_u32 s0, s4, s0
	s_addc_u32 s1, s5, s1
	v_add_co_u32_e32 v2, vcc, s0, v2
	s_ashr_i32 s0, s13, 31
	v_mov_b32_e32 v1, s1
	s_mul_i32 s0, s18, s0
	s_mul_hi_u32 s1, s18, s13
	s_add_i32 s0, s1, s0
	s_mul_i32 s1, s19, s13
	s_add_i32 s1, s0, s1
	s_mul_i32 s0, s18, s13
	s_lshl_b64 s[10:11], s[0:1], 1
	v_or_b32_e32 v4, s13, v0
	v_addc_co_u32_e32 v3, vcc, v1, v3, vcc
	s_mov_b64 s[4:5], 0
	v_mov_b32_e32 v1, 0
	v_mov_b32_e32 v5, s11
	s_mov_b32 s11, s3
.LBB363_2:                              ; =>This Inner Loop Header: Depth=1
	global_load_ushort v6, v[2:3], off
	s_add_i32 s14, s11, 1
	v_add_co_u32_e64 v2, s[0:1], s10, v2
	v_addc_co_u32_e64 v3, s[0:1], v3, v5, s[0:1]
	s_cmp_gt_u32 s11, 30
	v_cmp_le_i32_e32 vcc, s12, v4
	s_cselect_b64 s[0:1], -1, 0
	s_or_b64 s[0:1], s[0:1], vcc
	s_and_b64 s[0:1], exec, s[0:1]
	v_add_u32_e32 v4, s13, v4
	s_mov_b32 s11, s14
	s_or_b64 s[4:5], s[0:1], s[4:5]
	s_waitcnt vmcnt(0)
	v_lshlrev_b32_e32 v6, 16, v6
	v_fmac_f32_e32 v1, v6, v6
	s_andn2_b64 exec, exec, s[4:5]
	s_cbranch_execnz .LBB363_2
; %bb.3:
	s_or_b64 exec, exec, s[4:5]
.LBB363_4:
	s_or_b64 exec, exec, s[8:9]
	v_and_b32_e32 v3, 63, v0
	v_cmp_gt_u32_e32 vcc, 64, v0
	v_lshlrev_b32_e32 v2, 2, v3
	s_and_saveexec_b64 s[0:1], vcc
	s_cbranch_execz .LBB363_6
; %bb.5:
	v_mov_b32_e32 v4, 0
	ds_write_b32 v2, v4
.LBB363_6:
	s_or_b64 exec, exec, s[0:1]
	v_mbcnt_lo_u32_b32 v4, -1, 0
	v_mbcnt_hi_u32_b32 v6, -1, v4
	v_and_b32_e32 v7, 63, v6
	v_cmp_gt_u32_e64 s[0:1], 32, v7
	v_cndmask_b32_e64 v4, 0, 1, s[0:1]
	v_lshlrev_b32_e32 v4, 5, v4
	v_add_lshl_u32 v4, v4, v6, 2
	ds_bpermute_b32 v4, v4, v1
	v_cmp_gt_u32_e64 s[0:1], 48, v7
	v_cndmask_b32_e64 v5, 0, 1, s[0:1]
	v_lshlrev_b32_e32 v5, 4, v5
	v_cmp_gt_u32_e64 s[0:1], 56, v7
	s_waitcnt lgkmcnt(0)
	v_add_f32_e32 v1, v1, v4
	v_add_lshl_u32 v4, v5, v6, 2
	ds_bpermute_b32 v4, v4, v1
	v_cndmask_b32_e64 v5, 0, 1, s[0:1]
	v_lshlrev_b32_e32 v5, 3, v5
	v_cmp_gt_u32_e64 s[0:1], 60, v7
	v_cndmask_b32_e64 v8, 0, 1, s[0:1]
	s_waitcnt lgkmcnt(0)
	v_add_f32_e32 v4, v1, v4
	v_add_lshl_u32 v1, v5, v6, 2
	ds_bpermute_b32 v5, v1, v4
	v_lshlrev_b32_e32 v8, 2, v8
	v_cmp_gt_u32_e64 s[0:1], 62, v7
	v_cndmask_b32_e64 v9, 0, 1, s[0:1]
	v_lshlrev_b32_e32 v9, 1, v9
	s_waitcnt lgkmcnt(0)
	v_add_f32_e32 v5, v4, v5
	v_add_lshl_u32 v4, v8, v6, 2
	ds_bpermute_b32 v8, v4, v5
	v_cmp_ne_u32_e64 s[0:1], 63, v7
	s_waitcnt lgkmcnt(0)
	s_barrier
	v_add_f32_e32 v8, v5, v8
	v_add_lshl_u32 v5, v9, v6, 2
	ds_bpermute_b32 v9, v5, v8
	v_addc_co_u32_e64 v6, s[0:1], 0, v6, s[0:1]
	v_lshlrev_b32_e32 v6, 2, v6
	v_cmp_eq_u32_e64 s[0:1], 0, v3
	s_waitcnt lgkmcnt(0)
	v_add_f32_e32 v7, v8, v9
	ds_bpermute_b32 v8, v6, v7
	s_and_saveexec_b64 s[4:5], s[0:1]
	s_cbranch_execz .LBB363_8
; %bb.7:
	s_waitcnt lgkmcnt(0)
	v_add_f32_e32 v3, v7, v8
	v_lshrrev_b32_e32 v7, 4, v0
	v_and_b32_e32 v7, 60, v7
	ds_write_b32 v7, v3
.LBB363_8:
	s_or_b64 exec, exec, s[4:5]
	v_cmp_gt_u32_e64 s[0:1], 16, v0
	v_mov_b32_e32 v3, 0
	s_waitcnt lgkmcnt(0)
	s_barrier
	s_and_saveexec_b64 s[4:5], s[0:1]
	s_cbranch_execnz .LBB363_12
; %bb.9:
	s_or_b64 exec, exec, s[4:5]
	s_and_saveexec_b64 s[0:1], vcc
	s_cbranch_execnz .LBB363_13
.LBB363_10:
	s_or_b64 exec, exec, s[0:1]
	v_cmp_eq_u32_e32 vcc, 0, v0
	s_and_saveexec_b64 s[0:1], vcc
	s_cbranch_execnz .LBB363_14
.LBB363_11:
	s_endpgm
.LBB363_12:
	ds_read_b32 v3, v2
	s_or_b64 exec, exec, s[4:5]
	s_and_saveexec_b64 s[0:1], vcc
	s_cbranch_execz .LBB363_10
.LBB363_13:
	s_waitcnt lgkmcnt(0)
	ds_bpermute_b32 v1, v1, v3
	s_waitcnt lgkmcnt(0)
	v_add_f32_e32 v1, v3, v1
	ds_bpermute_b32 v2, v4, v1
	s_waitcnt lgkmcnt(0)
	v_add_f32_e32 v1, v1, v2
	;; [unrolled: 3-line block ×4, first 2 shown]
	s_or_b64 exec, exec, s[0:1]
	v_cmp_eq_u32_e32 vcc, 0, v0
	s_and_saveexec_b64 s[0:1], vcc
	s_cbranch_execz .LBB363_11
.LBB363_14:
	s_lshl_b64 s[0:1], s[2:3], 2
	s_add_u32 s0, s6, s0
	s_addc_u32 s1, s7, s1
	v_mov_b32_e32 v0, 0
	s_waitcnt lgkmcnt(0)
	global_store_dword v0, v3, s[0:1]
	s_endpgm
	.section	.rodata,"a",@progbits
	.p2align	6, 0x0
	.amdhsa_kernel _ZL24rocblas_dot_kernel_magsqIlLb1ELi1024ELi32ELb0EfPK16rocblas_bfloat16fEviT5_lT_liPT6_PT4_
		.amdhsa_group_segment_fixed_size 256
		.amdhsa_private_segment_fixed_size 0
		.amdhsa_kernarg_size 320
		.amdhsa_user_sgpr_count 6
		.amdhsa_user_sgpr_private_segment_buffer 1
		.amdhsa_user_sgpr_dispatch_ptr 0
		.amdhsa_user_sgpr_queue_ptr 0
		.amdhsa_user_sgpr_kernarg_segment_ptr 1
		.amdhsa_user_sgpr_dispatch_id 0
		.amdhsa_user_sgpr_flat_scratch_init 0
		.amdhsa_user_sgpr_kernarg_preload_length 0
		.amdhsa_user_sgpr_kernarg_preload_offset 0
		.amdhsa_user_sgpr_private_segment_size 0
		.amdhsa_uses_dynamic_stack 0
		.amdhsa_system_sgpr_private_segment_wavefront_offset 0
		.amdhsa_system_sgpr_workgroup_id_x 1
		.amdhsa_system_sgpr_workgroup_id_y 0
		.amdhsa_system_sgpr_workgroup_id_z 1
		.amdhsa_system_sgpr_workgroup_info 0
		.amdhsa_system_vgpr_workitem_id 0
		.amdhsa_next_free_vgpr 10
		.amdhsa_next_free_sgpr 20
		.amdhsa_accum_offset 12
		.amdhsa_reserve_vcc 1
		.amdhsa_reserve_flat_scratch 0
		.amdhsa_float_round_mode_32 0
		.amdhsa_float_round_mode_16_64 0
		.amdhsa_float_denorm_mode_32 3
		.amdhsa_float_denorm_mode_16_64 3
		.amdhsa_dx10_clamp 1
		.amdhsa_ieee_mode 1
		.amdhsa_fp16_overflow 0
		.amdhsa_tg_split 0
		.amdhsa_exception_fp_ieee_invalid_op 0
		.amdhsa_exception_fp_denorm_src 0
		.amdhsa_exception_fp_ieee_div_zero 0
		.amdhsa_exception_fp_ieee_overflow 0
		.amdhsa_exception_fp_ieee_underflow 0
		.amdhsa_exception_fp_ieee_inexact 0
		.amdhsa_exception_int_div_zero 0
	.end_amdhsa_kernel
	.section	.text._ZL24rocblas_dot_kernel_magsqIlLb1ELi1024ELi32ELb0EfPK16rocblas_bfloat16fEviT5_lT_liPT6_PT4_,"axG",@progbits,_ZL24rocblas_dot_kernel_magsqIlLb1ELi1024ELi32ELb0EfPK16rocblas_bfloat16fEviT5_lT_liPT6_PT4_,comdat
.Lfunc_end363:
	.size	_ZL24rocblas_dot_kernel_magsqIlLb1ELi1024ELi32ELb0EfPK16rocblas_bfloat16fEviT5_lT_liPT6_PT4_, .Lfunc_end363-_ZL24rocblas_dot_kernel_magsqIlLb1ELi1024ELi32ELb0EfPK16rocblas_bfloat16fEviT5_lT_liPT6_PT4_
                                        ; -- End function
	.section	.AMDGPU.csdata,"",@progbits
; Kernel info:
; codeLenInByte = 856
; NumSgprs: 24
; NumVgprs: 10
; NumAgprs: 0
; TotalNumVgprs: 10
; ScratchSize: 0
; MemoryBound: 0
; FloatMode: 240
; IeeeMode: 1
; LDSByteSize: 256 bytes/workgroup (compile time only)
; SGPRBlocks: 2
; VGPRBlocks: 1
; NumSGPRsForWavesPerEU: 24
; NumVGPRsForWavesPerEU: 10
; AccumOffset: 12
; Occupancy: 8
; WaveLimiterHint : 0
; COMPUTE_PGM_RSRC2:SCRATCH_EN: 0
; COMPUTE_PGM_RSRC2:USER_SGPR: 6
; COMPUTE_PGM_RSRC2:TRAP_HANDLER: 0
; COMPUTE_PGM_RSRC2:TGID_X_EN: 1
; COMPUTE_PGM_RSRC2:TGID_Y_EN: 0
; COMPUTE_PGM_RSRC2:TGID_Z_EN: 1
; COMPUTE_PGM_RSRC2:TIDIG_COMP_CNT: 0
; COMPUTE_PGM_RSRC3_GFX90A:ACCUM_OFFSET: 2
; COMPUTE_PGM_RSRC3_GFX90A:TG_SPLIT: 0
	.section	.text._ZL23rocblas_dot_kernel_inc1ILb0ELi512ELi4ELb0EfPK16rocblas_bfloat16fEviT4_llS3_lliPT5_PT3_,"axG",@progbits,_ZL23rocblas_dot_kernel_inc1ILb0ELi512ELi4ELb0EfPK16rocblas_bfloat16fEviT4_llS3_lliPT5_PT3_,comdat
	.globl	_ZL23rocblas_dot_kernel_inc1ILb0ELi512ELi4ELb0EfPK16rocblas_bfloat16fEviT4_llS3_lliPT5_PT3_ ; -- Begin function _ZL23rocblas_dot_kernel_inc1ILb0ELi512ELi4ELb0EfPK16rocblas_bfloat16fEviT4_llS3_lliPT5_PT3_
	.p2align	8
	.type	_ZL23rocblas_dot_kernel_inc1ILb0ELi512ELi4ELb0EfPK16rocblas_bfloat16fEviT4_llS3_lliPT5_PT3_,@function
_ZL23rocblas_dot_kernel_inc1ILb0ELi512ELi4ELb0EfPK16rocblas_bfloat16fEviT4_llS3_lliPT5_PT3_: ; @_ZL23rocblas_dot_kernel_inc1ILb0ELi512ELi4ELb0EfPK16rocblas_bfloat16fEviT4_llS3_lliPT5_PT3_
; %bb.0:
	s_mov_b32 s2, s7
	s_load_dword s18, s[4:5], 0x50
	s_load_dword s7, s[4:5], 0x0
	s_load_dwordx4 s[8:11], s[4:5], 0x40
	v_lshl_or_b32 v2, s6, 9, v0
	s_mov_b32 s3, 0
	v_mov_b32_e32 v1, 0
	s_waitcnt lgkmcnt(0)
	v_cmp_gt_i32_e32 vcc, s7, v2
	s_and_saveexec_b64 s[12:13], vcc
	s_cbranch_execz .LBB364_4
; %bb.1:
	s_load_dwordx4 s[20:23], s[4:5], 0x10
	s_load_dwordx2 s[0:1], s[4:5], 0x8
	s_load_dwordx2 s[14:15], s[4:5], 0x20
	s_load_dwordx4 s[24:27], s[4:5], 0x28
	v_ashrrev_i32_e32 v3, 31, v2
	s_waitcnt lgkmcnt(0)
	s_mul_i32 s4, s2, s23
	s_mul_hi_u32 s5, s2, s22
	s_add_i32 s5, s5, s4
	s_mul_i32 s4, s2, s22
	s_lshl_b64 s[4:5], s[4:5], 1
	s_add_u32 s4, s0, s4
	s_addc_u32 s5, s1, s5
	s_lshl_b64 s[0:1], s[20:21], 1
	s_add_u32 s19, s4, s0
	s_addc_u32 s21, s5, s1
	s_mul_i32 s0, s2, s27
	s_mul_hi_u32 s1, s2, s26
	s_add_i32 s1, s1, s0
	s_mul_i32 s0, s2, s26
	s_lshl_b64 s[0:1], s[0:1], 1
	s_add_u32 s4, s14, s0
	s_addc_u32 s5, s15, s1
	s_lshl_b64 s[0:1], s[24:25], 1
	s_add_u32 s20, s4, s0
	s_addc_u32 s0, s5, s1
	s_lshl_b32 s4, s18, 9
	s_ashr_i32 s5, s4, 31
	s_lshl_b64 s[16:17], s[4:5], 1
	v_add_u32_e32 v4, s4, v2
	v_lshlrev_b64 v[2:3], 1, v[2:3]
	s_mov_b64 s[14:15], 0
	v_mov_b32_e32 v1, 0
	v_mov_b32_e32 v5, s0
	;; [unrolled: 1-line block ×4, first 2 shown]
	s_mov_b32 s5, s3
.LBB364_2:                              ; =>This Inner Loop Header: Depth=1
	v_add_co_u32_e32 v8, vcc, s20, v2
	v_addc_co_u32_e32 v9, vcc, v5, v3, vcc
	v_add_co_u32_e32 v10, vcc, s19, v2
	v_addc_co_u32_e32 v11, vcc, v6, v3, vcc
	global_load_ushort v12, v[8:9], off
	global_load_ushort v13, v[10:11], off
	s_add_i32 s17, s5, 1
	v_add_co_u32_e64 v2, s[0:1], s16, v2
	v_addc_co_u32_e64 v3, s[0:1], v3, v7, s[0:1]
	s_cmp_gt_u32 s5, 2
	v_cmp_le_i32_e32 vcc, s7, v4
	s_cselect_b64 s[0:1], -1, 0
	s_or_b64 s[0:1], s[0:1], vcc
	s_and_b64 s[0:1], exec, s[0:1]
	v_add_u32_e32 v4, s4, v4
	s_mov_b32 s5, s17
	s_or_b64 s[14:15], s[0:1], s[14:15]
	s_waitcnt vmcnt(1)
	v_lshlrev_b32_e32 v8, 16, v12
	s_waitcnt vmcnt(0)
	v_lshlrev_b32_e32 v9, 16, v13
	v_fmac_f32_e32 v1, v9, v8
	s_andn2_b64 exec, exec, s[14:15]
	s_cbranch_execnz .LBB364_2
; %bb.3:
	s_or_b64 exec, exec, s[14:15]
.LBB364_4:
	s_or_b64 exec, exec, s[12:13]
	v_and_b32_e32 v3, 63, v0
	v_cmp_gt_u32_e32 vcc, 64, v0
	v_lshlrev_b32_e32 v2, 2, v3
	s_and_saveexec_b64 s[0:1], vcc
	s_cbranch_execz .LBB364_6
; %bb.5:
	v_mov_b32_e32 v4, 0
	ds_write_b32 v2, v4
.LBB364_6:
	s_or_b64 exec, exec, s[0:1]
	v_mbcnt_lo_u32_b32 v4, -1, 0
	v_mbcnt_hi_u32_b32 v6, -1, v4
	v_and_b32_e32 v7, 63, v6
	v_cmp_gt_u32_e64 s[0:1], 32, v7
	v_cndmask_b32_e64 v4, 0, 1, s[0:1]
	v_lshlrev_b32_e32 v4, 5, v4
	v_add_lshl_u32 v4, v4, v6, 2
	ds_bpermute_b32 v4, v4, v1
	v_cmp_gt_u32_e64 s[0:1], 48, v7
	v_cndmask_b32_e64 v5, 0, 1, s[0:1]
	v_lshlrev_b32_e32 v5, 4, v5
	v_cmp_gt_u32_e64 s[0:1], 56, v7
	s_waitcnt lgkmcnt(0)
	v_add_f32_e32 v1, v1, v4
	v_add_lshl_u32 v4, v5, v6, 2
	ds_bpermute_b32 v4, v4, v1
	v_cndmask_b32_e64 v5, 0, 1, s[0:1]
	v_lshlrev_b32_e32 v5, 3, v5
	v_cmp_gt_u32_e64 s[0:1], 60, v7
	s_waitcnt lgkmcnt(0)
	v_add_f32_e32 v1, v1, v4
	v_add_lshl_u32 v4, v5, v6, 2
	ds_bpermute_b32 v4, v4, v1
	v_cndmask_b32_e64 v5, 0, 1, s[0:1]
	v_lshlrev_b32_e32 v5, 2, v5
	v_cmp_gt_u32_e64 s[0:1], 62, v7
	v_cndmask_b32_e64 v8, 0, 1, s[0:1]
	s_waitcnt lgkmcnt(0)
	v_add_f32_e32 v1, v1, v4
	v_add_lshl_u32 v4, v5, v6, 2
	ds_bpermute_b32 v5, v4, v1
	v_lshlrev_b32_e32 v8, 1, v8
	v_cmp_ne_u32_e64 s[0:1], 63, v7
	s_barrier
	s_waitcnt lgkmcnt(0)
	v_add_f32_e32 v1, v1, v5
	v_add_lshl_u32 v5, v8, v6, 2
	ds_bpermute_b32 v8, v5, v1
	v_addc_co_u32_e64 v6, s[0:1], 0, v6, s[0:1]
	v_lshlrev_b32_e32 v6, 2, v6
	v_cmp_eq_u32_e64 s[0:1], 0, v3
	s_waitcnt lgkmcnt(0)
	v_add_f32_e32 v1, v1, v8
	ds_bpermute_b32 v7, v6, v1
	s_and_saveexec_b64 s[4:5], s[0:1]
	s_cbranch_execz .LBB364_8
; %bb.7:
	v_lshrrev_b32_e32 v3, 4, v0
	s_waitcnt lgkmcnt(0)
	v_add_f32_e32 v1, v1, v7
	v_and_b32_e32 v3, 28, v3
	ds_write_b32 v3, v1
.LBB364_8:
	s_or_b64 exec, exec, s[4:5]
	v_cmp_gt_u32_e64 s[0:1], 8, v0
	v_mov_b32_e32 v1, 0
	s_waitcnt lgkmcnt(0)
	s_barrier
	s_and_saveexec_b64 s[4:5], s[0:1]
	s_cbranch_execnz .LBB364_12
; %bb.9:
	s_or_b64 exec, exec, s[4:5]
	s_and_saveexec_b64 s[0:1], vcc
	s_cbranch_execnz .LBB364_13
.LBB364_10:
	s_or_b64 exec, exec, s[0:1]
	v_cmp_eq_u32_e32 vcc, 0, v0
	s_and_saveexec_b64 s[0:1], vcc
	s_cbranch_execnz .LBB364_14
.LBB364_11:
	s_endpgm
.LBB364_12:
	ds_read_b32 v1, v2
	s_or_b64 exec, exec, s[4:5]
	s_and_saveexec_b64 s[0:1], vcc
	s_cbranch_execz .LBB364_10
.LBB364_13:
	s_waitcnt lgkmcnt(0)
	ds_bpermute_b32 v2, v4, v1
	s_waitcnt lgkmcnt(0)
	v_add_f32_e32 v1, v1, v2
	ds_bpermute_b32 v2, v5, v1
	s_waitcnt lgkmcnt(0)
	v_add_f32_e32 v1, v1, v2
	;; [unrolled: 3-line block ×3, first 2 shown]
	s_or_b64 exec, exec, s[0:1]
	v_cmp_eq_u32_e32 vcc, 0, v0
	s_and_saveexec_b64 s[0:1], vcc
	s_cbranch_execz .LBB364_11
.LBB364_14:
	s_cmp_lg_u32 s18, 1
	s_cbranch_scc0 .LBB364_16
; %bb.15:
	s_mul_hi_u32 s1, s18, s2
	s_mul_i32 s0, s18, s2
	s_lshl_b64 s[0:1], s[0:1], 2
	s_mov_b32 s7, 0
	s_add_u32 s4, s8, s0
	s_addc_u32 s5, s9, s1
	s_lshl_b64 s[0:1], s[6:7], 2
	s_add_u32 s0, s4, s0
	s_addc_u32 s1, s5, s1
	s_cbranch_execz .LBB364_17
	s_branch .LBB364_18
.LBB364_16:
                                        ; implicit-def: $sgpr0_sgpr1
.LBB364_17:
	s_lshl_b64 s[0:1], s[2:3], 2
	s_add_u32 s0, s10, s0
	s_addc_u32 s1, s11, s1
.LBB364_18:
	v_mov_b32_e32 v0, 0
	s_waitcnt lgkmcnt(0)
	global_store_dword v0, v1, s[0:1]
	s_endpgm
	.section	.rodata,"a",@progbits
	.p2align	6, 0x0
	.amdhsa_kernel _ZL23rocblas_dot_kernel_inc1ILb0ELi512ELi4ELb0EfPK16rocblas_bfloat16fEviT4_llS3_lliPT5_PT3_
		.amdhsa_group_segment_fixed_size 256
		.amdhsa_private_segment_fixed_size 0
		.amdhsa_kernarg_size 336
		.amdhsa_user_sgpr_count 6
		.amdhsa_user_sgpr_private_segment_buffer 1
		.amdhsa_user_sgpr_dispatch_ptr 0
		.amdhsa_user_sgpr_queue_ptr 0
		.amdhsa_user_sgpr_kernarg_segment_ptr 1
		.amdhsa_user_sgpr_dispatch_id 0
		.amdhsa_user_sgpr_flat_scratch_init 0
		.amdhsa_user_sgpr_kernarg_preload_length 0
		.amdhsa_user_sgpr_kernarg_preload_offset 0
		.amdhsa_user_sgpr_private_segment_size 0
		.amdhsa_uses_dynamic_stack 0
		.amdhsa_system_sgpr_private_segment_wavefront_offset 0
		.amdhsa_system_sgpr_workgroup_id_x 1
		.amdhsa_system_sgpr_workgroup_id_y 0
		.amdhsa_system_sgpr_workgroup_id_z 1
		.amdhsa_system_sgpr_workgroup_info 0
		.amdhsa_system_vgpr_workitem_id 0
		.amdhsa_next_free_vgpr 14
		.amdhsa_next_free_sgpr 28
		.amdhsa_accum_offset 16
		.amdhsa_reserve_vcc 1
		.amdhsa_reserve_flat_scratch 0
		.amdhsa_float_round_mode_32 0
		.amdhsa_float_round_mode_16_64 0
		.amdhsa_float_denorm_mode_32 3
		.amdhsa_float_denorm_mode_16_64 3
		.amdhsa_dx10_clamp 1
		.amdhsa_ieee_mode 1
		.amdhsa_fp16_overflow 0
		.amdhsa_tg_split 0
		.amdhsa_exception_fp_ieee_invalid_op 0
		.amdhsa_exception_fp_denorm_src 0
		.amdhsa_exception_fp_ieee_div_zero 0
		.amdhsa_exception_fp_ieee_overflow 0
		.amdhsa_exception_fp_ieee_underflow 0
		.amdhsa_exception_fp_ieee_inexact 0
		.amdhsa_exception_int_div_zero 0
	.end_amdhsa_kernel
	.section	.text._ZL23rocblas_dot_kernel_inc1ILb0ELi512ELi4ELb0EfPK16rocblas_bfloat16fEviT4_llS3_lliPT5_PT3_,"axG",@progbits,_ZL23rocblas_dot_kernel_inc1ILb0ELi512ELi4ELb0EfPK16rocblas_bfloat16fEviT4_llS3_lliPT5_PT3_,comdat
.Lfunc_end364:
	.size	_ZL23rocblas_dot_kernel_inc1ILb0ELi512ELi4ELb0EfPK16rocblas_bfloat16fEviT4_llS3_lliPT5_PT3_, .Lfunc_end364-_ZL23rocblas_dot_kernel_inc1ILb0ELi512ELi4ELb0EfPK16rocblas_bfloat16fEviT4_llS3_lliPT5_PT3_
                                        ; -- End function
	.section	.AMDGPU.csdata,"",@progbits
; Kernel info:
; codeLenInByte = 932
; NumSgprs: 32
; NumVgprs: 14
; NumAgprs: 0
; TotalNumVgprs: 14
; ScratchSize: 0
; MemoryBound: 0
; FloatMode: 240
; IeeeMode: 1
; LDSByteSize: 256 bytes/workgroup (compile time only)
; SGPRBlocks: 3
; VGPRBlocks: 1
; NumSGPRsForWavesPerEU: 32
; NumVGPRsForWavesPerEU: 14
; AccumOffset: 16
; Occupancy: 8
; WaveLimiterHint : 0
; COMPUTE_PGM_RSRC2:SCRATCH_EN: 0
; COMPUTE_PGM_RSRC2:USER_SGPR: 6
; COMPUTE_PGM_RSRC2:TRAP_HANDLER: 0
; COMPUTE_PGM_RSRC2:TGID_X_EN: 1
; COMPUTE_PGM_RSRC2:TGID_Y_EN: 0
; COMPUTE_PGM_RSRC2:TGID_Z_EN: 1
; COMPUTE_PGM_RSRC2:TIDIG_COMP_CNT: 0
; COMPUTE_PGM_RSRC3_GFX90A:ACCUM_OFFSET: 3
; COMPUTE_PGM_RSRC3_GFX90A:TG_SPLIT: 0
	.section	.text._ZL18rocblas_dot_kernelIlLb0ELi512ELi4ELb0EfPK16rocblas_bfloat16fEviT5_lT_lS3_lS4_liPT6_PT4_,"axG",@progbits,_ZL18rocblas_dot_kernelIlLb0ELi512ELi4ELb0EfPK16rocblas_bfloat16fEviT5_lT_lS3_lS4_liPT6_PT4_,comdat
	.globl	_ZL18rocblas_dot_kernelIlLb0ELi512ELi4ELb0EfPK16rocblas_bfloat16fEviT5_lT_lS3_lS4_liPT6_PT4_ ; -- Begin function _ZL18rocblas_dot_kernelIlLb0ELi512ELi4ELb0EfPK16rocblas_bfloat16fEviT5_lT_lS3_lS4_liPT6_PT4_
	.p2align	8
	.type	_ZL18rocblas_dot_kernelIlLb0ELi512ELi4ELb0EfPK16rocblas_bfloat16fEviT5_lT_lS3_lS4_liPT6_PT4_,@function
_ZL18rocblas_dot_kernelIlLb0ELi512ELi4ELb0EfPK16rocblas_bfloat16fEviT5_lT_lS3_lS4_liPT6_PT4_: ; @_ZL18rocblas_dot_kernelIlLb0ELi512ELi4ELb0EfPK16rocblas_bfloat16fEviT5_lT_lS3_lS4_liPT6_PT4_
; %bb.0:
	s_mov_b32 s2, s7
	s_load_dword s22, s[4:5], 0x60
	s_load_dword s7, s[4:5], 0x0
	s_load_dwordx4 s[16:19], s[4:5], 0x50
	v_lshl_or_b32 v4, s6, 9, v0
	s_mov_b32 s3, 0
	v_mov_b32_e32 v6, 0
	s_waitcnt lgkmcnt(0)
	v_cmp_gt_i32_e32 vcc, s7, v4
	s_and_saveexec_b64 s[20:21], vcc
	s_cbranch_execz .LBB365_4
; %bb.1:
	s_load_dwordx8 s[8:15], s[4:5], 0x20
	s_load_dwordx2 s[0:1], s[4:5], 0x8
	s_load_dwordx4 s[24:27], s[4:5], 0x10
	s_load_dwordx2 s[28:29], s[4:5], 0x40
	s_lshl_b32 s23, s22, 9
	v_ashrrev_i32_e32 v5, 31, v4
	v_add_u32_e32 v1, s23, v4
	s_waitcnt lgkmcnt(0)
	v_mad_u64_u32 v[2:3], s[4:5], s26, v4, 0
	s_mul_i32 s4, s9, s2
	s_mul_hi_u32 s5, s8, s2
	s_add_i32 s5, s5, s4
	s_mul_i32 s4, s8, s2
	s_lshl_b64 s[4:5], s[4:5], 1
	s_lshl_b64 s[8:9], s[24:25], 1
	s_add_u32 s0, s0, s8
	v_mul_lo_u32 v6, s27, v4
	v_mul_lo_u32 v7, s26, v5
	s_addc_u32 s1, s1, s9
	v_add3_u32 v3, v3, v7, v6
	s_add_u32 s0, s0, s4
	v_lshlrev_b64 v[2:3], 1, v[2:3]
	s_addc_u32 s1, s1, s5
	s_ashr_i32 s24, s23, 31
	v_mov_b32_e32 v6, s1
	v_add_co_u32_e32 v2, vcc, s0, v2
	s_mul_i32 s0, s26, s24
	s_mul_hi_u32 s1, s26, s23
	s_add_i32 s0, s1, s0
	s_mul_i32 s1, s27, s23
	s_add_i32 s1, s0, s1
	s_mul_i32 s0, s26, s23
	v_addc_co_u32_e32 v3, vcc, v6, v3, vcc
	s_lshl_b64 s[4:5], s[0:1], 1
	v_mul_lo_u32 v6, s15, v4
	v_mul_lo_u32 v7, s14, v5
	v_mad_u64_u32 v[4:5], s[0:1], s14, v4, 0
	s_mul_i32 s0, s29, s2
	s_mul_hi_u32 s1, s28, s2
	s_add_i32 s1, s1, s0
	s_mul_i32 s0, s28, s2
	s_lshl_b64 s[0:1], s[0:1], 1
	s_lshl_b64 s[8:9], s[12:13], 1
	s_add_u32 s8, s10, s8
	s_addc_u32 s9, s11, s9
	v_add3_u32 v5, v5, v7, v6
	s_add_u32 s0, s8, s0
	v_lshlrev_b64 v[4:5], 1, v[4:5]
	s_addc_u32 s1, s9, s1
	v_mov_b32_e32 v6, s1
	v_add_co_u32_e32 v4, vcc, s0, v4
	s_mul_i32 s0, s14, s24
	s_mul_hi_u32 s1, s14, s23
	s_add_i32 s0, s1, s0
	s_mul_i32 s1, s15, s23
	s_add_i32 s1, s0, s1
	s_mul_i32 s0, s14, s23
	s_lshl_b64 s[10:11], s[0:1], 1
	v_addc_co_u32_e32 v5, vcc, v6, v5, vcc
	s_mov_b64 s[8:9], 0
	v_mov_b32_e32 v6, 0
	v_mov_b32_e32 v7, s5
	;; [unrolled: 1-line block ×3, first 2 shown]
	s_mov_b32 s5, s3
.LBB365_2:                              ; =>This Inner Loop Header: Depth=1
	global_load_ushort v9, v[4:5], off
	global_load_ushort v10, v[2:3], off
	v_add_co_u32_e64 v2, s[0:1], s4, v2
	v_addc_co_u32_e64 v3, s[0:1], v3, v7, s[0:1]
	s_add_i32 s11, s5, 1
	v_add_co_u32_e64 v4, s[0:1], s10, v4
	v_addc_co_u32_e64 v5, s[0:1], v5, v8, s[0:1]
	s_cmp_gt_u32 s5, 2
	v_cmp_le_i32_e32 vcc, s7, v1
	s_cselect_b64 s[0:1], -1, 0
	s_or_b64 s[0:1], s[0:1], vcc
	s_and_b64 s[0:1], exec, s[0:1]
	v_add_u32_e32 v1, s23, v1
	s_mov_b32 s5, s11
	s_or_b64 s[8:9], s[0:1], s[8:9]
	s_waitcnt vmcnt(1)
	v_lshlrev_b32_e32 v9, 16, v9
	s_waitcnt vmcnt(0)
	v_lshlrev_b32_e32 v10, 16, v10
	v_fmac_f32_e32 v6, v10, v9
	s_andn2_b64 exec, exec, s[8:9]
	s_cbranch_execnz .LBB365_2
; %bb.3:
	s_or_b64 exec, exec, s[8:9]
.LBB365_4:
	s_or_b64 exec, exec, s[20:21]
	v_and_b32_e32 v2, 63, v0
	v_cmp_gt_u32_e32 vcc, 64, v0
	v_lshlrev_b32_e32 v1, 2, v2
	s_and_saveexec_b64 s[0:1], vcc
	s_cbranch_execz .LBB365_6
; %bb.5:
	v_mov_b32_e32 v3, 0
	ds_write_b32 v1, v3
.LBB365_6:
	s_or_b64 exec, exec, s[0:1]
	v_mbcnt_lo_u32_b32 v3, -1, 0
	v_mbcnt_hi_u32_b32 v5, -1, v3
	v_and_b32_e32 v7, 63, v5
	v_cmp_gt_u32_e64 s[0:1], 32, v7
	v_cndmask_b32_e64 v3, 0, 1, s[0:1]
	v_lshlrev_b32_e32 v3, 5, v3
	v_add_lshl_u32 v3, v3, v5, 2
	ds_bpermute_b32 v3, v3, v6
	v_cmp_gt_u32_e64 s[0:1], 48, v7
	v_cndmask_b32_e64 v4, 0, 1, s[0:1]
	v_lshlrev_b32_e32 v4, 4, v4
	v_add_lshl_u32 v4, v4, v5, 2
	s_waitcnt lgkmcnt(0)
	v_add_f32_e32 v3, v6, v3
	ds_bpermute_b32 v4, v4, v3
	v_cmp_gt_u32_e64 s[0:1], 56, v7
	v_cndmask_b32_e64 v6, 0, 1, s[0:1]
	v_lshlrev_b32_e32 v6, 3, v6
	v_cmp_gt_u32_e64 s[0:1], 60, v7
	s_waitcnt lgkmcnt(0)
	v_add_f32_e32 v3, v3, v4
	v_add_lshl_u32 v4, v6, v5, 2
	ds_bpermute_b32 v4, v4, v3
	v_cndmask_b32_e64 v6, 0, 1, s[0:1]
	v_lshlrev_b32_e32 v6, 2, v6
	v_cmp_gt_u32_e64 s[0:1], 62, v7
	v_cndmask_b32_e64 v8, 0, 1, s[0:1]
	s_waitcnt lgkmcnt(0)
	v_add_f32_e32 v4, v3, v4
	v_add_lshl_u32 v3, v6, v5, 2
	ds_bpermute_b32 v6, v3, v4
	v_lshlrev_b32_e32 v8, 1, v8
	v_cmp_ne_u32_e64 s[0:1], 63, v7
	s_waitcnt lgkmcnt(0)
	s_barrier
	v_add_f32_e32 v6, v4, v6
	v_add_lshl_u32 v4, v8, v5, 2
	ds_bpermute_b32 v8, v4, v6
	v_addc_co_u32_e64 v5, s[0:1], 0, v5, s[0:1]
	v_lshlrev_b32_e32 v5, 2, v5
	v_cmp_eq_u32_e64 s[0:1], 0, v2
	s_waitcnt lgkmcnt(0)
	v_add_f32_e32 v6, v6, v8
	ds_bpermute_b32 v7, v5, v6
	s_waitcnt lgkmcnt(0)
	s_and_saveexec_b64 s[4:5], s[0:1]
	s_cbranch_execz .LBB365_8
; %bb.7:
	v_add_f32_e32 v2, v6, v7
	v_lshrrev_b32_e32 v6, 4, v0
	v_and_b32_e32 v6, 28, v6
	ds_write_b32 v6, v2
.LBB365_8:
	s_or_b64 exec, exec, s[4:5]
	v_cmp_gt_u32_e64 s[0:1], 8, v0
	v_mov_b32_e32 v2, 0
	s_waitcnt lgkmcnt(0)
	s_barrier
	s_and_saveexec_b64 s[4:5], s[0:1]
	s_cbranch_execnz .LBB365_12
; %bb.9:
	s_or_b64 exec, exec, s[4:5]
	s_and_saveexec_b64 s[0:1], vcc
	s_cbranch_execnz .LBB365_13
.LBB365_10:
	s_or_b64 exec, exec, s[0:1]
	v_cmp_eq_u32_e32 vcc, 0, v0
	s_and_saveexec_b64 s[0:1], vcc
	s_cbranch_execnz .LBB365_14
.LBB365_11:
	s_endpgm
.LBB365_12:
	ds_read_b32 v2, v1
	s_or_b64 exec, exec, s[4:5]
	s_and_saveexec_b64 s[0:1], vcc
	s_cbranch_execz .LBB365_10
.LBB365_13:
	s_waitcnt lgkmcnt(0)
	ds_bpermute_b32 v1, v3, v2
	s_waitcnt lgkmcnt(0)
	v_add_f32_e32 v1, v2, v1
	ds_bpermute_b32 v2, v4, v1
	s_waitcnt lgkmcnt(0)
	v_add_f32_e32 v1, v1, v2
	;; [unrolled: 3-line block ×3, first 2 shown]
	s_or_b64 exec, exec, s[0:1]
	v_cmp_eq_u32_e32 vcc, 0, v0
	s_and_saveexec_b64 s[0:1], vcc
	s_cbranch_execz .LBB365_11
.LBB365_14:
	s_cmp_lg_u32 s22, 1
	s_cbranch_scc0 .LBB365_16
; %bb.15:
	s_mul_hi_u32 s1, s22, s2
	s_mul_i32 s0, s22, s2
	s_lshl_b64 s[0:1], s[0:1], 2
	s_mov_b32 s7, 0
	s_add_u32 s4, s16, s0
	s_addc_u32 s5, s17, s1
	s_lshl_b64 s[0:1], s[6:7], 2
	s_add_u32 s0, s4, s0
	s_addc_u32 s1, s5, s1
	s_cbranch_execz .LBB365_17
	s_branch .LBB365_18
.LBB365_16:
                                        ; implicit-def: $sgpr0_sgpr1
.LBB365_17:
	s_lshl_b64 s[0:1], s[2:3], 2
	s_add_u32 s0, s18, s0
	s_addc_u32 s1, s19, s1
.LBB365_18:
	v_mov_b32_e32 v0, 0
	s_waitcnt lgkmcnt(0)
	global_store_dword v0, v2, s[0:1]
	s_endpgm
	.section	.rodata,"a",@progbits
	.p2align	6, 0x0
	.amdhsa_kernel _ZL18rocblas_dot_kernelIlLb0ELi512ELi4ELb0EfPK16rocblas_bfloat16fEviT5_lT_lS3_lS4_liPT6_PT4_
		.amdhsa_group_segment_fixed_size 256
		.amdhsa_private_segment_fixed_size 0
		.amdhsa_kernarg_size 352
		.amdhsa_user_sgpr_count 6
		.amdhsa_user_sgpr_private_segment_buffer 1
		.amdhsa_user_sgpr_dispatch_ptr 0
		.amdhsa_user_sgpr_queue_ptr 0
		.amdhsa_user_sgpr_kernarg_segment_ptr 1
		.amdhsa_user_sgpr_dispatch_id 0
		.amdhsa_user_sgpr_flat_scratch_init 0
		.amdhsa_user_sgpr_kernarg_preload_length 0
		.amdhsa_user_sgpr_kernarg_preload_offset 0
		.amdhsa_user_sgpr_private_segment_size 0
		.amdhsa_uses_dynamic_stack 0
		.amdhsa_system_sgpr_private_segment_wavefront_offset 0
		.amdhsa_system_sgpr_workgroup_id_x 1
		.amdhsa_system_sgpr_workgroup_id_y 0
		.amdhsa_system_sgpr_workgroup_id_z 1
		.amdhsa_system_sgpr_workgroup_info 0
		.amdhsa_system_vgpr_workitem_id 0
		.amdhsa_next_free_vgpr 11
		.amdhsa_next_free_sgpr 30
		.amdhsa_accum_offset 12
		.amdhsa_reserve_vcc 1
		.amdhsa_reserve_flat_scratch 0
		.amdhsa_float_round_mode_32 0
		.amdhsa_float_round_mode_16_64 0
		.amdhsa_float_denorm_mode_32 3
		.amdhsa_float_denorm_mode_16_64 3
		.amdhsa_dx10_clamp 1
		.amdhsa_ieee_mode 1
		.amdhsa_fp16_overflow 0
		.amdhsa_tg_split 0
		.amdhsa_exception_fp_ieee_invalid_op 0
		.amdhsa_exception_fp_denorm_src 0
		.amdhsa_exception_fp_ieee_div_zero 0
		.amdhsa_exception_fp_ieee_overflow 0
		.amdhsa_exception_fp_ieee_underflow 0
		.amdhsa_exception_fp_ieee_inexact 0
		.amdhsa_exception_int_div_zero 0
	.end_amdhsa_kernel
	.section	.text._ZL18rocblas_dot_kernelIlLb0ELi512ELi4ELb0EfPK16rocblas_bfloat16fEviT5_lT_lS3_lS4_liPT6_PT4_,"axG",@progbits,_ZL18rocblas_dot_kernelIlLb0ELi512ELi4ELb0EfPK16rocblas_bfloat16fEviT5_lT_lS3_lS4_liPT6_PT4_,comdat
.Lfunc_end365:
	.size	_ZL18rocblas_dot_kernelIlLb0ELi512ELi4ELb0EfPK16rocblas_bfloat16fEviT5_lT_lS3_lS4_liPT6_PT4_, .Lfunc_end365-_ZL18rocblas_dot_kernelIlLb0ELi512ELi4ELb0EfPK16rocblas_bfloat16fEviT5_lT_lS3_lS4_liPT6_PT4_
                                        ; -- End function
	.section	.AMDGPU.csdata,"",@progbits
; Kernel info:
; codeLenInByte = 1076
; NumSgprs: 34
; NumVgprs: 11
; NumAgprs: 0
; TotalNumVgprs: 11
; ScratchSize: 0
; MemoryBound: 0
; FloatMode: 240
; IeeeMode: 1
; LDSByteSize: 256 bytes/workgroup (compile time only)
; SGPRBlocks: 4
; VGPRBlocks: 1
; NumSGPRsForWavesPerEU: 34
; NumVGPRsForWavesPerEU: 11
; AccumOffset: 12
; Occupancy: 8
; WaveLimiterHint : 0
; COMPUTE_PGM_RSRC2:SCRATCH_EN: 0
; COMPUTE_PGM_RSRC2:USER_SGPR: 6
; COMPUTE_PGM_RSRC2:TRAP_HANDLER: 0
; COMPUTE_PGM_RSRC2:TGID_X_EN: 1
; COMPUTE_PGM_RSRC2:TGID_Y_EN: 0
; COMPUTE_PGM_RSRC2:TGID_Z_EN: 1
; COMPUTE_PGM_RSRC2:TIDIG_COMP_CNT: 0
; COMPUTE_PGM_RSRC3_GFX90A:ACCUM_OFFSET: 2
; COMPUTE_PGM_RSRC3_GFX90A:TG_SPLIT: 0
	.section	.text._ZL24rocblas_dot_kernel_magsqIlLb0ELi512ELi4ELb0EfPK16rocblas_bfloat16fEviT5_lT_liPT6_PT4_,"axG",@progbits,_ZL24rocblas_dot_kernel_magsqIlLb0ELi512ELi4ELb0EfPK16rocblas_bfloat16fEviT5_lT_liPT6_PT4_,comdat
	.globl	_ZL24rocblas_dot_kernel_magsqIlLb0ELi512ELi4ELb0EfPK16rocblas_bfloat16fEviT5_lT_liPT6_PT4_ ; -- Begin function _ZL24rocblas_dot_kernel_magsqIlLb0ELi512ELi4ELb0EfPK16rocblas_bfloat16fEviT5_lT_liPT6_PT4_
	.p2align	8
	.type	_ZL24rocblas_dot_kernel_magsqIlLb0ELi512ELi4ELb0EfPK16rocblas_bfloat16fEviT5_lT_liPT6_PT4_,@function
_ZL24rocblas_dot_kernel_magsqIlLb0ELi512ELi4ELb0EfPK16rocblas_bfloat16fEviT5_lT_liPT6_PT4_: ; @_ZL24rocblas_dot_kernel_magsqIlLb0ELi512ELi4ELb0EfPK16rocblas_bfloat16fEviT5_lT_liPT6_PT4_
; %bb.0:
	s_mov_b32 s2, s7
	s_load_dword s7, s[4:5], 0x0
	s_load_dwordx4 s[8:11], s[4:5], 0x30
	s_load_dword s16, s[4:5], 0x40
	v_lshl_or_b32 v2, s6, 9, v0
	s_mov_b32 s3, 0
	s_waitcnt lgkmcnt(0)
	v_cmp_gt_i32_e32 vcc, s7, v2
	v_mov_b32_e32 v1, 0
	s_and_saveexec_b64 s[12:13], vcc
	s_cbranch_execz .LBB366_4
; %bb.1:
	s_load_dwordx2 s[0:1], s[4:5], 0x8
	s_load_dwordx4 s[20:23], s[4:5], 0x10
	s_load_dwordx2 s[14:15], s[4:5], 0x20
	s_lshl_b32 s17, s16, 9
	v_add_u32_e32 v4, s17, v2
	v_ashrrev_i32_e32 v1, 31, v2
	s_waitcnt lgkmcnt(0)
	v_mul_lo_u32 v5, s23, v2
	v_mad_u64_u32 v[2:3], s[4:5], s22, v2, 0
	s_mul_i32 s4, s15, s2
	s_mul_hi_u32 s5, s14, s2
	s_add_i32 s5, s5, s4
	s_mul_i32 s4, s14, s2
	s_lshl_b64 s[4:5], s[4:5], 1
	s_lshl_b64 s[14:15], s[20:21], 1
	v_mul_lo_u32 v1, s22, v1
	s_add_u32 s0, s0, s14
	v_add3_u32 v3, v3, v1, v5
	s_addc_u32 s1, s1, s15
	v_lshlrev_b64 v[2:3], 1, v[2:3]
	s_add_u32 s0, s0, s4
	s_addc_u32 s1, s1, s5
	v_add_co_u32_e32 v2, vcc, s0, v2
	s_ashr_i32 s0, s17, 31
	v_mov_b32_e32 v1, s1
	s_mul_i32 s0, s22, s0
	s_mul_hi_u32 s1, s22, s17
	s_add_i32 s0, s1, s0
	s_mul_i32 s1, s23, s17
	s_add_i32 s1, s0, s1
	s_mul_i32 s0, s22, s17
	s_lshl_b64 s[14:15], s[0:1], 1
	v_addc_co_u32_e32 v3, vcc, v1, v3, vcc
	s_mov_b64 s[4:5], 0
	v_mov_b32_e32 v1, 0
	v_mov_b32_e32 v5, s15
	s_mov_b32 s15, s3
.LBB366_2:                              ; =>This Inner Loop Header: Depth=1
	global_load_ushort v6, v[2:3], off
	s_add_i32 s18, s15, 1
	v_add_co_u32_e64 v2, s[0:1], s14, v2
	v_addc_co_u32_e64 v3, s[0:1], v3, v5, s[0:1]
	s_cmp_gt_u32 s15, 2
	v_cmp_le_i32_e32 vcc, s7, v4
	s_cselect_b64 s[0:1], -1, 0
	s_or_b64 s[0:1], s[0:1], vcc
	s_and_b64 s[0:1], exec, s[0:1]
	v_add_u32_e32 v4, s17, v4
	s_mov_b32 s15, s18
	s_or_b64 s[4:5], s[0:1], s[4:5]
	s_waitcnt vmcnt(0)
	v_lshlrev_b32_e32 v6, 16, v6
	v_fmac_f32_e32 v1, v6, v6
	s_andn2_b64 exec, exec, s[4:5]
	s_cbranch_execnz .LBB366_2
; %bb.3:
	s_or_b64 exec, exec, s[4:5]
.LBB366_4:
	s_or_b64 exec, exec, s[12:13]
	v_and_b32_e32 v3, 63, v0
	v_cmp_gt_u32_e32 vcc, 64, v0
	v_lshlrev_b32_e32 v2, 2, v3
	s_and_saveexec_b64 s[0:1], vcc
	s_cbranch_execz .LBB366_6
; %bb.5:
	v_mov_b32_e32 v4, 0
	ds_write_b32 v2, v4
.LBB366_6:
	s_or_b64 exec, exec, s[0:1]
	v_mbcnt_lo_u32_b32 v4, -1, 0
	v_mbcnt_hi_u32_b32 v6, -1, v4
	v_and_b32_e32 v7, 63, v6
	v_cmp_gt_u32_e64 s[0:1], 32, v7
	v_cndmask_b32_e64 v4, 0, 1, s[0:1]
	v_lshlrev_b32_e32 v4, 5, v4
	v_add_lshl_u32 v4, v4, v6, 2
	ds_bpermute_b32 v4, v4, v1
	v_cmp_gt_u32_e64 s[0:1], 48, v7
	v_cndmask_b32_e64 v5, 0, 1, s[0:1]
	v_lshlrev_b32_e32 v5, 4, v5
	v_cmp_gt_u32_e64 s[0:1], 56, v7
	s_waitcnt lgkmcnt(0)
	v_add_f32_e32 v1, v1, v4
	v_add_lshl_u32 v4, v5, v6, 2
	ds_bpermute_b32 v4, v4, v1
	v_cndmask_b32_e64 v5, 0, 1, s[0:1]
	v_lshlrev_b32_e32 v5, 3, v5
	v_cmp_gt_u32_e64 s[0:1], 60, v7
	s_waitcnt lgkmcnt(0)
	v_add_f32_e32 v1, v1, v4
	v_add_lshl_u32 v4, v5, v6, 2
	ds_bpermute_b32 v4, v4, v1
	v_cndmask_b32_e64 v5, 0, 1, s[0:1]
	v_lshlrev_b32_e32 v5, 2, v5
	v_cmp_gt_u32_e64 s[0:1], 62, v7
	v_cndmask_b32_e64 v8, 0, 1, s[0:1]
	s_waitcnt lgkmcnt(0)
	v_add_f32_e32 v1, v1, v4
	v_add_lshl_u32 v4, v5, v6, 2
	ds_bpermute_b32 v5, v4, v1
	v_lshlrev_b32_e32 v8, 1, v8
	v_cmp_ne_u32_e64 s[0:1], 63, v7
	s_barrier
	s_waitcnt lgkmcnt(0)
	v_add_f32_e32 v1, v1, v5
	v_add_lshl_u32 v5, v8, v6, 2
	ds_bpermute_b32 v8, v5, v1
	v_addc_co_u32_e64 v6, s[0:1], 0, v6, s[0:1]
	v_lshlrev_b32_e32 v6, 2, v6
	v_cmp_eq_u32_e64 s[0:1], 0, v3
	s_waitcnt lgkmcnt(0)
	v_add_f32_e32 v1, v1, v8
	ds_bpermute_b32 v7, v6, v1
	s_and_saveexec_b64 s[4:5], s[0:1]
	s_cbranch_execz .LBB366_8
; %bb.7:
	v_lshrrev_b32_e32 v3, 4, v0
	s_waitcnt lgkmcnt(0)
	v_add_f32_e32 v1, v1, v7
	v_and_b32_e32 v3, 28, v3
	ds_write_b32 v3, v1
.LBB366_8:
	s_or_b64 exec, exec, s[4:5]
	v_cmp_gt_u32_e64 s[0:1], 8, v0
	v_mov_b32_e32 v1, 0
	s_waitcnt lgkmcnt(0)
	s_barrier
	s_and_saveexec_b64 s[4:5], s[0:1]
	s_cbranch_execnz .LBB366_12
; %bb.9:
	s_or_b64 exec, exec, s[4:5]
	s_and_saveexec_b64 s[0:1], vcc
	s_cbranch_execnz .LBB366_13
.LBB366_10:
	s_or_b64 exec, exec, s[0:1]
	v_cmp_eq_u32_e32 vcc, 0, v0
	s_and_saveexec_b64 s[0:1], vcc
	s_cbranch_execnz .LBB366_14
.LBB366_11:
	s_endpgm
.LBB366_12:
	ds_read_b32 v1, v2
	s_or_b64 exec, exec, s[4:5]
	s_and_saveexec_b64 s[0:1], vcc
	s_cbranch_execz .LBB366_10
.LBB366_13:
	s_waitcnt lgkmcnt(0)
	ds_bpermute_b32 v2, v4, v1
	s_waitcnt lgkmcnt(0)
	v_add_f32_e32 v1, v1, v2
	ds_bpermute_b32 v2, v5, v1
	s_waitcnt lgkmcnt(0)
	v_add_f32_e32 v1, v1, v2
	;; [unrolled: 3-line block ×3, first 2 shown]
	s_or_b64 exec, exec, s[0:1]
	v_cmp_eq_u32_e32 vcc, 0, v0
	s_and_saveexec_b64 s[0:1], vcc
	s_cbranch_execz .LBB366_11
.LBB366_14:
	s_cmp_lg_u32 s16, 1
	s_cbranch_scc0 .LBB366_16
; %bb.15:
	s_mul_hi_u32 s1, s16, s2
	s_mul_i32 s0, s16, s2
	s_lshl_b64 s[0:1], s[0:1], 2
	s_mov_b32 s7, 0
	s_add_u32 s4, s8, s0
	s_addc_u32 s5, s9, s1
	s_lshl_b64 s[0:1], s[6:7], 2
	s_add_u32 s0, s4, s0
	s_addc_u32 s1, s5, s1
	s_cbranch_execz .LBB366_17
	s_branch .LBB366_18
.LBB366_16:
                                        ; implicit-def: $sgpr0_sgpr1
.LBB366_17:
	s_lshl_b64 s[0:1], s[2:3], 2
	s_add_u32 s0, s10, s0
	s_addc_u32 s1, s11, s1
.LBB366_18:
	v_mov_b32_e32 v0, 0
	s_waitcnt lgkmcnt(0)
	global_store_dword v0, v1, s[0:1]
	s_endpgm
	.section	.rodata,"a",@progbits
	.p2align	6, 0x0
	.amdhsa_kernel _ZL24rocblas_dot_kernel_magsqIlLb0ELi512ELi4ELb0EfPK16rocblas_bfloat16fEviT5_lT_liPT6_PT4_
		.amdhsa_group_segment_fixed_size 256
		.amdhsa_private_segment_fixed_size 0
		.amdhsa_kernarg_size 320
		.amdhsa_user_sgpr_count 6
		.amdhsa_user_sgpr_private_segment_buffer 1
		.amdhsa_user_sgpr_dispatch_ptr 0
		.amdhsa_user_sgpr_queue_ptr 0
		.amdhsa_user_sgpr_kernarg_segment_ptr 1
		.amdhsa_user_sgpr_dispatch_id 0
		.amdhsa_user_sgpr_flat_scratch_init 0
		.amdhsa_user_sgpr_kernarg_preload_length 0
		.amdhsa_user_sgpr_kernarg_preload_offset 0
		.amdhsa_user_sgpr_private_segment_size 0
		.amdhsa_uses_dynamic_stack 0
		.amdhsa_system_sgpr_private_segment_wavefront_offset 0
		.amdhsa_system_sgpr_workgroup_id_x 1
		.amdhsa_system_sgpr_workgroup_id_y 0
		.amdhsa_system_sgpr_workgroup_id_z 1
		.amdhsa_system_sgpr_workgroup_info 0
		.amdhsa_system_vgpr_workitem_id 0
		.amdhsa_next_free_vgpr 9
		.amdhsa_next_free_sgpr 24
		.amdhsa_accum_offset 12
		.amdhsa_reserve_vcc 1
		.amdhsa_reserve_flat_scratch 0
		.amdhsa_float_round_mode_32 0
		.amdhsa_float_round_mode_16_64 0
		.amdhsa_float_denorm_mode_32 3
		.amdhsa_float_denorm_mode_16_64 3
		.amdhsa_dx10_clamp 1
		.amdhsa_ieee_mode 1
		.amdhsa_fp16_overflow 0
		.amdhsa_tg_split 0
		.amdhsa_exception_fp_ieee_invalid_op 0
		.amdhsa_exception_fp_denorm_src 0
		.amdhsa_exception_fp_ieee_div_zero 0
		.amdhsa_exception_fp_ieee_overflow 0
		.amdhsa_exception_fp_ieee_underflow 0
		.amdhsa_exception_fp_ieee_inexact 0
		.amdhsa_exception_int_div_zero 0
	.end_amdhsa_kernel
	.section	.text._ZL24rocblas_dot_kernel_magsqIlLb0ELi512ELi4ELb0EfPK16rocblas_bfloat16fEviT5_lT_liPT6_PT4_,"axG",@progbits,_ZL24rocblas_dot_kernel_magsqIlLb0ELi512ELi4ELb0EfPK16rocblas_bfloat16fEviT5_lT_liPT6_PT4_,comdat
.Lfunc_end366:
	.size	_ZL24rocblas_dot_kernel_magsqIlLb0ELi512ELi4ELb0EfPK16rocblas_bfloat16fEviT5_lT_liPT6_PT4_, .Lfunc_end366-_ZL24rocblas_dot_kernel_magsqIlLb0ELi512ELi4ELb0EfPK16rocblas_bfloat16fEviT5_lT_liPT6_PT4_
                                        ; -- End function
	.section	.AMDGPU.csdata,"",@progbits
; Kernel info:
; codeLenInByte = 912
; NumSgprs: 28
; NumVgprs: 9
; NumAgprs: 0
; TotalNumVgprs: 9
; ScratchSize: 0
; MemoryBound: 0
; FloatMode: 240
; IeeeMode: 1
; LDSByteSize: 256 bytes/workgroup (compile time only)
; SGPRBlocks: 3
; VGPRBlocks: 1
; NumSGPRsForWavesPerEU: 28
; NumVGPRsForWavesPerEU: 9
; AccumOffset: 12
; Occupancy: 8
; WaveLimiterHint : 0
; COMPUTE_PGM_RSRC2:SCRATCH_EN: 0
; COMPUTE_PGM_RSRC2:USER_SGPR: 6
; COMPUTE_PGM_RSRC2:TRAP_HANDLER: 0
; COMPUTE_PGM_RSRC2:TGID_X_EN: 1
; COMPUTE_PGM_RSRC2:TGID_Y_EN: 0
; COMPUTE_PGM_RSRC2:TGID_Z_EN: 1
; COMPUTE_PGM_RSRC2:TIDIG_COMP_CNT: 0
; COMPUTE_PGM_RSRC3_GFX90A:ACCUM_OFFSET: 2
; COMPUTE_PGM_RSRC3_GFX90A:TG_SPLIT: 0
	.section	.text._ZL28rocblas_dot_batched_4_kernelIlLi32ELi4ELb0EffPKPK16rocblas_bfloat16EviT5_lT_lS5_lS6_liPT4_,"axG",@progbits,_ZL28rocblas_dot_batched_4_kernelIlLi32ELi4ELb0EffPKPK16rocblas_bfloat16EviT5_lT_lS5_lS6_liPT4_,comdat
	.globl	_ZL28rocblas_dot_batched_4_kernelIlLi32ELi4ELb0EffPKPK16rocblas_bfloat16EviT5_lT_lS5_lS6_liPT4_ ; -- Begin function _ZL28rocblas_dot_batched_4_kernelIlLi32ELi4ELb0EffPKPK16rocblas_bfloat16EviT5_lT_lS5_lS6_liPT4_
	.p2align	8
	.type	_ZL28rocblas_dot_batched_4_kernelIlLi32ELi4ELb0EffPKPK16rocblas_bfloat16EviT5_lT_lS5_lS6_liPT4_,@function
_ZL28rocblas_dot_batched_4_kernelIlLi32ELi4ELb0EffPKPK16rocblas_bfloat16EviT5_lT_lS5_lS6_liPT4_: ; @_ZL28rocblas_dot_batched_4_kernelIlLi32ELi4ELb0EffPKPK16rocblas_bfloat16EviT5_lT_lS5_lS6_liPT4_
; %bb.0:
	s_load_dword s0, s[4:5], 0x48
	v_bfe_u32 v1, v0, 10, 10
	v_lshl_add_u32 v2, s6, 2, v1
	s_waitcnt lgkmcnt(0)
	v_cmp_gt_u32_e32 vcc, s0, v2
	s_and_saveexec_b64 s[0:1], vcc
	s_cbranch_execz .LBB367_7
; %bb.1:
	s_load_dword s14, s[4:5], 0x0
	s_load_dwordx2 s[8:9], s[4:5], 0x50
	v_mov_b32_e32 v3, 0
	v_and_b32_e32 v6, 0x3ff, v0
	v_mov_b32_e32 v7, v3
	s_waitcnt lgkmcnt(0)
	v_cmp_gt_i32_e32 vcc, s14, v6
	s_and_saveexec_b64 s[10:11], vcc
	s_cbranch_execz .LBB367_5
; %bb.2:
	s_load_dwordx2 s[6:7], s[4:5], 0x8
	s_load_dwordx2 s[12:13], s[4:5], 0x28
	v_lshlrev_b64 v[0:1], 3, v[2:3]
	s_load_dwordx4 s[0:3], s[4:5], 0x10
	s_waitcnt lgkmcnt(0)
	v_mov_b32_e32 v5, s7
	v_add_co_u32_e32 v4, vcc, s6, v0
	v_addc_co_u32_e32 v5, vcc, v5, v1, vcc
	global_load_dwordx2 v[4:5], v[4:5], off
	v_mov_b32_e32 v7, s13
	v_add_co_u32_e32 v0, vcc, s12, v0
	v_addc_co_u32_e32 v1, vcc, v7, v1, vcc
	global_load_dwordx2 v[10:11], v[0:1], off
	s_load_dwordx4 s[4:7], s[4:5], 0x30
	v_mad_u64_u32 v[0:1], s[16:17], s2, v6, 0
	v_mov_b32_e32 v14, v1
	s_lshl_b64 s[16:17], s[0:1], 1
	s_lshl_b64 s[0:1], s[2:3], 6
	s_waitcnt lgkmcnt(0)
	v_mad_u64_u32 v[12:13], s[18:19], s6, v6, 0
	v_mad_u64_u32 v[14:15], s[2:3], s3, v6, v[14:15]
	v_mov_b32_e32 v16, v13
	v_mov_b32_e32 v1, v14
	v_mad_u64_u32 v[16:17], s[2:3], s7, v6, v[16:17]
	v_lshlrev_b64 v[0:1], 1, v[0:1]
	v_mov_b32_e32 v18, s17
	v_mov_b32_e32 v13, v16
	v_add_co_u32_e32 v0, vcc, s16, v0
	s_lshl_b64 s[18:19], s[4:5], 1
	v_lshlrev_b64 v[12:13], 1, v[12:13]
	v_addc_co_u32_e32 v1, vcc, v1, v18, vcc
	v_mov_b32_e32 v19, s19
	v_add_co_u32_e32 v12, vcc, s18, v12
	v_addc_co_u32_e32 v13, vcc, v13, v19, vcc
	s_lshl_b64 s[4:5], s[6:7], 6
	s_mov_b64 s[12:13], 0
	v_mov_b32_e32 v7, 0
	v_mov_b32_e32 v8, s1
	v_mov_b32_e32 v9, s5
	s_waitcnt vmcnt(1)
	v_add_co_u32_e32 v0, vcc, v4, v0
	v_addc_co_u32_e32 v1, vcc, v5, v1, vcc
	s_waitcnt vmcnt(0)
	v_add_co_u32_e32 v4, vcc, v10, v12
	v_addc_co_u32_e32 v5, vcc, v11, v13, vcc
	v_mov_b32_e32 v10, v6
.LBB367_3:                              ; =>This Inner Loop Header: Depth=1
	global_load_ushort v11, v[0:1], off
	global_load_ushort v12, v[4:5], off
	v_add_co_u32_e32 v0, vcc, s0, v0
	v_addc_co_u32_e32 v1, vcc, v1, v8, vcc
	v_add_co_u32_e32 v4, vcc, s4, v4
	v_add_u32_e32 v10, 32, v10
	v_addc_co_u32_e32 v5, vcc, v5, v9, vcc
	v_cmp_le_i32_e32 vcc, s14, v10
	s_or_b64 s[12:13], vcc, s[12:13]
	s_waitcnt vmcnt(1)
	v_lshlrev_b32_e32 v11, 16, v11
	s_waitcnt vmcnt(0)
	v_lshlrev_b32_e32 v12, 16, v12
	v_fmac_f32_e32 v7, v12, v11
	s_andn2_b64 exec, exec, s[12:13]
	s_cbranch_execnz .LBB367_3
; %bb.4:
	s_or_b64 exec, exec, s[12:13]
.LBB367_5:
	s_or_b64 exec, exec, s[10:11]
	v_mbcnt_lo_u32_b32 v0, -1, 0
	v_mbcnt_hi_u32_b32 v0, -1, v0
	v_and_b32_e32 v1, 63, v0
	v_cmp_gt_u32_e32 vcc, 48, v1
	v_cndmask_b32_e64 v4, 0, 1, vcc
	v_lshlrev_b32_e32 v4, 4, v4
	v_add_lshl_u32 v4, v4, v0, 2
	ds_bpermute_b32 v4, v4, v7
	v_cmp_gt_u32_e32 vcc, 56, v1
	v_cndmask_b32_e64 v5, 0, 1, vcc
	v_lshlrev_b32_e32 v5, 3, v5
	v_add_lshl_u32 v5, v5, v0, 2
	s_waitcnt lgkmcnt(0)
	v_add_f32_e32 v4, v7, v4
	ds_bpermute_b32 v5, v5, v4
	v_cmp_gt_u32_e32 vcc, 60, v1
	v_cndmask_b32_e64 v7, 0, 1, vcc
	v_lshlrev_b32_e32 v7, 2, v7
	v_cmp_gt_u32_e32 vcc, 62, v1
	s_waitcnt lgkmcnt(0)
	v_add_f32_e32 v4, v4, v5
	v_add_lshl_u32 v5, v7, v0, 2
	ds_bpermute_b32 v5, v5, v4
	v_cndmask_b32_e64 v7, 0, 1, vcc
	v_lshlrev_b32_e32 v7, 1, v7
	v_cmp_ne_u32_e32 vcc, 63, v1
	v_addc_co_u32_e32 v1, vcc, 0, v0, vcc
	s_waitcnt lgkmcnt(0)
	v_add_f32_e32 v4, v4, v5
	v_add_lshl_u32 v5, v7, v0, 2
	ds_bpermute_b32 v5, v5, v4
	v_lshlrev_b32_e32 v1, 2, v1
	v_cmp_eq_u32_e32 vcc, 0, v6
	s_waitcnt lgkmcnt(0)
	s_barrier
	v_add_f32_e32 v0, v4, v5
	ds_bpermute_b32 v1, v1, v0
	s_waitcnt lgkmcnt(0)
	s_and_b64 exec, exec, vcc
	s_cbranch_execz .LBB367_7
; %bb.6:
	v_lshlrev_b64 v[2:3], 2, v[2:3]
	v_mov_b32_e32 v4, s9
	v_add_co_u32_e32 v2, vcc, s8, v2
	v_addc_co_u32_e32 v3, vcc, v4, v3, vcc
	v_add_f32_e32 v0, v0, v1
	global_store_dword v[2:3], v0, off
.LBB367_7:
	s_endpgm
	.section	.rodata,"a",@progbits
	.p2align	6, 0x0
	.amdhsa_kernel _ZL28rocblas_dot_batched_4_kernelIlLi32ELi4ELb0EffPKPK16rocblas_bfloat16EviT5_lT_lS5_lS6_liPT4_
		.amdhsa_group_segment_fixed_size 0
		.amdhsa_private_segment_fixed_size 0
		.amdhsa_kernarg_size 88
		.amdhsa_user_sgpr_count 6
		.amdhsa_user_sgpr_private_segment_buffer 1
		.amdhsa_user_sgpr_dispatch_ptr 0
		.amdhsa_user_sgpr_queue_ptr 0
		.amdhsa_user_sgpr_kernarg_segment_ptr 1
		.amdhsa_user_sgpr_dispatch_id 0
		.amdhsa_user_sgpr_flat_scratch_init 0
		.amdhsa_user_sgpr_kernarg_preload_length 0
		.amdhsa_user_sgpr_kernarg_preload_offset 0
		.amdhsa_user_sgpr_private_segment_size 0
		.amdhsa_uses_dynamic_stack 0
		.amdhsa_system_sgpr_private_segment_wavefront_offset 0
		.amdhsa_system_sgpr_workgroup_id_x 1
		.amdhsa_system_sgpr_workgroup_id_y 0
		.amdhsa_system_sgpr_workgroup_id_z 0
		.amdhsa_system_sgpr_workgroup_info 0
		.amdhsa_system_vgpr_workitem_id 1
		.amdhsa_next_free_vgpr 20
		.amdhsa_next_free_sgpr 20
		.amdhsa_accum_offset 20
		.amdhsa_reserve_vcc 1
		.amdhsa_reserve_flat_scratch 0
		.amdhsa_float_round_mode_32 0
		.amdhsa_float_round_mode_16_64 0
		.amdhsa_float_denorm_mode_32 3
		.amdhsa_float_denorm_mode_16_64 3
		.amdhsa_dx10_clamp 1
		.amdhsa_ieee_mode 1
		.amdhsa_fp16_overflow 0
		.amdhsa_tg_split 0
		.amdhsa_exception_fp_ieee_invalid_op 0
		.amdhsa_exception_fp_denorm_src 0
		.amdhsa_exception_fp_ieee_div_zero 0
		.amdhsa_exception_fp_ieee_overflow 0
		.amdhsa_exception_fp_ieee_underflow 0
		.amdhsa_exception_fp_ieee_inexact 0
		.amdhsa_exception_int_div_zero 0
	.end_amdhsa_kernel
	.section	.text._ZL28rocblas_dot_batched_4_kernelIlLi32ELi4ELb0EffPKPK16rocblas_bfloat16EviT5_lT_lS5_lS6_liPT4_,"axG",@progbits,_ZL28rocblas_dot_batched_4_kernelIlLi32ELi4ELb0EffPKPK16rocblas_bfloat16EviT5_lT_lS5_lS6_liPT4_,comdat
.Lfunc_end367:
	.size	_ZL28rocblas_dot_batched_4_kernelIlLi32ELi4ELb0EffPKPK16rocblas_bfloat16EviT5_lT_lS5_lS6_liPT4_, .Lfunc_end367-_ZL28rocblas_dot_batched_4_kernelIlLi32ELi4ELb0EffPKPK16rocblas_bfloat16EviT5_lT_lS5_lS6_liPT4_
                                        ; -- End function
	.section	.AMDGPU.csdata,"",@progbits
; Kernel info:
; codeLenInByte = 660
; NumSgprs: 24
; NumVgprs: 20
; NumAgprs: 0
; TotalNumVgprs: 20
; ScratchSize: 0
; MemoryBound: 0
; FloatMode: 240
; IeeeMode: 1
; LDSByteSize: 0 bytes/workgroup (compile time only)
; SGPRBlocks: 2
; VGPRBlocks: 2
; NumSGPRsForWavesPerEU: 24
; NumVGPRsForWavesPerEU: 20
; AccumOffset: 20
; Occupancy: 8
; WaveLimiterHint : 0
; COMPUTE_PGM_RSRC2:SCRATCH_EN: 0
; COMPUTE_PGM_RSRC2:USER_SGPR: 6
; COMPUTE_PGM_RSRC2:TRAP_HANDLER: 0
; COMPUTE_PGM_RSRC2:TGID_X_EN: 1
; COMPUTE_PGM_RSRC2:TGID_Y_EN: 0
; COMPUTE_PGM_RSRC2:TGID_Z_EN: 0
; COMPUTE_PGM_RSRC2:TIDIG_COMP_CNT: 1
; COMPUTE_PGM_RSRC3_GFX90A:ACCUM_OFFSET: 4
; COMPUTE_PGM_RSRC3_GFX90A:TG_SPLIT: 0
	.section	.text._ZL28rocblas_dot_batched_4_kernelIlLi64ELi4ELb0EffPKPK16rocblas_bfloat16EviT5_lT_lS5_lS6_liPT4_,"axG",@progbits,_ZL28rocblas_dot_batched_4_kernelIlLi64ELi4ELb0EffPKPK16rocblas_bfloat16EviT5_lT_lS5_lS6_liPT4_,comdat
	.globl	_ZL28rocblas_dot_batched_4_kernelIlLi64ELi4ELb0EffPKPK16rocblas_bfloat16EviT5_lT_lS5_lS6_liPT4_ ; -- Begin function _ZL28rocblas_dot_batched_4_kernelIlLi64ELi4ELb0EffPKPK16rocblas_bfloat16EviT5_lT_lS5_lS6_liPT4_
	.p2align	8
	.type	_ZL28rocblas_dot_batched_4_kernelIlLi64ELi4ELb0EffPKPK16rocblas_bfloat16EviT5_lT_lS5_lS6_liPT4_,@function
_ZL28rocblas_dot_batched_4_kernelIlLi64ELi4ELb0EffPKPK16rocblas_bfloat16EviT5_lT_lS5_lS6_liPT4_: ; @_ZL28rocblas_dot_batched_4_kernelIlLi64ELi4ELb0EffPKPK16rocblas_bfloat16EviT5_lT_lS5_lS6_liPT4_
; %bb.0:
	s_load_dword s0, s[4:5], 0x48
	v_bfe_u32 v1, v0, 10, 10
	v_lshl_add_u32 v2, s6, 2, v1
	s_waitcnt lgkmcnt(0)
	v_cmp_gt_u32_e32 vcc, s0, v2
	s_and_saveexec_b64 s[0:1], vcc
	s_cbranch_execz .LBB368_7
; %bb.1:
	s_load_dword s14, s[4:5], 0x0
	s_load_dwordx2 s[8:9], s[4:5], 0x50
	v_mov_b32_e32 v3, 0
	v_and_b32_e32 v6, 0x3ff, v0
	v_mov_b32_e32 v7, v3
	s_waitcnt lgkmcnt(0)
	v_cmp_gt_i32_e32 vcc, s14, v6
	s_and_saveexec_b64 s[10:11], vcc
	s_cbranch_execz .LBB368_5
; %bb.2:
	s_load_dwordx2 s[6:7], s[4:5], 0x8
	s_load_dwordx2 s[12:13], s[4:5], 0x28
	v_lshlrev_b64 v[0:1], 3, v[2:3]
	s_load_dwordx4 s[0:3], s[4:5], 0x10
	s_waitcnt lgkmcnt(0)
	v_mov_b32_e32 v5, s7
	v_add_co_u32_e32 v4, vcc, s6, v0
	v_addc_co_u32_e32 v5, vcc, v5, v1, vcc
	global_load_dwordx2 v[4:5], v[4:5], off
	v_mov_b32_e32 v7, s13
	v_add_co_u32_e32 v0, vcc, s12, v0
	v_addc_co_u32_e32 v1, vcc, v7, v1, vcc
	global_load_dwordx2 v[10:11], v[0:1], off
	s_load_dwordx4 s[4:7], s[4:5], 0x30
	v_mad_u64_u32 v[0:1], s[16:17], s2, v6, 0
	v_mov_b32_e32 v14, v1
	s_lshl_b64 s[16:17], s[0:1], 1
	s_lshl_b64 s[0:1], s[2:3], 7
	s_waitcnt lgkmcnt(0)
	v_mad_u64_u32 v[12:13], s[18:19], s6, v6, 0
	v_mad_u64_u32 v[14:15], s[2:3], s3, v6, v[14:15]
	v_mov_b32_e32 v16, v13
	v_mov_b32_e32 v1, v14
	v_mad_u64_u32 v[16:17], s[2:3], s7, v6, v[16:17]
	v_lshlrev_b64 v[0:1], 1, v[0:1]
	v_mov_b32_e32 v18, s17
	v_mov_b32_e32 v13, v16
	v_add_co_u32_e32 v0, vcc, s16, v0
	s_lshl_b64 s[18:19], s[4:5], 1
	v_lshlrev_b64 v[12:13], 1, v[12:13]
	v_addc_co_u32_e32 v1, vcc, v1, v18, vcc
	v_mov_b32_e32 v19, s19
	v_add_co_u32_e32 v12, vcc, s18, v12
	v_addc_co_u32_e32 v13, vcc, v13, v19, vcc
	s_lshl_b64 s[4:5], s[6:7], 7
	s_mov_b64 s[12:13], 0
	v_mov_b32_e32 v7, 0
	v_mov_b32_e32 v8, s1
	;; [unrolled: 1-line block ×3, first 2 shown]
	s_waitcnt vmcnt(1)
	v_add_co_u32_e32 v0, vcc, v4, v0
	v_addc_co_u32_e32 v1, vcc, v5, v1, vcc
	s_waitcnt vmcnt(0)
	v_add_co_u32_e32 v4, vcc, v10, v12
	v_addc_co_u32_e32 v5, vcc, v11, v13, vcc
	v_mov_b32_e32 v10, v6
.LBB368_3:                              ; =>This Inner Loop Header: Depth=1
	global_load_ushort v11, v[0:1], off
	global_load_ushort v12, v[4:5], off
	v_add_co_u32_e32 v0, vcc, s0, v0
	v_addc_co_u32_e32 v1, vcc, v1, v8, vcc
	v_add_co_u32_e32 v4, vcc, s4, v4
	v_add_u32_e32 v10, 64, v10
	v_addc_co_u32_e32 v5, vcc, v5, v9, vcc
	v_cmp_le_i32_e32 vcc, s14, v10
	s_or_b64 s[12:13], vcc, s[12:13]
	s_waitcnt vmcnt(1)
	v_lshlrev_b32_e32 v11, 16, v11
	s_waitcnt vmcnt(0)
	v_lshlrev_b32_e32 v12, 16, v12
	v_fmac_f32_e32 v7, v12, v11
	s_andn2_b64 exec, exec, s[12:13]
	s_cbranch_execnz .LBB368_3
; %bb.4:
	s_or_b64 exec, exec, s[12:13]
.LBB368_5:
	s_or_b64 exec, exec, s[10:11]
	v_mbcnt_lo_u32_b32 v0, -1, 0
	v_mbcnt_hi_u32_b32 v0, -1, v0
	v_and_b32_e32 v1, 63, v0
	v_cmp_gt_u32_e32 vcc, 32, v1
	v_cndmask_b32_e64 v4, 0, 1, vcc
	v_lshlrev_b32_e32 v4, 5, v4
	v_add_lshl_u32 v4, v4, v0, 2
	ds_bpermute_b32 v4, v4, v7
	v_cmp_gt_u32_e32 vcc, 48, v1
	v_cndmask_b32_e64 v5, 0, 1, vcc
	v_lshlrev_b32_e32 v5, 4, v5
	v_add_lshl_u32 v5, v5, v0, 2
	s_waitcnt lgkmcnt(0)
	v_add_f32_e32 v4, v7, v4
	ds_bpermute_b32 v5, v5, v4
	v_cmp_gt_u32_e32 vcc, 56, v1
	v_cndmask_b32_e64 v7, 0, 1, vcc
	v_lshlrev_b32_e32 v7, 3, v7
	v_cmp_gt_u32_e32 vcc, 60, v1
	s_waitcnt lgkmcnt(0)
	v_add_f32_e32 v4, v4, v5
	v_add_lshl_u32 v5, v7, v0, 2
	ds_bpermute_b32 v5, v5, v4
	v_cndmask_b32_e64 v7, 0, 1, vcc
	v_lshlrev_b32_e32 v7, 2, v7
	v_cmp_gt_u32_e32 vcc, 62, v1
	s_waitcnt lgkmcnt(0)
	v_add_f32_e32 v4, v4, v5
	v_add_lshl_u32 v5, v7, v0, 2
	ds_bpermute_b32 v5, v5, v4
	v_cndmask_b32_e64 v7, 0, 1, vcc
	v_lshlrev_b32_e32 v7, 1, v7
	v_cmp_ne_u32_e32 vcc, 63, v1
	v_addc_co_u32_e32 v1, vcc, 0, v0, vcc
	s_waitcnt lgkmcnt(0)
	v_add_f32_e32 v4, v4, v5
	v_add_lshl_u32 v5, v7, v0, 2
	ds_bpermute_b32 v5, v5, v4
	v_lshlrev_b32_e32 v1, 2, v1
	v_cmp_eq_u32_e32 vcc, 0, v6
	s_barrier
	s_waitcnt lgkmcnt(0)
	v_add_f32_e32 v0, v4, v5
	ds_bpermute_b32 v1, v1, v0
	s_and_b64 exec, exec, vcc
	s_cbranch_execz .LBB368_7
; %bb.6:
	v_lshlrev_b64 v[2:3], 2, v[2:3]
	v_mov_b32_e32 v4, s9
	v_add_co_u32_e32 v2, vcc, s8, v2
	v_addc_co_u32_e32 v3, vcc, v4, v3, vcc
	s_waitcnt lgkmcnt(0)
	v_add_f32_e32 v0, v0, v1
	global_store_dword v[2:3], v0, off
.LBB368_7:
	s_endpgm
	.section	.rodata,"a",@progbits
	.p2align	6, 0x0
	.amdhsa_kernel _ZL28rocblas_dot_batched_4_kernelIlLi64ELi4ELb0EffPKPK16rocblas_bfloat16EviT5_lT_lS5_lS6_liPT4_
		.amdhsa_group_segment_fixed_size 0
		.amdhsa_private_segment_fixed_size 0
		.amdhsa_kernarg_size 88
		.amdhsa_user_sgpr_count 6
		.amdhsa_user_sgpr_private_segment_buffer 1
		.amdhsa_user_sgpr_dispatch_ptr 0
		.amdhsa_user_sgpr_queue_ptr 0
		.amdhsa_user_sgpr_kernarg_segment_ptr 1
		.amdhsa_user_sgpr_dispatch_id 0
		.amdhsa_user_sgpr_flat_scratch_init 0
		.amdhsa_user_sgpr_kernarg_preload_length 0
		.amdhsa_user_sgpr_kernarg_preload_offset 0
		.amdhsa_user_sgpr_private_segment_size 0
		.amdhsa_uses_dynamic_stack 0
		.amdhsa_system_sgpr_private_segment_wavefront_offset 0
		.amdhsa_system_sgpr_workgroup_id_x 1
		.amdhsa_system_sgpr_workgroup_id_y 0
		.amdhsa_system_sgpr_workgroup_id_z 0
		.amdhsa_system_sgpr_workgroup_info 0
		.amdhsa_system_vgpr_workitem_id 1
		.amdhsa_next_free_vgpr 20
		.amdhsa_next_free_sgpr 20
		.amdhsa_accum_offset 20
		.amdhsa_reserve_vcc 1
		.amdhsa_reserve_flat_scratch 0
		.amdhsa_float_round_mode_32 0
		.amdhsa_float_round_mode_16_64 0
		.amdhsa_float_denorm_mode_32 3
		.amdhsa_float_denorm_mode_16_64 3
		.amdhsa_dx10_clamp 1
		.amdhsa_ieee_mode 1
		.amdhsa_fp16_overflow 0
		.amdhsa_tg_split 0
		.amdhsa_exception_fp_ieee_invalid_op 0
		.amdhsa_exception_fp_denorm_src 0
		.amdhsa_exception_fp_ieee_div_zero 0
		.amdhsa_exception_fp_ieee_overflow 0
		.amdhsa_exception_fp_ieee_underflow 0
		.amdhsa_exception_fp_ieee_inexact 0
		.amdhsa_exception_int_div_zero 0
	.end_amdhsa_kernel
	.section	.text._ZL28rocblas_dot_batched_4_kernelIlLi64ELi4ELb0EffPKPK16rocblas_bfloat16EviT5_lT_lS5_lS6_liPT4_,"axG",@progbits,_ZL28rocblas_dot_batched_4_kernelIlLi64ELi4ELb0EffPKPK16rocblas_bfloat16EviT5_lT_lS5_lS6_liPT4_,comdat
.Lfunc_end368:
	.size	_ZL28rocblas_dot_batched_4_kernelIlLi64ELi4ELb0EffPKPK16rocblas_bfloat16EviT5_lT_lS5_lS6_liPT4_, .Lfunc_end368-_ZL28rocblas_dot_batched_4_kernelIlLi64ELi4ELb0EffPKPK16rocblas_bfloat16EviT5_lT_lS5_lS6_liPT4_
                                        ; -- End function
	.section	.AMDGPU.csdata,"",@progbits
; Kernel info:
; codeLenInByte = 700
; NumSgprs: 24
; NumVgprs: 20
; NumAgprs: 0
; TotalNumVgprs: 20
; ScratchSize: 0
; MemoryBound: 0
; FloatMode: 240
; IeeeMode: 1
; LDSByteSize: 0 bytes/workgroup (compile time only)
; SGPRBlocks: 2
; VGPRBlocks: 2
; NumSGPRsForWavesPerEU: 24
; NumVGPRsForWavesPerEU: 20
; AccumOffset: 20
; Occupancy: 8
; WaveLimiterHint : 0
; COMPUTE_PGM_RSRC2:SCRATCH_EN: 0
; COMPUTE_PGM_RSRC2:USER_SGPR: 6
; COMPUTE_PGM_RSRC2:TRAP_HANDLER: 0
; COMPUTE_PGM_RSRC2:TGID_X_EN: 1
; COMPUTE_PGM_RSRC2:TGID_Y_EN: 0
; COMPUTE_PGM_RSRC2:TGID_Z_EN: 0
; COMPUTE_PGM_RSRC2:TIDIG_COMP_CNT: 1
; COMPUTE_PGM_RSRC3_GFX90A:ACCUM_OFFSET: 4
; COMPUTE_PGM_RSRC3_GFX90A:TG_SPLIT: 0
	.section	.text._ZL26rocblas_dot_kernel_inc1by2ILb1ELi1024ELi32ELb0EfPKPK16rocblas_bfloat16fEviT4_llS5_lliPT5_PT3_,"axG",@progbits,_ZL26rocblas_dot_kernel_inc1by2ILb1ELi1024ELi32ELb0EfPKPK16rocblas_bfloat16fEviT4_llS5_lliPT5_PT3_,comdat
	.globl	_ZL26rocblas_dot_kernel_inc1by2ILb1ELi1024ELi32ELb0EfPKPK16rocblas_bfloat16fEviT4_llS5_lliPT5_PT3_ ; -- Begin function _ZL26rocblas_dot_kernel_inc1by2ILb1ELi1024ELi32ELb0EfPKPK16rocblas_bfloat16fEviT4_llS5_lliPT5_PT3_
	.p2align	8
	.type	_ZL26rocblas_dot_kernel_inc1by2ILb1ELi1024ELi32ELb0EfPKPK16rocblas_bfloat16fEviT4_llS5_lliPT5_PT3_,@function
_ZL26rocblas_dot_kernel_inc1by2ILb1ELi1024ELi32ELb0EfPKPK16rocblas_bfloat16fEviT4_llS5_lliPT5_PT3_: ; @_ZL26rocblas_dot_kernel_inc1by2ILb1ELi1024ELi32ELb0EfPKPK16rocblas_bfloat16fEviT4_llS5_lliPT5_PT3_
; %bb.0:
	s_load_dword s20, s[4:5], 0x0
	s_load_dwordx4 s[0:3], s[4:5], 0x8
	s_load_dwordx2 s[12:13], s[4:5], 0x48
	s_load_dwordx4 s[8:11], s[4:5], 0x20
	s_mov_b32 s6, s7
	s_mov_b32 s7, 0
	s_lshl_b64 s[14:15], s[6:7], 3
	s_waitcnt lgkmcnt(0)
	s_add_u32 s0, s0, s14
	s_addc_u32 s1, s1, s15
	s_load_dwordx2 s[4:5], s[0:1], 0x0
	s_add_u32 s0, s8, s14
	s_addc_u32 s1, s9, s15
	s_load_dwordx2 s[14:15], s[0:1], 0x0
	v_lshlrev_b32_e32 v6, 1, v0
	s_add_i32 s8, s20, -1
	v_cmp_gt_i32_e32 vcc, s8, v6
	v_mov_b32_e32 v1, 0
	s_and_saveexec_b64 s[16:17], vcc
	s_cbranch_execz .LBB369_4
; %bb.1:
	s_lshl_b64 s[0:1], s[10:11], 1
	s_waitcnt lgkmcnt(0)
	s_add_u32 s0, s14, s0
	v_lshlrev_b32_e32 v4, 2, v0
	s_addc_u32 s1, s15, s1
	v_mov_b32_e32 v3, s1
	v_add_co_u32_e32 v2, vcc, s0, v4
	s_lshl_b64 s[0:1], s[2:3], 1
	s_add_u32 s0, s4, s0
	v_addc_co_u32_e32 v3, vcc, 0, v3, vcc
	s_addc_u32 s1, s5, s1
	v_mov_b32_e32 v5, s1
	v_add_co_u32_e32 v4, vcc, s0, v4
	v_mov_b32_e32 v1, 0
	v_addc_co_u32_e32 v5, vcc, 0, v5, vcc
	s_mov_b64 s[18:19], 0
	s_mov_b32 s9, s7
.LBB369_2:                              ; =>This Inner Loop Header: Depth=1
	global_load_dword v7, v[2:3], off
	global_load_dword v10, v[4:5], off
	s_add_i32 s21, s9, 1
	v_add_u32_e32 v6, 0x800, v6
	s_cmp_gt_u32 s9, 30
	v_add_co_u32_e32 v2, vcc, 0x1000, v2
	v_cmp_le_i32_e64 s[0:1], s8, v6
	s_cselect_b64 s[22:23], -1, 0
	v_addc_co_u32_e32 v3, vcc, 0, v3, vcc
	s_or_b64 s[0:1], s[22:23], s[0:1]
	v_add_co_u32_e32 v4, vcc, 0x1000, v4
	s_and_b64 s[0:1], exec, s[0:1]
	s_mov_b32 s9, s21
	v_addc_co_u32_e32 v5, vcc, 0, v5, vcc
	s_or_b64 s[18:19], s[0:1], s[18:19]
	s_waitcnt vmcnt(1)
	v_and_b32_e32 v9, 0xffff0000, v7
	v_lshlrev_b32_e32 v8, 16, v7
	s_waitcnt vmcnt(0)
	v_and_b32_e32 v11, 0xffff0000, v10
	v_lshlrev_b32_e32 v10, 16, v10
	v_pk_mul_f32 v[8:9], v[8:9], v[10:11]
	v_add_f32_e32 v1, v1, v8
	v_add_f32_e32 v1, v1, v9
	s_andn2_b64 exec, exec, s[18:19]
	s_cbranch_execnz .LBB369_2
; %bb.3:
	s_or_b64 exec, exec, s[18:19]
.LBB369_4:
	s_or_b64 exec, exec, s[16:17]
	s_bitcmp1_b32 s20, 0
	s_cselect_b64 s[0:1], -1, 0
	v_cmp_eq_u32_e32 vcc, s8, v6
	s_and_b64 s[16:17], s[0:1], vcc
	s_and_saveexec_b64 s[0:1], s[16:17]
	s_cbranch_execz .LBB369_6
; %bb.5:
	s_lshl_b64 s[2:3], s[2:3], 1
	s_waitcnt lgkmcnt(0)
	s_add_u32 s16, s4, s2
	s_addc_u32 s17, s5, s3
	s_lshl_b64 s[2:3], s[10:11], 1
	s_add_u32 s4, s14, s2
	s_mov_b32 s9, 0
	s_addc_u32 s5, s15, s3
	s_lshl_b64 s[2:3], s[8:9], 1
	s_add_u32 s4, s4, s2
	s_addc_u32 s5, s5, s3
	v_mov_b32_e32 v2, 0
	s_add_u32 s2, s16, s2
	s_addc_u32 s3, s17, s3
	global_load_ushort v3, v2, s[4:5]
	global_load_ushort v4, v2, s[2:3]
	s_waitcnt vmcnt(1)
	v_lshlrev_b32_e32 v2, 16, v3
	s_waitcnt vmcnt(0)
	v_lshlrev_b32_e32 v3, 16, v4
	v_fmac_f32_e32 v1, v3, v2
.LBB369_6:
	s_or_b64 exec, exec, s[0:1]
	v_and_b32_e32 v3, 63, v0
	v_cmp_gt_u32_e32 vcc, 64, v0
	v_lshlrev_b32_e32 v2, 2, v3
	s_and_saveexec_b64 s[0:1], vcc
	s_cbranch_execz .LBB369_8
; %bb.7:
	v_mov_b32_e32 v4, 0
	ds_write_b32 v2, v4
.LBB369_8:
	s_or_b64 exec, exec, s[0:1]
	v_mbcnt_lo_u32_b32 v4, -1, 0
	v_mbcnt_hi_u32_b32 v6, -1, v4
	v_and_b32_e32 v7, 63, v6
	v_cmp_gt_u32_e64 s[0:1], 32, v7
	v_cndmask_b32_e64 v4, 0, 1, s[0:1]
	v_lshlrev_b32_e32 v4, 5, v4
	v_add_lshl_u32 v4, v4, v6, 2
	ds_bpermute_b32 v4, v4, v1
	v_cmp_gt_u32_e64 s[0:1], 48, v7
	v_cndmask_b32_e64 v5, 0, 1, s[0:1]
	v_lshlrev_b32_e32 v5, 4, v5
	v_cmp_gt_u32_e64 s[0:1], 56, v7
	s_waitcnt lgkmcnt(0)
	v_add_f32_e32 v1, v1, v4
	v_add_lshl_u32 v4, v5, v6, 2
	ds_bpermute_b32 v4, v4, v1
	v_cndmask_b32_e64 v5, 0, 1, s[0:1]
	v_lshlrev_b32_e32 v5, 3, v5
	v_cmp_gt_u32_e64 s[0:1], 60, v7
	v_cndmask_b32_e64 v8, 0, 1, s[0:1]
	s_waitcnt lgkmcnt(0)
	v_add_f32_e32 v4, v1, v4
	v_add_lshl_u32 v1, v5, v6, 2
	ds_bpermute_b32 v5, v1, v4
	v_lshlrev_b32_e32 v8, 2, v8
	v_cmp_gt_u32_e64 s[0:1], 62, v7
	v_cndmask_b32_e64 v9, 0, 1, s[0:1]
	v_lshlrev_b32_e32 v9, 1, v9
	s_waitcnt lgkmcnt(0)
	v_add_f32_e32 v5, v4, v5
	v_add_lshl_u32 v4, v8, v6, 2
	ds_bpermute_b32 v8, v4, v5
	v_cmp_ne_u32_e64 s[0:1], 63, v7
	s_waitcnt lgkmcnt(0)
	s_barrier
	v_add_f32_e32 v8, v5, v8
	v_add_lshl_u32 v5, v9, v6, 2
	ds_bpermute_b32 v9, v5, v8
	v_addc_co_u32_e64 v6, s[0:1], 0, v6, s[0:1]
	v_lshlrev_b32_e32 v6, 2, v6
	v_cmp_eq_u32_e64 s[0:1], 0, v3
	s_waitcnt lgkmcnt(0)
	v_add_f32_e32 v7, v8, v9
	ds_bpermute_b32 v8, v6, v7
	s_and_saveexec_b64 s[2:3], s[0:1]
	s_cbranch_execz .LBB369_10
; %bb.9:
	s_waitcnt lgkmcnt(0)
	v_add_f32_e32 v3, v7, v8
	v_lshrrev_b32_e32 v7, 4, v0
	v_and_b32_e32 v7, 60, v7
	ds_write_b32 v7, v3
.LBB369_10:
	s_or_b64 exec, exec, s[2:3]
	v_cmp_gt_u32_e64 s[0:1], 16, v0
	v_mov_b32_e32 v3, 0
	s_waitcnt lgkmcnt(0)
	s_barrier
	s_and_saveexec_b64 s[2:3], s[0:1]
	s_cbranch_execnz .LBB369_14
; %bb.11:
	s_or_b64 exec, exec, s[2:3]
	s_and_saveexec_b64 s[0:1], vcc
	s_cbranch_execnz .LBB369_15
.LBB369_12:
	s_or_b64 exec, exec, s[0:1]
	v_cmp_eq_u32_e32 vcc, 0, v0
	s_and_saveexec_b64 s[0:1], vcc
	s_cbranch_execnz .LBB369_16
.LBB369_13:
	s_endpgm
.LBB369_14:
	ds_read_b32 v3, v2
	s_or_b64 exec, exec, s[2:3]
	s_and_saveexec_b64 s[0:1], vcc
	s_cbranch_execz .LBB369_12
.LBB369_15:
	s_waitcnt lgkmcnt(0)
	ds_bpermute_b32 v1, v1, v3
	s_waitcnt lgkmcnt(0)
	v_add_f32_e32 v1, v3, v1
	ds_bpermute_b32 v2, v4, v1
	s_waitcnt lgkmcnt(0)
	v_add_f32_e32 v1, v1, v2
	;; [unrolled: 3-line block ×4, first 2 shown]
	s_or_b64 exec, exec, s[0:1]
	v_cmp_eq_u32_e32 vcc, 0, v0
	s_and_saveexec_b64 s[0:1], vcc
	s_cbranch_execz .LBB369_13
.LBB369_16:
	s_lshl_b64 s[0:1], s[6:7], 2
	s_add_u32 s0, s12, s0
	s_addc_u32 s1, s13, s1
	v_mov_b32_e32 v0, 0
	s_waitcnt lgkmcnt(0)
	global_store_dword v0, v3, s[0:1]
	s_endpgm
	.section	.rodata,"a",@progbits
	.p2align	6, 0x0
	.amdhsa_kernel _ZL26rocblas_dot_kernel_inc1by2ILb1ELi1024ELi32ELb0EfPKPK16rocblas_bfloat16fEviT4_llS5_lliPT5_PT3_
		.amdhsa_group_segment_fixed_size 256
		.amdhsa_private_segment_fixed_size 0
		.amdhsa_kernarg_size 80
		.amdhsa_user_sgpr_count 6
		.amdhsa_user_sgpr_private_segment_buffer 1
		.amdhsa_user_sgpr_dispatch_ptr 0
		.amdhsa_user_sgpr_queue_ptr 0
		.amdhsa_user_sgpr_kernarg_segment_ptr 1
		.amdhsa_user_sgpr_dispatch_id 0
		.amdhsa_user_sgpr_flat_scratch_init 0
		.amdhsa_user_sgpr_kernarg_preload_length 0
		.amdhsa_user_sgpr_kernarg_preload_offset 0
		.amdhsa_user_sgpr_private_segment_size 0
		.amdhsa_uses_dynamic_stack 0
		.amdhsa_system_sgpr_private_segment_wavefront_offset 0
		.amdhsa_system_sgpr_workgroup_id_x 1
		.amdhsa_system_sgpr_workgroup_id_y 0
		.amdhsa_system_sgpr_workgroup_id_z 1
		.amdhsa_system_sgpr_workgroup_info 0
		.amdhsa_system_vgpr_workitem_id 0
		.amdhsa_next_free_vgpr 12
		.amdhsa_next_free_sgpr 24
		.amdhsa_accum_offset 12
		.amdhsa_reserve_vcc 1
		.amdhsa_reserve_flat_scratch 0
		.amdhsa_float_round_mode_32 0
		.amdhsa_float_round_mode_16_64 0
		.amdhsa_float_denorm_mode_32 3
		.amdhsa_float_denorm_mode_16_64 3
		.amdhsa_dx10_clamp 1
		.amdhsa_ieee_mode 1
		.amdhsa_fp16_overflow 0
		.amdhsa_tg_split 0
		.amdhsa_exception_fp_ieee_invalid_op 0
		.amdhsa_exception_fp_denorm_src 0
		.amdhsa_exception_fp_ieee_div_zero 0
		.amdhsa_exception_fp_ieee_overflow 0
		.amdhsa_exception_fp_ieee_underflow 0
		.amdhsa_exception_fp_ieee_inexact 0
		.amdhsa_exception_int_div_zero 0
	.end_amdhsa_kernel
	.section	.text._ZL26rocblas_dot_kernel_inc1by2ILb1ELi1024ELi32ELb0EfPKPK16rocblas_bfloat16fEviT4_llS5_lliPT5_PT3_,"axG",@progbits,_ZL26rocblas_dot_kernel_inc1by2ILb1ELi1024ELi32ELb0EfPKPK16rocblas_bfloat16fEviT4_llS5_lliPT5_PT3_,comdat
.Lfunc_end369:
	.size	_ZL26rocblas_dot_kernel_inc1by2ILb1ELi1024ELi32ELb0EfPKPK16rocblas_bfloat16fEviT4_llS5_lliPT5_PT3_, .Lfunc_end369-_ZL26rocblas_dot_kernel_inc1by2ILb1ELi1024ELi32ELb0EfPKPK16rocblas_bfloat16fEviT4_llS5_lliPT5_PT3_
                                        ; -- End function
	.section	.AMDGPU.csdata,"",@progbits
; Kernel info:
; codeLenInByte = 988
; NumSgprs: 28
; NumVgprs: 12
; NumAgprs: 0
; TotalNumVgprs: 12
; ScratchSize: 0
; MemoryBound: 0
; FloatMode: 240
; IeeeMode: 1
; LDSByteSize: 256 bytes/workgroup (compile time only)
; SGPRBlocks: 3
; VGPRBlocks: 1
; NumSGPRsForWavesPerEU: 28
; NumVGPRsForWavesPerEU: 12
; AccumOffset: 12
; Occupancy: 8
; WaveLimiterHint : 1
; COMPUTE_PGM_RSRC2:SCRATCH_EN: 0
; COMPUTE_PGM_RSRC2:USER_SGPR: 6
; COMPUTE_PGM_RSRC2:TRAP_HANDLER: 0
; COMPUTE_PGM_RSRC2:TGID_X_EN: 1
; COMPUTE_PGM_RSRC2:TGID_Y_EN: 0
; COMPUTE_PGM_RSRC2:TGID_Z_EN: 1
; COMPUTE_PGM_RSRC2:TIDIG_COMP_CNT: 0
; COMPUTE_PGM_RSRC3_GFX90A:ACCUM_OFFSET: 2
; COMPUTE_PGM_RSRC3_GFX90A:TG_SPLIT: 0
	.section	.text._ZL18rocblas_dot_kernelIlLb1ELi1024ELi32ELb0EfPKPK16rocblas_bfloat16fEviT5_lT_lS5_lS6_liPT6_PT4_,"axG",@progbits,_ZL18rocblas_dot_kernelIlLb1ELi1024ELi32ELb0EfPKPK16rocblas_bfloat16fEviT5_lT_lS5_lS6_liPT6_PT4_,comdat
	.globl	_ZL18rocblas_dot_kernelIlLb1ELi1024ELi32ELb0EfPKPK16rocblas_bfloat16fEviT5_lT_lS5_lS6_liPT6_PT4_ ; -- Begin function _ZL18rocblas_dot_kernelIlLb1ELi1024ELi32ELb0EfPKPK16rocblas_bfloat16fEviT5_lT_lS5_lS6_liPT6_PT4_
	.p2align	8
	.type	_ZL18rocblas_dot_kernelIlLb1ELi1024ELi32ELb0EfPKPK16rocblas_bfloat16fEviT5_lT_lS5_lS6_liPT6_PT4_,@function
_ZL18rocblas_dot_kernelIlLb1ELi1024ELi32ELb0EfPKPK16rocblas_bfloat16fEviT5_lT_lS5_lS6_liPT6_PT4_: ; @_ZL18rocblas_dot_kernelIlLb1ELi1024ELi32ELb0EfPKPK16rocblas_bfloat16fEviT5_lT_lS5_lS6_liPT6_PT4_
; %bb.0:
	s_load_dword s16, s[4:5], 0x0
	s_load_dwordx2 s[12:13], s[4:5], 0x58
	s_mov_b32 s6, s7
	s_mov_b32 s7, 0
	v_mov_b32_e32 v6, 0
	s_waitcnt lgkmcnt(0)
	v_cmp_gt_i32_e32 vcc, s16, v0
	s_and_saveexec_b64 s[14:15], vcc
	s_cbranch_execz .LBB370_4
; %bb.1:
	s_load_dwordx2 s[18:19], s[4:5], 0x8
	s_load_dwordx4 s[8:11], s[4:5], 0x10
	s_load_dwordx2 s[20:21], s[4:5], 0x28
	s_load_dwordx4 s[0:3], s[4:5], 0x30
	s_lshl_b64 s[22:23], s[6:7], 3
	s_waitcnt lgkmcnt(0)
	s_add_u32 s18, s18, s22
	s_addc_u32 s19, s19, s23
	s_load_dword s17, s[4:5], 0x60
	s_load_dwordx2 s[24:25], s[18:19], 0x0
	s_add_u32 s4, s20, s22
	s_addc_u32 s5, s21, s23
	s_load_dwordx2 s[18:19], s[4:5], 0x0
	v_mad_u64_u32 v[2:3], s[4:5], s10, v0, 0
	v_mov_b32_e32 v4, v3
	v_mad_u64_u32 v[4:5], s[4:5], s11, v0, v[4:5]
	s_waitcnt lgkmcnt(0)
	s_lshl_b32 s17, s17, 10
	s_lshl_b64 s[4:5], s[8:9], 1
	v_mov_b32_e32 v3, v4
	s_add_u32 s4, s24, s4
	v_lshlrev_b64 v[2:3], 1, v[2:3]
	s_addc_u32 s5, s25, s5
	s_ashr_i32 s20, s17, 31
	v_mov_b32_e32 v4, s5
	v_add_co_u32_e32 v2, vcc, s4, v2
	s_mul_i32 s4, s10, s20
	s_mul_hi_u32 s5, s10, s17
	v_addc_co_u32_e32 v3, vcc, v4, v3, vcc
	s_add_i32 s4, s5, s4
	s_mul_i32 s5, s11, s17
	v_mad_u64_u32 v[4:5], s[8:9], s2, v0, 0
	s_add_i32 s5, s4, s5
	s_mul_i32 s4, s10, s17
	v_mov_b32_e32 v6, v5
	s_lshl_b64 s[4:5], s[4:5], 1
	v_mad_u64_u32 v[6:7], s[8:9], s3, v0, v[6:7]
	s_lshl_b64 s[0:1], s[0:1], 1
	v_mov_b32_e32 v5, v6
	s_add_u32 s0, s18, s0
	v_lshlrev_b64 v[4:5], 1, v[4:5]
	s_addc_u32 s1, s19, s1
	v_mov_b32_e32 v6, s1
	v_add_co_u32_e32 v4, vcc, s0, v4
	s_mul_i32 s0, s2, s20
	s_mul_hi_u32 s1, s2, s17
	s_add_i32 s0, s1, s0
	s_mul_i32 s1, s3, s17
	s_add_i32 s1, s0, s1
	s_mul_i32 s0, s2, s17
	s_lshl_b64 s[8:9], s[0:1], 1
	v_or_b32_e32 v1, s17, v0
	v_addc_co_u32_e32 v5, vcc, v6, v5, vcc
	s_mov_b64 s[2:3], 0
	v_mov_b32_e32 v6, 0
	v_mov_b32_e32 v7, s5
	;; [unrolled: 1-line block ×3, first 2 shown]
	s_mov_b32 s5, s7
.LBB370_2:                              ; =>This Inner Loop Header: Depth=1
	global_load_ushort v9, v[4:5], off
	global_load_ushort v10, v[2:3], off
	v_add_co_u32_e64 v2, s[0:1], s4, v2
	v_addc_co_u32_e64 v3, s[0:1], v3, v7, s[0:1]
	s_add_i32 s9, s5, 1
	v_add_co_u32_e64 v4, s[0:1], s8, v4
	v_addc_co_u32_e64 v5, s[0:1], v5, v8, s[0:1]
	s_cmp_gt_u32 s5, 30
	v_cmp_le_i32_e32 vcc, s16, v1
	s_cselect_b64 s[0:1], -1, 0
	s_or_b64 s[0:1], s[0:1], vcc
	s_and_b64 s[0:1], exec, s[0:1]
	v_add_u32_e32 v1, s17, v1
	s_mov_b32 s5, s9
	s_or_b64 s[2:3], s[0:1], s[2:3]
	s_waitcnt vmcnt(1)
	v_lshlrev_b32_e32 v9, 16, v9
	s_waitcnt vmcnt(0)
	v_lshlrev_b32_e32 v10, 16, v10
	v_fmac_f32_e32 v6, v10, v9
	s_andn2_b64 exec, exec, s[2:3]
	s_cbranch_execnz .LBB370_2
; %bb.3:
	s_or_b64 exec, exec, s[2:3]
.LBB370_4:
	s_or_b64 exec, exec, s[14:15]
	v_and_b32_e32 v2, 63, v0
	v_cmp_gt_u32_e32 vcc, 64, v0
	v_lshlrev_b32_e32 v1, 2, v2
	s_and_saveexec_b64 s[0:1], vcc
	s_cbranch_execz .LBB370_6
; %bb.5:
	v_mov_b32_e32 v3, 0
	ds_write_b32 v1, v3
.LBB370_6:
	s_or_b64 exec, exec, s[0:1]
	v_mbcnt_lo_u32_b32 v3, -1, 0
	v_mbcnt_hi_u32_b32 v7, -1, v3
	v_and_b32_e32 v8, 63, v7
	v_cmp_gt_u32_e64 s[0:1], 32, v8
	v_cndmask_b32_e64 v3, 0, 1, s[0:1]
	v_lshlrev_b32_e32 v3, 5, v3
	v_add_lshl_u32 v3, v3, v7, 2
	ds_bpermute_b32 v3, v3, v6
	v_cmp_gt_u32_e64 s[0:1], 48, v8
	v_cndmask_b32_e64 v4, 0, 1, s[0:1]
	v_lshlrev_b32_e32 v4, 4, v4
	v_add_lshl_u32 v4, v4, v7, 2
	s_waitcnt lgkmcnt(0)
	v_add_f32_e32 v3, v6, v3
	ds_bpermute_b32 v4, v4, v3
	v_cmp_gt_u32_e64 s[0:1], 56, v8
	v_cndmask_b32_e64 v5, 0, 1, s[0:1]
	v_lshlrev_b32_e32 v5, 3, v5
	v_cmp_gt_u32_e64 s[0:1], 60, v8
	s_waitcnt lgkmcnt(0)
	v_add_f32_e32 v4, v3, v4
	v_add_lshl_u32 v3, v5, v7, 2
	ds_bpermute_b32 v5, v3, v4
	v_cndmask_b32_e64 v6, 0, 1, s[0:1]
	v_lshlrev_b32_e32 v6, 2, v6
	v_cmp_gt_u32_e64 s[0:1], 62, v8
	v_cndmask_b32_e64 v9, 0, 1, s[0:1]
	s_waitcnt lgkmcnt(0)
	v_add_f32_e32 v5, v4, v5
	v_add_lshl_u32 v4, v6, v7, 2
	ds_bpermute_b32 v6, v4, v5
	v_lshlrev_b32_e32 v9, 1, v9
	v_cmp_ne_u32_e64 s[0:1], 63, v8
	v_addc_co_u32_e64 v8, s[0:1], 0, v7, s[0:1]
	s_waitcnt lgkmcnt(0)
	v_add_f32_e32 v6, v5, v6
	v_add_lshl_u32 v5, v9, v7, 2
	ds_bpermute_b32 v9, v5, v6
	v_cmp_eq_u32_e64 s[0:1], 0, v2
	s_waitcnt lgkmcnt(0)
	s_barrier
	v_add_f32_e32 v7, v6, v9
	v_lshlrev_b32_e32 v6, 2, v8
	ds_bpermute_b32 v8, v6, v7
	s_and_saveexec_b64 s[2:3], s[0:1]
	s_cbranch_execz .LBB370_8
; %bb.7:
	s_waitcnt lgkmcnt(0)
	v_add_f32_e32 v2, v7, v8
	v_lshrrev_b32_e32 v7, 4, v0
	v_and_b32_e32 v7, 60, v7
	ds_write_b32 v7, v2
.LBB370_8:
	s_or_b64 exec, exec, s[2:3]
	v_cmp_gt_u32_e64 s[0:1], 16, v0
	v_mov_b32_e32 v2, 0
	s_waitcnt lgkmcnt(0)
	s_barrier
	s_and_saveexec_b64 s[2:3], s[0:1]
	s_cbranch_execnz .LBB370_12
; %bb.9:
	s_or_b64 exec, exec, s[2:3]
	s_and_saveexec_b64 s[0:1], vcc
	s_cbranch_execnz .LBB370_13
.LBB370_10:
	s_or_b64 exec, exec, s[0:1]
	v_cmp_eq_u32_e32 vcc, 0, v0
	s_and_saveexec_b64 s[0:1], vcc
	s_cbranch_execnz .LBB370_14
.LBB370_11:
	s_endpgm
.LBB370_12:
	ds_read_b32 v2, v1
	s_or_b64 exec, exec, s[2:3]
	s_and_saveexec_b64 s[0:1], vcc
	s_cbranch_execz .LBB370_10
.LBB370_13:
	s_waitcnt lgkmcnt(0)
	ds_bpermute_b32 v1, v3, v2
	s_waitcnt lgkmcnt(0)
	v_add_f32_e32 v1, v2, v1
	ds_bpermute_b32 v2, v4, v1
	s_waitcnt lgkmcnt(0)
	v_add_f32_e32 v1, v1, v2
	;; [unrolled: 3-line block ×4, first 2 shown]
	s_or_b64 exec, exec, s[0:1]
	v_cmp_eq_u32_e32 vcc, 0, v0
	s_and_saveexec_b64 s[0:1], vcc
	s_cbranch_execz .LBB370_11
.LBB370_14:
	s_lshl_b64 s[0:1], s[6:7], 2
	s_add_u32 s0, s12, s0
	s_addc_u32 s1, s13, s1
	v_mov_b32_e32 v0, 0
	s_waitcnt lgkmcnt(0)
	global_store_dword v0, v2, s[0:1]
	s_endpgm
	.section	.rodata,"a",@progbits
	.p2align	6, 0x0
	.amdhsa_kernel _ZL18rocblas_dot_kernelIlLb1ELi1024ELi32ELb0EfPKPK16rocblas_bfloat16fEviT5_lT_lS5_lS6_liPT6_PT4_
		.amdhsa_group_segment_fixed_size 256
		.amdhsa_private_segment_fixed_size 0
		.amdhsa_kernarg_size 352
		.amdhsa_user_sgpr_count 6
		.amdhsa_user_sgpr_private_segment_buffer 1
		.amdhsa_user_sgpr_dispatch_ptr 0
		.amdhsa_user_sgpr_queue_ptr 0
		.amdhsa_user_sgpr_kernarg_segment_ptr 1
		.amdhsa_user_sgpr_dispatch_id 0
		.amdhsa_user_sgpr_flat_scratch_init 0
		.amdhsa_user_sgpr_kernarg_preload_length 0
		.amdhsa_user_sgpr_kernarg_preload_offset 0
		.amdhsa_user_sgpr_private_segment_size 0
		.amdhsa_uses_dynamic_stack 0
		.amdhsa_system_sgpr_private_segment_wavefront_offset 0
		.amdhsa_system_sgpr_workgroup_id_x 1
		.amdhsa_system_sgpr_workgroup_id_y 0
		.amdhsa_system_sgpr_workgroup_id_z 1
		.amdhsa_system_sgpr_workgroup_info 0
		.amdhsa_system_vgpr_workitem_id 0
		.amdhsa_next_free_vgpr 11
		.amdhsa_next_free_sgpr 26
		.amdhsa_accum_offset 12
		.amdhsa_reserve_vcc 1
		.amdhsa_reserve_flat_scratch 0
		.amdhsa_float_round_mode_32 0
		.amdhsa_float_round_mode_16_64 0
		.amdhsa_float_denorm_mode_32 3
		.amdhsa_float_denorm_mode_16_64 3
		.amdhsa_dx10_clamp 1
		.amdhsa_ieee_mode 1
		.amdhsa_fp16_overflow 0
		.amdhsa_tg_split 0
		.amdhsa_exception_fp_ieee_invalid_op 0
		.amdhsa_exception_fp_denorm_src 0
		.amdhsa_exception_fp_ieee_div_zero 0
		.amdhsa_exception_fp_ieee_overflow 0
		.amdhsa_exception_fp_ieee_underflow 0
		.amdhsa_exception_fp_ieee_inexact 0
		.amdhsa_exception_int_div_zero 0
	.end_amdhsa_kernel
	.section	.text._ZL18rocblas_dot_kernelIlLb1ELi1024ELi32ELb0EfPKPK16rocblas_bfloat16fEviT5_lT_lS5_lS6_liPT6_PT4_,"axG",@progbits,_ZL18rocblas_dot_kernelIlLb1ELi1024ELi32ELb0EfPKPK16rocblas_bfloat16fEviT5_lT_lS5_lS6_liPT6_PT4_,comdat
.Lfunc_end370:
	.size	_ZL18rocblas_dot_kernelIlLb1ELi1024ELi32ELb0EfPKPK16rocblas_bfloat16fEviT5_lT_lS5_lS6_liPT6_PT4_, .Lfunc_end370-_ZL18rocblas_dot_kernelIlLb1ELi1024ELi32ELb0EfPKPK16rocblas_bfloat16fEviT5_lT_lS5_lS6_liPT6_PT4_
                                        ; -- End function
	.section	.AMDGPU.csdata,"",@progbits
; Kernel info:
; codeLenInByte = 996
; NumSgprs: 30
; NumVgprs: 11
; NumAgprs: 0
; TotalNumVgprs: 11
; ScratchSize: 0
; MemoryBound: 0
; FloatMode: 240
; IeeeMode: 1
; LDSByteSize: 256 bytes/workgroup (compile time only)
; SGPRBlocks: 3
; VGPRBlocks: 1
; NumSGPRsForWavesPerEU: 30
; NumVGPRsForWavesPerEU: 11
; AccumOffset: 12
; Occupancy: 8
; WaveLimiterHint : 0
; COMPUTE_PGM_RSRC2:SCRATCH_EN: 0
; COMPUTE_PGM_RSRC2:USER_SGPR: 6
; COMPUTE_PGM_RSRC2:TRAP_HANDLER: 0
; COMPUTE_PGM_RSRC2:TGID_X_EN: 1
; COMPUTE_PGM_RSRC2:TGID_Y_EN: 0
; COMPUTE_PGM_RSRC2:TGID_Z_EN: 1
; COMPUTE_PGM_RSRC2:TIDIG_COMP_CNT: 0
; COMPUTE_PGM_RSRC3_GFX90A:ACCUM_OFFSET: 2
; COMPUTE_PGM_RSRC3_GFX90A:TG_SPLIT: 0
	.section	.text._ZL24rocblas_dot_kernel_magsqIlLb1ELi1024ELi32ELb0EfPKPK16rocblas_bfloat16fEviT5_lT_liPT6_PT4_,"axG",@progbits,_ZL24rocblas_dot_kernel_magsqIlLb1ELi1024ELi32ELb0EfPKPK16rocblas_bfloat16fEviT5_lT_liPT6_PT4_,comdat
	.globl	_ZL24rocblas_dot_kernel_magsqIlLb1ELi1024ELi32ELb0EfPKPK16rocblas_bfloat16fEviT5_lT_liPT6_PT4_ ; -- Begin function _ZL24rocblas_dot_kernel_magsqIlLb1ELi1024ELi32ELb0EfPKPK16rocblas_bfloat16fEviT5_lT_liPT6_PT4_
	.p2align	8
	.type	_ZL24rocblas_dot_kernel_magsqIlLb1ELi1024ELi32ELb0EfPKPK16rocblas_bfloat16fEviT5_lT_liPT6_PT4_,@function
_ZL24rocblas_dot_kernel_magsqIlLb1ELi1024ELi32ELb0EfPKPK16rocblas_bfloat16fEviT5_lT_liPT6_PT4_: ; @_ZL24rocblas_dot_kernel_magsqIlLb1ELi1024ELi32ELb0EfPKPK16rocblas_bfloat16fEviT5_lT_liPT6_PT4_
; %bb.0:
	s_mov_b32 s2, s7
	s_load_dword s12, s[4:5], 0x0
	s_load_dwordx2 s[6:7], s[4:5], 0x38
	s_mov_b32 s3, 0
	v_mov_b32_e32 v1, 0
	s_waitcnt lgkmcnt(0)
	v_cmp_gt_i32_e32 vcc, s12, v0
	s_and_saveexec_b64 s[8:9], vcc
	s_cbranch_execz .LBB371_4
; %bb.1:
	s_load_dwordx2 s[0:1], s[4:5], 0x8
	s_load_dword s10, s[4:5], 0x40
	s_load_dwordx4 s[16:19], s[4:5], 0x10
	s_lshl_b64 s[4:5], s[2:3], 3
	s_waitcnt lgkmcnt(0)
	s_add_u32 s0, s0, s4
	s_addc_u32 s1, s1, s5
	s_load_dwordx2 s[0:1], s[0:1], 0x0
	v_mad_u64_u32 v[2:3], s[4:5], s18, v0, 0
	v_mov_b32_e32 v6, v3
	v_mad_u64_u32 v[6:7], s[4:5], s19, v0, v[6:7]
	s_lshl_b32 s13, s10, 10
	v_mov_b32_e32 v3, v6
	s_lshl_b64 s[4:5], s[16:17], 1
	v_lshlrev_b64 v[2:3], 1, v[2:3]
	s_waitcnt lgkmcnt(0)
	s_add_u32 s0, s0, s4
	s_addc_u32 s1, s1, s5
	v_add_co_u32_e32 v2, vcc, s0, v2
	s_ashr_i32 s0, s13, 31
	v_mov_b32_e32 v1, s1
	s_mul_i32 s0, s18, s0
	s_mul_hi_u32 s1, s18, s13
	s_add_i32 s0, s1, s0
	s_mul_i32 s1, s19, s13
	s_add_i32 s1, s0, s1
	s_mul_i32 s0, s18, s13
	s_lshl_b64 s[10:11], s[0:1], 1
	v_or_b32_e32 v4, s13, v0
	v_addc_co_u32_e32 v3, vcc, v1, v3, vcc
	s_mov_b64 s[4:5], 0
	v_mov_b32_e32 v1, 0
	v_mov_b32_e32 v5, s11
	s_mov_b32 s11, s3
.LBB371_2:                              ; =>This Inner Loop Header: Depth=1
	global_load_ushort v6, v[2:3], off
	s_add_i32 s14, s11, 1
	v_add_co_u32_e64 v2, s[0:1], s10, v2
	v_addc_co_u32_e64 v3, s[0:1], v3, v5, s[0:1]
	s_cmp_gt_u32 s11, 30
	v_cmp_le_i32_e32 vcc, s12, v4
	s_cselect_b64 s[0:1], -1, 0
	s_or_b64 s[0:1], s[0:1], vcc
	s_and_b64 s[0:1], exec, s[0:1]
	v_add_u32_e32 v4, s13, v4
	s_mov_b32 s11, s14
	s_or_b64 s[4:5], s[0:1], s[4:5]
	s_waitcnt vmcnt(0)
	v_lshlrev_b32_e32 v6, 16, v6
	v_fmac_f32_e32 v1, v6, v6
	s_andn2_b64 exec, exec, s[4:5]
	s_cbranch_execnz .LBB371_2
; %bb.3:
	s_or_b64 exec, exec, s[4:5]
.LBB371_4:
	s_or_b64 exec, exec, s[8:9]
	v_and_b32_e32 v3, 63, v0
	v_cmp_gt_u32_e32 vcc, 64, v0
	v_lshlrev_b32_e32 v2, 2, v3
	s_and_saveexec_b64 s[0:1], vcc
	s_cbranch_execz .LBB371_6
; %bb.5:
	v_mov_b32_e32 v4, 0
	ds_write_b32 v2, v4
.LBB371_6:
	s_or_b64 exec, exec, s[0:1]
	v_mbcnt_lo_u32_b32 v4, -1, 0
	v_mbcnt_hi_u32_b32 v6, -1, v4
	v_and_b32_e32 v7, 63, v6
	v_cmp_gt_u32_e64 s[0:1], 32, v7
	v_cndmask_b32_e64 v4, 0, 1, s[0:1]
	v_lshlrev_b32_e32 v4, 5, v4
	v_add_lshl_u32 v4, v4, v6, 2
	ds_bpermute_b32 v4, v4, v1
	v_cmp_gt_u32_e64 s[0:1], 48, v7
	v_cndmask_b32_e64 v5, 0, 1, s[0:1]
	v_lshlrev_b32_e32 v5, 4, v5
	v_cmp_gt_u32_e64 s[0:1], 56, v7
	s_waitcnt lgkmcnt(0)
	v_add_f32_e32 v1, v1, v4
	v_add_lshl_u32 v4, v5, v6, 2
	ds_bpermute_b32 v4, v4, v1
	v_cndmask_b32_e64 v5, 0, 1, s[0:1]
	v_lshlrev_b32_e32 v5, 3, v5
	v_cmp_gt_u32_e64 s[0:1], 60, v7
	v_cndmask_b32_e64 v8, 0, 1, s[0:1]
	s_waitcnt lgkmcnt(0)
	v_add_f32_e32 v4, v1, v4
	v_add_lshl_u32 v1, v5, v6, 2
	ds_bpermute_b32 v5, v1, v4
	v_lshlrev_b32_e32 v8, 2, v8
	v_cmp_gt_u32_e64 s[0:1], 62, v7
	v_cndmask_b32_e64 v9, 0, 1, s[0:1]
	v_lshlrev_b32_e32 v9, 1, v9
	s_waitcnt lgkmcnt(0)
	v_add_f32_e32 v5, v4, v5
	v_add_lshl_u32 v4, v8, v6, 2
	ds_bpermute_b32 v8, v4, v5
	v_cmp_ne_u32_e64 s[0:1], 63, v7
	s_waitcnt lgkmcnt(0)
	s_barrier
	v_add_f32_e32 v8, v5, v8
	v_add_lshl_u32 v5, v9, v6, 2
	ds_bpermute_b32 v9, v5, v8
	v_addc_co_u32_e64 v6, s[0:1], 0, v6, s[0:1]
	v_lshlrev_b32_e32 v6, 2, v6
	v_cmp_eq_u32_e64 s[0:1], 0, v3
	s_waitcnt lgkmcnt(0)
	v_add_f32_e32 v7, v8, v9
	ds_bpermute_b32 v8, v6, v7
	s_and_saveexec_b64 s[4:5], s[0:1]
	s_cbranch_execz .LBB371_8
; %bb.7:
	s_waitcnt lgkmcnt(0)
	v_add_f32_e32 v3, v7, v8
	v_lshrrev_b32_e32 v7, 4, v0
	v_and_b32_e32 v7, 60, v7
	ds_write_b32 v7, v3
.LBB371_8:
	s_or_b64 exec, exec, s[4:5]
	v_cmp_gt_u32_e64 s[0:1], 16, v0
	v_mov_b32_e32 v3, 0
	s_waitcnt lgkmcnt(0)
	s_barrier
	s_and_saveexec_b64 s[4:5], s[0:1]
	s_cbranch_execnz .LBB371_12
; %bb.9:
	s_or_b64 exec, exec, s[4:5]
	s_and_saveexec_b64 s[0:1], vcc
	s_cbranch_execnz .LBB371_13
.LBB371_10:
	s_or_b64 exec, exec, s[0:1]
	v_cmp_eq_u32_e32 vcc, 0, v0
	s_and_saveexec_b64 s[0:1], vcc
	s_cbranch_execnz .LBB371_14
.LBB371_11:
	s_endpgm
.LBB371_12:
	ds_read_b32 v3, v2
	s_or_b64 exec, exec, s[4:5]
	s_and_saveexec_b64 s[0:1], vcc
	s_cbranch_execz .LBB371_10
.LBB371_13:
	s_waitcnt lgkmcnt(0)
	ds_bpermute_b32 v1, v1, v3
	s_waitcnt lgkmcnt(0)
	v_add_f32_e32 v1, v3, v1
	ds_bpermute_b32 v2, v4, v1
	s_waitcnt lgkmcnt(0)
	v_add_f32_e32 v1, v1, v2
	;; [unrolled: 3-line block ×4, first 2 shown]
	s_or_b64 exec, exec, s[0:1]
	v_cmp_eq_u32_e32 vcc, 0, v0
	s_and_saveexec_b64 s[0:1], vcc
	s_cbranch_execz .LBB371_11
.LBB371_14:
	s_lshl_b64 s[0:1], s[2:3], 2
	s_add_u32 s0, s6, s0
	s_addc_u32 s1, s7, s1
	v_mov_b32_e32 v0, 0
	s_waitcnt lgkmcnt(0)
	global_store_dword v0, v3, s[0:1]
	s_endpgm
	.section	.rodata,"a",@progbits
	.p2align	6, 0x0
	.amdhsa_kernel _ZL24rocblas_dot_kernel_magsqIlLb1ELi1024ELi32ELb0EfPKPK16rocblas_bfloat16fEviT5_lT_liPT6_PT4_
		.amdhsa_group_segment_fixed_size 256
		.amdhsa_private_segment_fixed_size 0
		.amdhsa_kernarg_size 320
		.amdhsa_user_sgpr_count 6
		.amdhsa_user_sgpr_private_segment_buffer 1
		.amdhsa_user_sgpr_dispatch_ptr 0
		.amdhsa_user_sgpr_queue_ptr 0
		.amdhsa_user_sgpr_kernarg_segment_ptr 1
		.amdhsa_user_sgpr_dispatch_id 0
		.amdhsa_user_sgpr_flat_scratch_init 0
		.amdhsa_user_sgpr_kernarg_preload_length 0
		.amdhsa_user_sgpr_kernarg_preload_offset 0
		.amdhsa_user_sgpr_private_segment_size 0
		.amdhsa_uses_dynamic_stack 0
		.amdhsa_system_sgpr_private_segment_wavefront_offset 0
		.amdhsa_system_sgpr_workgroup_id_x 1
		.amdhsa_system_sgpr_workgroup_id_y 0
		.amdhsa_system_sgpr_workgroup_id_z 1
		.amdhsa_system_sgpr_workgroup_info 0
		.amdhsa_system_vgpr_workitem_id 0
		.amdhsa_next_free_vgpr 10
		.amdhsa_next_free_sgpr 20
		.amdhsa_accum_offset 12
		.amdhsa_reserve_vcc 1
		.amdhsa_reserve_flat_scratch 0
		.amdhsa_float_round_mode_32 0
		.amdhsa_float_round_mode_16_64 0
		.amdhsa_float_denorm_mode_32 3
		.amdhsa_float_denorm_mode_16_64 3
		.amdhsa_dx10_clamp 1
		.amdhsa_ieee_mode 1
		.amdhsa_fp16_overflow 0
		.amdhsa_tg_split 0
		.amdhsa_exception_fp_ieee_invalid_op 0
		.amdhsa_exception_fp_denorm_src 0
		.amdhsa_exception_fp_ieee_div_zero 0
		.amdhsa_exception_fp_ieee_overflow 0
		.amdhsa_exception_fp_ieee_underflow 0
		.amdhsa_exception_fp_ieee_inexact 0
		.amdhsa_exception_int_div_zero 0
	.end_amdhsa_kernel
	.section	.text._ZL24rocblas_dot_kernel_magsqIlLb1ELi1024ELi32ELb0EfPKPK16rocblas_bfloat16fEviT5_lT_liPT6_PT4_,"axG",@progbits,_ZL24rocblas_dot_kernel_magsqIlLb1ELi1024ELi32ELb0EfPKPK16rocblas_bfloat16fEviT5_lT_liPT6_PT4_,comdat
.Lfunc_end371:
	.size	_ZL24rocblas_dot_kernel_magsqIlLb1ELi1024ELi32ELb0EfPKPK16rocblas_bfloat16fEviT5_lT_liPT6_PT4_, .Lfunc_end371-_ZL24rocblas_dot_kernel_magsqIlLb1ELi1024ELi32ELb0EfPKPK16rocblas_bfloat16fEviT5_lT_liPT6_PT4_
                                        ; -- End function
	.section	.AMDGPU.csdata,"",@progbits
; Kernel info:
; codeLenInByte = 844
; NumSgprs: 24
; NumVgprs: 10
; NumAgprs: 0
; TotalNumVgprs: 10
; ScratchSize: 0
; MemoryBound: 0
; FloatMode: 240
; IeeeMode: 1
; LDSByteSize: 256 bytes/workgroup (compile time only)
; SGPRBlocks: 2
; VGPRBlocks: 1
; NumSGPRsForWavesPerEU: 24
; NumVGPRsForWavesPerEU: 10
; AccumOffset: 12
; Occupancy: 8
; WaveLimiterHint : 0
; COMPUTE_PGM_RSRC2:SCRATCH_EN: 0
; COMPUTE_PGM_RSRC2:USER_SGPR: 6
; COMPUTE_PGM_RSRC2:TRAP_HANDLER: 0
; COMPUTE_PGM_RSRC2:TGID_X_EN: 1
; COMPUTE_PGM_RSRC2:TGID_Y_EN: 0
; COMPUTE_PGM_RSRC2:TGID_Z_EN: 1
; COMPUTE_PGM_RSRC2:TIDIG_COMP_CNT: 0
; COMPUTE_PGM_RSRC3_GFX90A:ACCUM_OFFSET: 2
; COMPUTE_PGM_RSRC3_GFX90A:TG_SPLIT: 0
	.section	.text._ZL23rocblas_dot_kernel_inc1ILb0ELi512ELi4ELb0EfPKPK16rocblas_bfloat16fEviT4_llS5_lliPT5_PT3_,"axG",@progbits,_ZL23rocblas_dot_kernel_inc1ILb0ELi512ELi4ELb0EfPKPK16rocblas_bfloat16fEviT4_llS5_lliPT5_PT3_,comdat
	.globl	_ZL23rocblas_dot_kernel_inc1ILb0ELi512ELi4ELb0EfPKPK16rocblas_bfloat16fEviT4_llS5_lliPT5_PT3_ ; -- Begin function _ZL23rocblas_dot_kernel_inc1ILb0ELi512ELi4ELb0EfPKPK16rocblas_bfloat16fEviT4_llS5_lliPT5_PT3_
	.p2align	8
	.type	_ZL23rocblas_dot_kernel_inc1ILb0ELi512ELi4ELb0EfPKPK16rocblas_bfloat16fEviT4_llS5_lliPT5_PT3_,@function
_ZL23rocblas_dot_kernel_inc1ILb0ELi512ELi4ELb0EfPKPK16rocblas_bfloat16fEviT4_llS5_lliPT5_PT3_: ; @_ZL23rocblas_dot_kernel_inc1ILb0ELi512ELi4ELb0EfPKPK16rocblas_bfloat16fEviT4_llS5_lliPT5_PT3_
; %bb.0:
	s_mov_b32 s2, s7
	s_load_dword s18, s[4:5], 0x50
	s_load_dword s7, s[4:5], 0x0
	s_load_dwordx4 s[8:11], s[4:5], 0x40
	v_lshl_or_b32 v4, s6, 9, v0
	s_mov_b32 s3, 0
	v_mov_b32_e32 v1, 0
	s_waitcnt lgkmcnt(0)
	v_cmp_gt_i32_e32 vcc, s7, v4
	s_and_saveexec_b64 s[12:13], vcc
	s_cbranch_execz .LBB372_4
; %bb.1:
	s_load_dwordx4 s[20:23], s[4:5], 0x8
	s_load_dwordx4 s[24:27], s[4:5], 0x20
	s_lshl_b64 s[0:1], s[2:3], 3
	v_ashrrev_i32_e32 v5, 31, v4
	v_lshlrev_b64 v[2:3], 1, v[4:5]
	s_waitcnt lgkmcnt(0)
	s_add_u32 s4, s20, s0
	s_addc_u32 s5, s21, s1
	s_load_dwordx2 s[14:15], s[4:5], 0x0
	s_lshl_b64 s[16:17], s[22:23], 1
	s_mov_b64 s[4:5], 0
	v_mov_b32_e32 v1, 0
	s_waitcnt lgkmcnt(0)
	s_add_u32 s19, s14, s16
	s_addc_u32 s14, s15, s17
	s_add_u32 s0, s24, s0
	s_addc_u32 s1, s25, s1
	s_load_dwordx2 s[0:1], s[0:1], 0x0
	v_mov_b32_e32 v5, s14
	s_lshl_b64 s[14:15], s[26:27], 1
	s_waitcnt lgkmcnt(0)
	s_add_u32 s20, s0, s14
	s_addc_u32 s0, s1, s15
	s_lshl_b32 s14, s18, 9
	s_ashr_i32 s15, s14, 31
	s_lshl_b64 s[16:17], s[14:15], 1
	v_add_u32_e32 v4, s14, v4
	v_mov_b32_e32 v6, s0
	v_mov_b32_e32 v7, s17
	s_mov_b32 s15, s3
.LBB372_2:                              ; =>This Inner Loop Header: Depth=1
	v_add_co_u32_e32 v8, vcc, s20, v2
	v_addc_co_u32_e32 v9, vcc, v6, v3, vcc
	v_add_co_u32_e32 v10, vcc, s19, v2
	v_addc_co_u32_e32 v11, vcc, v5, v3, vcc
	global_load_ushort v12, v[8:9], off
	global_load_ushort v13, v[10:11], off
	s_add_i32 s17, s15, 1
	v_add_co_u32_e64 v2, s[0:1], s16, v2
	v_addc_co_u32_e64 v3, s[0:1], v3, v7, s[0:1]
	s_cmp_gt_u32 s15, 2
	v_cmp_le_i32_e32 vcc, s7, v4
	s_cselect_b64 s[0:1], -1, 0
	s_or_b64 s[0:1], s[0:1], vcc
	s_and_b64 s[0:1], exec, s[0:1]
	v_add_u32_e32 v4, s14, v4
	s_mov_b32 s15, s17
	s_or_b64 s[4:5], s[0:1], s[4:5]
	s_waitcnt vmcnt(1)
	v_lshlrev_b32_e32 v8, 16, v12
	s_waitcnt vmcnt(0)
	v_lshlrev_b32_e32 v9, 16, v13
	v_fmac_f32_e32 v1, v9, v8
	s_andn2_b64 exec, exec, s[4:5]
	s_cbranch_execnz .LBB372_2
; %bb.3:
	s_or_b64 exec, exec, s[4:5]
.LBB372_4:
	s_or_b64 exec, exec, s[12:13]
	v_and_b32_e32 v3, 63, v0
	v_cmp_gt_u32_e32 vcc, 64, v0
	v_lshlrev_b32_e32 v2, 2, v3
	s_and_saveexec_b64 s[0:1], vcc
	s_cbranch_execz .LBB372_6
; %bb.5:
	v_mov_b32_e32 v4, 0
	ds_write_b32 v2, v4
.LBB372_6:
	s_or_b64 exec, exec, s[0:1]
	v_mbcnt_lo_u32_b32 v4, -1, 0
	v_mbcnt_hi_u32_b32 v6, -1, v4
	v_and_b32_e32 v7, 63, v6
	v_cmp_gt_u32_e64 s[0:1], 32, v7
	v_cndmask_b32_e64 v4, 0, 1, s[0:1]
	v_lshlrev_b32_e32 v4, 5, v4
	v_add_lshl_u32 v4, v4, v6, 2
	ds_bpermute_b32 v4, v4, v1
	v_cmp_gt_u32_e64 s[0:1], 48, v7
	v_cndmask_b32_e64 v5, 0, 1, s[0:1]
	v_lshlrev_b32_e32 v5, 4, v5
	v_cmp_gt_u32_e64 s[0:1], 56, v7
	s_waitcnt lgkmcnt(0)
	v_add_f32_e32 v1, v1, v4
	v_add_lshl_u32 v4, v5, v6, 2
	ds_bpermute_b32 v4, v4, v1
	v_cndmask_b32_e64 v5, 0, 1, s[0:1]
	v_lshlrev_b32_e32 v5, 3, v5
	v_cmp_gt_u32_e64 s[0:1], 60, v7
	s_waitcnt lgkmcnt(0)
	v_add_f32_e32 v1, v1, v4
	v_add_lshl_u32 v4, v5, v6, 2
	ds_bpermute_b32 v4, v4, v1
	v_cndmask_b32_e64 v5, 0, 1, s[0:1]
	v_lshlrev_b32_e32 v5, 2, v5
	v_cmp_gt_u32_e64 s[0:1], 62, v7
	v_cndmask_b32_e64 v8, 0, 1, s[0:1]
	s_waitcnt lgkmcnt(0)
	v_add_f32_e32 v1, v1, v4
	v_add_lshl_u32 v4, v5, v6, 2
	ds_bpermute_b32 v5, v4, v1
	v_lshlrev_b32_e32 v8, 1, v8
	v_cmp_ne_u32_e64 s[0:1], 63, v7
	s_barrier
	s_waitcnt lgkmcnt(0)
	v_add_f32_e32 v1, v1, v5
	v_add_lshl_u32 v5, v8, v6, 2
	ds_bpermute_b32 v8, v5, v1
	v_addc_co_u32_e64 v6, s[0:1], 0, v6, s[0:1]
	v_lshlrev_b32_e32 v6, 2, v6
	v_cmp_eq_u32_e64 s[0:1], 0, v3
	s_waitcnt lgkmcnt(0)
	v_add_f32_e32 v1, v1, v8
	ds_bpermute_b32 v7, v6, v1
	s_and_saveexec_b64 s[4:5], s[0:1]
	s_cbranch_execz .LBB372_8
; %bb.7:
	v_lshrrev_b32_e32 v3, 4, v0
	s_waitcnt lgkmcnt(0)
	v_add_f32_e32 v1, v1, v7
	v_and_b32_e32 v3, 28, v3
	ds_write_b32 v3, v1
.LBB372_8:
	s_or_b64 exec, exec, s[4:5]
	v_cmp_gt_u32_e64 s[0:1], 8, v0
	v_mov_b32_e32 v1, 0
	s_waitcnt lgkmcnt(0)
	s_barrier
	s_and_saveexec_b64 s[4:5], s[0:1]
	s_cbranch_execnz .LBB372_12
; %bb.9:
	s_or_b64 exec, exec, s[4:5]
	s_and_saveexec_b64 s[0:1], vcc
	s_cbranch_execnz .LBB372_13
.LBB372_10:
	s_or_b64 exec, exec, s[0:1]
	v_cmp_eq_u32_e32 vcc, 0, v0
	s_and_saveexec_b64 s[0:1], vcc
	s_cbranch_execnz .LBB372_14
.LBB372_11:
	s_endpgm
.LBB372_12:
	ds_read_b32 v1, v2
	s_or_b64 exec, exec, s[4:5]
	s_and_saveexec_b64 s[0:1], vcc
	s_cbranch_execz .LBB372_10
.LBB372_13:
	s_waitcnt lgkmcnt(0)
	ds_bpermute_b32 v2, v4, v1
	s_waitcnt lgkmcnt(0)
	v_add_f32_e32 v1, v1, v2
	ds_bpermute_b32 v2, v5, v1
	s_waitcnt lgkmcnt(0)
	v_add_f32_e32 v1, v1, v2
	;; [unrolled: 3-line block ×3, first 2 shown]
	s_or_b64 exec, exec, s[0:1]
	v_cmp_eq_u32_e32 vcc, 0, v0
	s_and_saveexec_b64 s[0:1], vcc
	s_cbranch_execz .LBB372_11
.LBB372_14:
	s_cmp_lg_u32 s18, 1
	s_cbranch_scc0 .LBB372_16
; %bb.15:
	s_mul_hi_u32 s1, s18, s2
	s_mul_i32 s0, s18, s2
	s_lshl_b64 s[0:1], s[0:1], 2
	s_mov_b32 s7, 0
	s_add_u32 s4, s8, s0
	s_addc_u32 s5, s9, s1
	s_lshl_b64 s[0:1], s[6:7], 2
	s_add_u32 s0, s4, s0
	s_addc_u32 s1, s5, s1
	s_cbranch_execz .LBB372_17
	s_branch .LBB372_18
.LBB372_16:
                                        ; implicit-def: $sgpr0_sgpr1
.LBB372_17:
	s_lshl_b64 s[0:1], s[2:3], 2
	s_add_u32 s0, s10, s0
	s_addc_u32 s1, s11, s1
.LBB372_18:
	v_mov_b32_e32 v0, 0
	s_waitcnt lgkmcnt(0)
	global_store_dword v0, v1, s[0:1]
	s_endpgm
	.section	.rodata,"a",@progbits
	.p2align	6, 0x0
	.amdhsa_kernel _ZL23rocblas_dot_kernel_inc1ILb0ELi512ELi4ELb0EfPKPK16rocblas_bfloat16fEviT4_llS5_lliPT5_PT3_
		.amdhsa_group_segment_fixed_size 256
		.amdhsa_private_segment_fixed_size 0
		.amdhsa_kernarg_size 336
		.amdhsa_user_sgpr_count 6
		.amdhsa_user_sgpr_private_segment_buffer 1
		.amdhsa_user_sgpr_dispatch_ptr 0
		.amdhsa_user_sgpr_queue_ptr 0
		.amdhsa_user_sgpr_kernarg_segment_ptr 1
		.amdhsa_user_sgpr_dispatch_id 0
		.amdhsa_user_sgpr_flat_scratch_init 0
		.amdhsa_user_sgpr_kernarg_preload_length 0
		.amdhsa_user_sgpr_kernarg_preload_offset 0
		.amdhsa_user_sgpr_private_segment_size 0
		.amdhsa_uses_dynamic_stack 0
		.amdhsa_system_sgpr_private_segment_wavefront_offset 0
		.amdhsa_system_sgpr_workgroup_id_x 1
		.amdhsa_system_sgpr_workgroup_id_y 0
		.amdhsa_system_sgpr_workgroup_id_z 1
		.amdhsa_system_sgpr_workgroup_info 0
		.amdhsa_system_vgpr_workitem_id 0
		.amdhsa_next_free_vgpr 14
		.amdhsa_next_free_sgpr 28
		.amdhsa_accum_offset 16
		.amdhsa_reserve_vcc 1
		.amdhsa_reserve_flat_scratch 0
		.amdhsa_float_round_mode_32 0
		.amdhsa_float_round_mode_16_64 0
		.amdhsa_float_denorm_mode_32 3
		.amdhsa_float_denorm_mode_16_64 3
		.amdhsa_dx10_clamp 1
		.amdhsa_ieee_mode 1
		.amdhsa_fp16_overflow 0
		.amdhsa_tg_split 0
		.amdhsa_exception_fp_ieee_invalid_op 0
		.amdhsa_exception_fp_denorm_src 0
		.amdhsa_exception_fp_ieee_div_zero 0
		.amdhsa_exception_fp_ieee_overflow 0
		.amdhsa_exception_fp_ieee_underflow 0
		.amdhsa_exception_fp_ieee_inexact 0
		.amdhsa_exception_int_div_zero 0
	.end_amdhsa_kernel
	.section	.text._ZL23rocblas_dot_kernel_inc1ILb0ELi512ELi4ELb0EfPKPK16rocblas_bfloat16fEviT4_llS5_lliPT5_PT3_,"axG",@progbits,_ZL23rocblas_dot_kernel_inc1ILb0ELi512ELi4ELb0EfPKPK16rocblas_bfloat16fEviT4_llS5_lliPT5_PT3_,comdat
.Lfunc_end372:
	.size	_ZL23rocblas_dot_kernel_inc1ILb0ELi512ELi4ELb0EfPKPK16rocblas_bfloat16fEviT4_llS5_lliPT5_PT3_, .Lfunc_end372-_ZL23rocblas_dot_kernel_inc1ILb0ELi512ELi4ELb0EfPKPK16rocblas_bfloat16fEviT4_llS5_lliPT5_PT3_
                                        ; -- End function
	.section	.AMDGPU.csdata,"",@progbits
; Kernel info:
; codeLenInByte = 904
; NumSgprs: 32
; NumVgprs: 14
; NumAgprs: 0
; TotalNumVgprs: 14
; ScratchSize: 0
; MemoryBound: 0
; FloatMode: 240
; IeeeMode: 1
; LDSByteSize: 256 bytes/workgroup (compile time only)
; SGPRBlocks: 3
; VGPRBlocks: 1
; NumSGPRsForWavesPerEU: 32
; NumVGPRsForWavesPerEU: 14
; AccumOffset: 16
; Occupancy: 8
; WaveLimiterHint : 1
; COMPUTE_PGM_RSRC2:SCRATCH_EN: 0
; COMPUTE_PGM_RSRC2:USER_SGPR: 6
; COMPUTE_PGM_RSRC2:TRAP_HANDLER: 0
; COMPUTE_PGM_RSRC2:TGID_X_EN: 1
; COMPUTE_PGM_RSRC2:TGID_Y_EN: 0
; COMPUTE_PGM_RSRC2:TGID_Z_EN: 1
; COMPUTE_PGM_RSRC2:TIDIG_COMP_CNT: 0
; COMPUTE_PGM_RSRC3_GFX90A:ACCUM_OFFSET: 3
; COMPUTE_PGM_RSRC3_GFX90A:TG_SPLIT: 0
	.section	.text._ZL18rocblas_dot_kernelIlLb0ELi512ELi4ELb0EfPKPK16rocblas_bfloat16fEviT5_lT_lS5_lS6_liPT6_PT4_,"axG",@progbits,_ZL18rocblas_dot_kernelIlLb0ELi512ELi4ELb0EfPKPK16rocblas_bfloat16fEviT5_lT_lS5_lS6_liPT6_PT4_,comdat
	.globl	_ZL18rocblas_dot_kernelIlLb0ELi512ELi4ELb0EfPKPK16rocblas_bfloat16fEviT5_lT_lS5_lS6_liPT6_PT4_ ; -- Begin function _ZL18rocblas_dot_kernelIlLb0ELi512ELi4ELb0EfPKPK16rocblas_bfloat16fEviT5_lT_lS5_lS6_liPT6_PT4_
	.p2align	8
	.type	_ZL18rocblas_dot_kernelIlLb0ELi512ELi4ELb0EfPKPK16rocblas_bfloat16fEviT5_lT_lS5_lS6_liPT6_PT4_,@function
_ZL18rocblas_dot_kernelIlLb0ELi512ELi4ELb0EfPKPK16rocblas_bfloat16fEviT5_lT_lS5_lS6_liPT6_PT4_: ; @_ZL18rocblas_dot_kernelIlLb0ELi512ELi4ELb0EfPKPK16rocblas_bfloat16fEviT5_lT_lS5_lS6_liPT6_PT4_
; %bb.0:
	s_mov_b32 s16, s7
	s_load_dword s20, s[4:5], 0x60
	s_load_dword s7, s[4:5], 0x0
	s_load_dwordx4 s[8:11], s[4:5], 0x50
	v_lshl_or_b32 v4, s6, 9, v0
	s_mov_b32 s17, 0
	v_mov_b32_e32 v6, 0
	s_waitcnt lgkmcnt(0)
	v_cmp_gt_i32_e32 vcc, s7, v4
	s_and_saveexec_b64 s[18:19], vcc
	s_cbranch_execz .LBB373_4
; %bb.1:
	s_load_dwordx2 s[22:23], s[4:5], 0x8
	s_load_dwordx4 s[12:15], s[4:5], 0x10
	s_load_dwordx2 s[24:25], s[4:5], 0x28
	s_load_dwordx4 s[0:3], s[4:5], 0x30
	s_lshl_b64 s[4:5], s[16:17], 3
	s_waitcnt lgkmcnt(0)
	s_add_u32 s22, s22, s4
	s_addc_u32 s23, s23, s5
	s_load_dwordx2 s[22:23], s[22:23], 0x0
	s_add_u32 s4, s24, s4
	s_addc_u32 s5, s25, s5
	s_load_dwordx2 s[24:25], s[4:5], 0x0
	v_ashrrev_i32_e32 v5, 31, v4
	v_mad_u64_u32 v[2:3], s[4:5], s14, v4, 0
	s_lshl_b32 s21, s20, 9
	v_mul_lo_u32 v6, s15, v4
	v_mul_lo_u32 v7, s14, v5
	s_lshl_b64 s[4:5], s[12:13], 1
	v_add3_u32 v3, v3, v7, v6
	s_waitcnt lgkmcnt(0)
	s_add_u32 s4, s22, s4
	v_lshlrev_b64 v[2:3], 1, v[2:3]
	s_addc_u32 s5, s23, s5
	s_ashr_i32 s22, s21, 31
	v_mov_b32_e32 v6, s5
	v_add_co_u32_e32 v2, vcc, s4, v2
	s_mul_i32 s4, s14, s22
	s_mul_hi_u32 s5, s14, s21
	s_add_i32 s4, s5, s4
	s_mul_i32 s5, s15, s21
	s_add_i32 s5, s4, s5
	s_mul_i32 s4, s14, s21
	v_add_u32_e32 v1, s21, v4
	v_addc_co_u32_e32 v3, vcc, v6, v3, vcc
	s_lshl_b64 s[4:5], s[4:5], 1
	v_mul_lo_u32 v6, s3, v4
	v_mul_lo_u32 v7, s2, v5
	v_mad_u64_u32 v[4:5], s[12:13], s2, v4, 0
	s_lshl_b64 s[0:1], s[0:1], 1
	v_add3_u32 v5, v5, v7, v6
	s_add_u32 s0, s24, s0
	v_lshlrev_b64 v[4:5], 1, v[4:5]
	s_addc_u32 s1, s25, s1
	v_mov_b32_e32 v6, s1
	v_add_co_u32_e32 v4, vcc, s0, v4
	s_mul_i32 s0, s2, s22
	s_mul_hi_u32 s1, s2, s21
	s_add_i32 s0, s1, s0
	s_mul_i32 s1, s3, s21
	s_add_i32 s1, s0, s1
	s_mul_i32 s0, s2, s21
	s_lshl_b64 s[12:13], s[0:1], 1
	v_addc_co_u32_e32 v5, vcc, v6, v5, vcc
	s_mov_b64 s[2:3], 0
	v_mov_b32_e32 v6, 0
	v_mov_b32_e32 v7, s5
	;; [unrolled: 1-line block ×3, first 2 shown]
	s_mov_b32 s5, s17
.LBB373_2:                              ; =>This Inner Loop Header: Depth=1
	global_load_ushort v9, v[4:5], off
	global_load_ushort v10, v[2:3], off
	v_add_co_u32_e64 v2, s[0:1], s4, v2
	v_addc_co_u32_e64 v3, s[0:1], v3, v7, s[0:1]
	s_add_i32 s13, s5, 1
	v_add_co_u32_e64 v4, s[0:1], s12, v4
	v_addc_co_u32_e64 v5, s[0:1], v5, v8, s[0:1]
	s_cmp_gt_u32 s5, 2
	v_cmp_le_i32_e32 vcc, s7, v1
	s_cselect_b64 s[0:1], -1, 0
	s_or_b64 s[0:1], s[0:1], vcc
	s_and_b64 s[0:1], exec, s[0:1]
	v_add_u32_e32 v1, s21, v1
	s_mov_b32 s5, s13
	s_or_b64 s[2:3], s[0:1], s[2:3]
	s_waitcnt vmcnt(1)
	v_lshlrev_b32_e32 v9, 16, v9
	s_waitcnt vmcnt(0)
	v_lshlrev_b32_e32 v10, 16, v10
	v_fmac_f32_e32 v6, v10, v9
	s_andn2_b64 exec, exec, s[2:3]
	s_cbranch_execnz .LBB373_2
; %bb.3:
	s_or_b64 exec, exec, s[2:3]
.LBB373_4:
	s_or_b64 exec, exec, s[18:19]
	v_and_b32_e32 v2, 63, v0
	v_cmp_gt_u32_e32 vcc, 64, v0
	v_lshlrev_b32_e32 v1, 2, v2
	s_and_saveexec_b64 s[0:1], vcc
	s_cbranch_execz .LBB373_6
; %bb.5:
	v_mov_b32_e32 v3, 0
	ds_write_b32 v1, v3
.LBB373_6:
	s_or_b64 exec, exec, s[0:1]
	v_mbcnt_lo_u32_b32 v3, -1, 0
	v_mbcnt_hi_u32_b32 v5, -1, v3
	v_and_b32_e32 v7, 63, v5
	v_cmp_gt_u32_e64 s[0:1], 32, v7
	v_cndmask_b32_e64 v3, 0, 1, s[0:1]
	v_lshlrev_b32_e32 v3, 5, v3
	v_add_lshl_u32 v3, v3, v5, 2
	ds_bpermute_b32 v3, v3, v6
	v_cmp_gt_u32_e64 s[0:1], 48, v7
	v_cndmask_b32_e64 v4, 0, 1, s[0:1]
	v_lshlrev_b32_e32 v4, 4, v4
	v_add_lshl_u32 v4, v4, v5, 2
	s_waitcnt lgkmcnt(0)
	v_add_f32_e32 v3, v6, v3
	ds_bpermute_b32 v4, v4, v3
	v_cmp_gt_u32_e64 s[0:1], 56, v7
	v_cndmask_b32_e64 v6, 0, 1, s[0:1]
	v_lshlrev_b32_e32 v6, 3, v6
	v_cmp_gt_u32_e64 s[0:1], 60, v7
	s_waitcnt lgkmcnt(0)
	v_add_f32_e32 v3, v3, v4
	v_add_lshl_u32 v4, v6, v5, 2
	ds_bpermute_b32 v4, v4, v3
	v_cndmask_b32_e64 v6, 0, 1, s[0:1]
	v_lshlrev_b32_e32 v6, 2, v6
	v_cmp_gt_u32_e64 s[0:1], 62, v7
	v_cndmask_b32_e64 v8, 0, 1, s[0:1]
	s_waitcnt lgkmcnt(0)
	v_add_f32_e32 v4, v3, v4
	v_add_lshl_u32 v3, v6, v5, 2
	ds_bpermute_b32 v6, v3, v4
	v_lshlrev_b32_e32 v8, 1, v8
	v_cmp_ne_u32_e64 s[0:1], 63, v7
	s_waitcnt lgkmcnt(0)
	s_barrier
	v_add_f32_e32 v6, v4, v6
	v_add_lshl_u32 v4, v8, v5, 2
	ds_bpermute_b32 v8, v4, v6
	v_addc_co_u32_e64 v5, s[0:1], 0, v5, s[0:1]
	v_lshlrev_b32_e32 v5, 2, v5
	v_cmp_eq_u32_e64 s[0:1], 0, v2
	s_waitcnt lgkmcnt(0)
	v_add_f32_e32 v6, v6, v8
	ds_bpermute_b32 v7, v5, v6
	s_waitcnt lgkmcnt(0)
	s_and_saveexec_b64 s[2:3], s[0:1]
	s_cbranch_execz .LBB373_8
; %bb.7:
	v_add_f32_e32 v2, v6, v7
	v_lshrrev_b32_e32 v6, 4, v0
	v_and_b32_e32 v6, 28, v6
	ds_write_b32 v6, v2
.LBB373_8:
	s_or_b64 exec, exec, s[2:3]
	v_cmp_gt_u32_e64 s[0:1], 8, v0
	v_mov_b32_e32 v2, 0
	s_waitcnt lgkmcnt(0)
	s_barrier
	s_and_saveexec_b64 s[2:3], s[0:1]
	s_cbranch_execnz .LBB373_12
; %bb.9:
	s_or_b64 exec, exec, s[2:3]
	s_and_saveexec_b64 s[0:1], vcc
	s_cbranch_execnz .LBB373_13
.LBB373_10:
	s_or_b64 exec, exec, s[0:1]
	v_cmp_eq_u32_e32 vcc, 0, v0
	s_and_saveexec_b64 s[0:1], vcc
	s_cbranch_execnz .LBB373_14
.LBB373_11:
	s_endpgm
.LBB373_12:
	ds_read_b32 v2, v1
	s_or_b64 exec, exec, s[2:3]
	s_and_saveexec_b64 s[0:1], vcc
	s_cbranch_execz .LBB373_10
.LBB373_13:
	s_waitcnt lgkmcnt(0)
	ds_bpermute_b32 v1, v3, v2
	s_waitcnt lgkmcnt(0)
	v_add_f32_e32 v1, v2, v1
	ds_bpermute_b32 v2, v4, v1
	s_waitcnt lgkmcnt(0)
	v_add_f32_e32 v1, v1, v2
	;; [unrolled: 3-line block ×3, first 2 shown]
	s_or_b64 exec, exec, s[0:1]
	v_cmp_eq_u32_e32 vcc, 0, v0
	s_and_saveexec_b64 s[0:1], vcc
	s_cbranch_execz .LBB373_11
.LBB373_14:
	s_cmp_lg_u32 s20, 1
	s_cbranch_scc0 .LBB373_16
; %bb.15:
	s_mul_hi_u32 s1, s20, s16
	s_mul_i32 s0, s20, s16
	s_lshl_b64 s[0:1], s[0:1], 2
	s_mov_b32 s7, 0
	s_add_u32 s2, s8, s0
	s_addc_u32 s3, s9, s1
	s_lshl_b64 s[0:1], s[6:7], 2
	s_add_u32 s0, s2, s0
	s_addc_u32 s1, s3, s1
	s_cbranch_execz .LBB373_17
	s_branch .LBB373_18
.LBB373_16:
                                        ; implicit-def: $sgpr0_sgpr1
.LBB373_17:
	s_lshl_b64 s[0:1], s[16:17], 2
	s_add_u32 s0, s10, s0
	s_addc_u32 s1, s11, s1
.LBB373_18:
	v_mov_b32_e32 v0, 0
	s_waitcnt lgkmcnt(0)
	global_store_dword v0, v2, s[0:1]
	s_endpgm
	.section	.rodata,"a",@progbits
	.p2align	6, 0x0
	.amdhsa_kernel _ZL18rocblas_dot_kernelIlLb0ELi512ELi4ELb0EfPKPK16rocblas_bfloat16fEviT5_lT_lS5_lS6_liPT6_PT4_
		.amdhsa_group_segment_fixed_size 256
		.amdhsa_private_segment_fixed_size 0
		.amdhsa_kernarg_size 352
		.amdhsa_user_sgpr_count 6
		.amdhsa_user_sgpr_private_segment_buffer 1
		.amdhsa_user_sgpr_dispatch_ptr 0
		.amdhsa_user_sgpr_queue_ptr 0
		.amdhsa_user_sgpr_kernarg_segment_ptr 1
		.amdhsa_user_sgpr_dispatch_id 0
		.amdhsa_user_sgpr_flat_scratch_init 0
		.amdhsa_user_sgpr_kernarg_preload_length 0
		.amdhsa_user_sgpr_kernarg_preload_offset 0
		.amdhsa_user_sgpr_private_segment_size 0
		.amdhsa_uses_dynamic_stack 0
		.amdhsa_system_sgpr_private_segment_wavefront_offset 0
		.amdhsa_system_sgpr_workgroup_id_x 1
		.amdhsa_system_sgpr_workgroup_id_y 0
		.amdhsa_system_sgpr_workgroup_id_z 1
		.amdhsa_system_sgpr_workgroup_info 0
		.amdhsa_system_vgpr_workitem_id 0
		.amdhsa_next_free_vgpr 11
		.amdhsa_next_free_sgpr 26
		.amdhsa_accum_offset 12
		.amdhsa_reserve_vcc 1
		.amdhsa_reserve_flat_scratch 0
		.amdhsa_float_round_mode_32 0
		.amdhsa_float_round_mode_16_64 0
		.amdhsa_float_denorm_mode_32 3
		.amdhsa_float_denorm_mode_16_64 3
		.amdhsa_dx10_clamp 1
		.amdhsa_ieee_mode 1
		.amdhsa_fp16_overflow 0
		.amdhsa_tg_split 0
		.amdhsa_exception_fp_ieee_invalid_op 0
		.amdhsa_exception_fp_denorm_src 0
		.amdhsa_exception_fp_ieee_div_zero 0
		.amdhsa_exception_fp_ieee_overflow 0
		.amdhsa_exception_fp_ieee_underflow 0
		.amdhsa_exception_fp_ieee_inexact 0
		.amdhsa_exception_int_div_zero 0
	.end_amdhsa_kernel
	.section	.text._ZL18rocblas_dot_kernelIlLb0ELi512ELi4ELb0EfPKPK16rocblas_bfloat16fEviT5_lT_lS5_lS6_liPT6_PT4_,"axG",@progbits,_ZL18rocblas_dot_kernelIlLb0ELi512ELi4ELb0EfPKPK16rocblas_bfloat16fEviT5_lT_lS5_lS6_liPT6_PT4_,comdat
.Lfunc_end373:
	.size	_ZL18rocblas_dot_kernelIlLb0ELi512ELi4ELb0EfPKPK16rocblas_bfloat16fEviT5_lT_lS5_lS6_liPT6_PT4_, .Lfunc_end373-_ZL18rocblas_dot_kernelIlLb0ELi512ELi4ELb0EfPKPK16rocblas_bfloat16fEviT5_lT_lS5_lS6_liPT6_PT4_
                                        ; -- End function
	.section	.AMDGPU.csdata,"",@progbits
; Kernel info:
; codeLenInByte = 1060
; NumSgprs: 30
; NumVgprs: 11
; NumAgprs: 0
; TotalNumVgprs: 11
; ScratchSize: 0
; MemoryBound: 0
; FloatMode: 240
; IeeeMode: 1
; LDSByteSize: 256 bytes/workgroup (compile time only)
; SGPRBlocks: 3
; VGPRBlocks: 1
; NumSGPRsForWavesPerEU: 30
; NumVGPRsForWavesPerEU: 11
; AccumOffset: 12
; Occupancy: 8
; WaveLimiterHint : 0
; COMPUTE_PGM_RSRC2:SCRATCH_EN: 0
; COMPUTE_PGM_RSRC2:USER_SGPR: 6
; COMPUTE_PGM_RSRC2:TRAP_HANDLER: 0
; COMPUTE_PGM_RSRC2:TGID_X_EN: 1
; COMPUTE_PGM_RSRC2:TGID_Y_EN: 0
; COMPUTE_PGM_RSRC2:TGID_Z_EN: 1
; COMPUTE_PGM_RSRC2:TIDIG_COMP_CNT: 0
; COMPUTE_PGM_RSRC3_GFX90A:ACCUM_OFFSET: 2
; COMPUTE_PGM_RSRC3_GFX90A:TG_SPLIT: 0
	.section	.text._ZL24rocblas_dot_kernel_magsqIlLb0ELi512ELi4ELb0EfPKPK16rocblas_bfloat16fEviT5_lT_liPT6_PT4_,"axG",@progbits,_ZL24rocblas_dot_kernel_magsqIlLb0ELi512ELi4ELb0EfPKPK16rocblas_bfloat16fEviT5_lT_liPT6_PT4_,comdat
	.globl	_ZL24rocblas_dot_kernel_magsqIlLb0ELi512ELi4ELb0EfPKPK16rocblas_bfloat16fEviT5_lT_liPT6_PT4_ ; -- Begin function _ZL24rocblas_dot_kernel_magsqIlLb0ELi512ELi4ELb0EfPKPK16rocblas_bfloat16fEviT5_lT_liPT6_PT4_
	.p2align	8
	.type	_ZL24rocblas_dot_kernel_magsqIlLb0ELi512ELi4ELb0EfPKPK16rocblas_bfloat16fEviT5_lT_liPT6_PT4_,@function
_ZL24rocblas_dot_kernel_magsqIlLb0ELi512ELi4ELb0EfPKPK16rocblas_bfloat16fEviT5_lT_liPT6_PT4_: ; @_ZL24rocblas_dot_kernel_magsqIlLb0ELi512ELi4ELb0EfPKPK16rocblas_bfloat16fEviT5_lT_liPT6_PT4_
; %bb.0:
	s_mov_b32 s2, s7
	s_load_dword s7, s[4:5], 0x0
	s_load_dwordx4 s[8:11], s[4:5], 0x30
	s_load_dword s16, s[4:5], 0x40
	v_lshl_or_b32 v2, s6, 9, v0
	s_mov_b32 s3, 0
	s_waitcnt lgkmcnt(0)
	v_cmp_gt_i32_e32 vcc, s7, v2
	v_mov_b32_e32 v1, 0
	s_and_saveexec_b64 s[12:13], vcc
	s_cbranch_execz .LBB374_4
; %bb.1:
	s_load_dwordx2 s[0:1], s[4:5], 0x8
	s_load_dwordx4 s[20:23], s[4:5], 0x10
	s_lshl_b64 s[4:5], s[2:3], 3
	v_ashrrev_i32_e32 v1, 31, v2
	s_waitcnt lgkmcnt(0)
	s_add_u32 s0, s0, s4
	s_addc_u32 s1, s1, s5
	s_load_dwordx2 s[0:1], s[0:1], 0x0
	s_lshl_b32 s17, s16, 9
	v_add_u32_e32 v4, s17, v2
	v_mul_lo_u32 v5, s23, v2
	v_mul_lo_u32 v1, s22, v1
	v_mad_u64_u32 v[2:3], s[4:5], s22, v2, 0
	v_add3_u32 v3, v3, v1, v5
	s_lshl_b64 s[4:5], s[20:21], 1
	v_lshlrev_b64 v[2:3], 1, v[2:3]
	s_waitcnt lgkmcnt(0)
	s_add_u32 s0, s0, s4
	s_addc_u32 s1, s1, s5
	v_add_co_u32_e32 v2, vcc, s0, v2
	s_ashr_i32 s0, s17, 31
	v_mov_b32_e32 v1, s1
	s_mul_i32 s0, s22, s0
	s_mul_hi_u32 s1, s22, s17
	s_add_i32 s0, s1, s0
	s_mul_i32 s1, s23, s17
	s_add_i32 s1, s0, s1
	s_mul_i32 s0, s22, s17
	s_lshl_b64 s[14:15], s[0:1], 1
	v_addc_co_u32_e32 v3, vcc, v1, v3, vcc
	s_mov_b64 s[4:5], 0
	v_mov_b32_e32 v1, 0
	v_mov_b32_e32 v5, s15
	s_mov_b32 s15, s3
.LBB374_2:                              ; =>This Inner Loop Header: Depth=1
	global_load_ushort v6, v[2:3], off
	s_add_i32 s18, s15, 1
	v_add_co_u32_e64 v2, s[0:1], s14, v2
	v_addc_co_u32_e64 v3, s[0:1], v3, v5, s[0:1]
	s_cmp_gt_u32 s15, 2
	v_cmp_le_i32_e32 vcc, s7, v4
	s_cselect_b64 s[0:1], -1, 0
	s_or_b64 s[0:1], s[0:1], vcc
	s_and_b64 s[0:1], exec, s[0:1]
	v_add_u32_e32 v4, s17, v4
	s_mov_b32 s15, s18
	s_or_b64 s[4:5], s[0:1], s[4:5]
	s_waitcnt vmcnt(0)
	v_lshlrev_b32_e32 v6, 16, v6
	v_fmac_f32_e32 v1, v6, v6
	s_andn2_b64 exec, exec, s[4:5]
	s_cbranch_execnz .LBB374_2
; %bb.3:
	s_or_b64 exec, exec, s[4:5]
.LBB374_4:
	s_or_b64 exec, exec, s[12:13]
	v_and_b32_e32 v3, 63, v0
	v_cmp_gt_u32_e32 vcc, 64, v0
	v_lshlrev_b32_e32 v2, 2, v3
	s_and_saveexec_b64 s[0:1], vcc
	s_cbranch_execz .LBB374_6
; %bb.5:
	v_mov_b32_e32 v4, 0
	ds_write_b32 v2, v4
.LBB374_6:
	s_or_b64 exec, exec, s[0:1]
	v_mbcnt_lo_u32_b32 v4, -1, 0
	v_mbcnt_hi_u32_b32 v6, -1, v4
	v_and_b32_e32 v7, 63, v6
	v_cmp_gt_u32_e64 s[0:1], 32, v7
	v_cndmask_b32_e64 v4, 0, 1, s[0:1]
	v_lshlrev_b32_e32 v4, 5, v4
	v_add_lshl_u32 v4, v4, v6, 2
	ds_bpermute_b32 v4, v4, v1
	v_cmp_gt_u32_e64 s[0:1], 48, v7
	v_cndmask_b32_e64 v5, 0, 1, s[0:1]
	v_lshlrev_b32_e32 v5, 4, v5
	v_cmp_gt_u32_e64 s[0:1], 56, v7
	s_waitcnt lgkmcnt(0)
	v_add_f32_e32 v1, v1, v4
	v_add_lshl_u32 v4, v5, v6, 2
	ds_bpermute_b32 v4, v4, v1
	v_cndmask_b32_e64 v5, 0, 1, s[0:1]
	v_lshlrev_b32_e32 v5, 3, v5
	v_cmp_gt_u32_e64 s[0:1], 60, v7
	s_waitcnt lgkmcnt(0)
	v_add_f32_e32 v1, v1, v4
	v_add_lshl_u32 v4, v5, v6, 2
	ds_bpermute_b32 v4, v4, v1
	v_cndmask_b32_e64 v5, 0, 1, s[0:1]
	v_lshlrev_b32_e32 v5, 2, v5
	v_cmp_gt_u32_e64 s[0:1], 62, v7
	v_cndmask_b32_e64 v8, 0, 1, s[0:1]
	s_waitcnt lgkmcnt(0)
	v_add_f32_e32 v1, v1, v4
	v_add_lshl_u32 v4, v5, v6, 2
	ds_bpermute_b32 v5, v4, v1
	v_lshlrev_b32_e32 v8, 1, v8
	v_cmp_ne_u32_e64 s[0:1], 63, v7
	s_barrier
	s_waitcnt lgkmcnt(0)
	v_add_f32_e32 v1, v1, v5
	v_add_lshl_u32 v5, v8, v6, 2
	ds_bpermute_b32 v8, v5, v1
	v_addc_co_u32_e64 v6, s[0:1], 0, v6, s[0:1]
	v_lshlrev_b32_e32 v6, 2, v6
	v_cmp_eq_u32_e64 s[0:1], 0, v3
	s_waitcnt lgkmcnt(0)
	v_add_f32_e32 v1, v1, v8
	ds_bpermute_b32 v7, v6, v1
	s_and_saveexec_b64 s[4:5], s[0:1]
	s_cbranch_execz .LBB374_8
; %bb.7:
	v_lshrrev_b32_e32 v3, 4, v0
	s_waitcnt lgkmcnt(0)
	v_add_f32_e32 v1, v1, v7
	v_and_b32_e32 v3, 28, v3
	ds_write_b32 v3, v1
.LBB374_8:
	s_or_b64 exec, exec, s[4:5]
	v_cmp_gt_u32_e64 s[0:1], 8, v0
	v_mov_b32_e32 v1, 0
	s_waitcnt lgkmcnt(0)
	s_barrier
	s_and_saveexec_b64 s[4:5], s[0:1]
	s_cbranch_execnz .LBB374_12
; %bb.9:
	s_or_b64 exec, exec, s[4:5]
	s_and_saveexec_b64 s[0:1], vcc
	s_cbranch_execnz .LBB374_13
.LBB374_10:
	s_or_b64 exec, exec, s[0:1]
	v_cmp_eq_u32_e32 vcc, 0, v0
	s_and_saveexec_b64 s[0:1], vcc
	s_cbranch_execnz .LBB374_14
.LBB374_11:
	s_endpgm
.LBB374_12:
	ds_read_b32 v1, v2
	s_or_b64 exec, exec, s[4:5]
	s_and_saveexec_b64 s[0:1], vcc
	s_cbranch_execz .LBB374_10
.LBB374_13:
	s_waitcnt lgkmcnt(0)
	ds_bpermute_b32 v2, v4, v1
	s_waitcnt lgkmcnt(0)
	v_add_f32_e32 v1, v1, v2
	ds_bpermute_b32 v2, v5, v1
	s_waitcnt lgkmcnt(0)
	v_add_f32_e32 v1, v1, v2
	;; [unrolled: 3-line block ×3, first 2 shown]
	s_or_b64 exec, exec, s[0:1]
	v_cmp_eq_u32_e32 vcc, 0, v0
	s_and_saveexec_b64 s[0:1], vcc
	s_cbranch_execz .LBB374_11
.LBB374_14:
	s_cmp_lg_u32 s16, 1
	s_cbranch_scc0 .LBB374_16
; %bb.15:
	s_mul_hi_u32 s1, s16, s2
	s_mul_i32 s0, s16, s2
	s_lshl_b64 s[0:1], s[0:1], 2
	s_mov_b32 s7, 0
	s_add_u32 s4, s8, s0
	s_addc_u32 s5, s9, s1
	s_lshl_b64 s[0:1], s[6:7], 2
	s_add_u32 s0, s4, s0
	s_addc_u32 s1, s5, s1
	s_cbranch_execz .LBB374_17
	s_branch .LBB374_18
.LBB374_16:
                                        ; implicit-def: $sgpr0_sgpr1
.LBB374_17:
	s_lshl_b64 s[0:1], s[2:3], 2
	s_add_u32 s0, s10, s0
	s_addc_u32 s1, s11, s1
.LBB374_18:
	v_mov_b32_e32 v0, 0
	s_waitcnt lgkmcnt(0)
	global_store_dword v0, v1, s[0:1]
	s_endpgm
	.section	.rodata,"a",@progbits
	.p2align	6, 0x0
	.amdhsa_kernel _ZL24rocblas_dot_kernel_magsqIlLb0ELi512ELi4ELb0EfPKPK16rocblas_bfloat16fEviT5_lT_liPT6_PT4_
		.amdhsa_group_segment_fixed_size 256
		.amdhsa_private_segment_fixed_size 0
		.amdhsa_kernarg_size 320
		.amdhsa_user_sgpr_count 6
		.amdhsa_user_sgpr_private_segment_buffer 1
		.amdhsa_user_sgpr_dispatch_ptr 0
		.amdhsa_user_sgpr_queue_ptr 0
		.amdhsa_user_sgpr_kernarg_segment_ptr 1
		.amdhsa_user_sgpr_dispatch_id 0
		.amdhsa_user_sgpr_flat_scratch_init 0
		.amdhsa_user_sgpr_kernarg_preload_length 0
		.amdhsa_user_sgpr_kernarg_preload_offset 0
		.amdhsa_user_sgpr_private_segment_size 0
		.amdhsa_uses_dynamic_stack 0
		.amdhsa_system_sgpr_private_segment_wavefront_offset 0
		.amdhsa_system_sgpr_workgroup_id_x 1
		.amdhsa_system_sgpr_workgroup_id_y 0
		.amdhsa_system_sgpr_workgroup_id_z 1
		.amdhsa_system_sgpr_workgroup_info 0
		.amdhsa_system_vgpr_workitem_id 0
		.amdhsa_next_free_vgpr 9
		.amdhsa_next_free_sgpr 24
		.amdhsa_accum_offset 12
		.amdhsa_reserve_vcc 1
		.amdhsa_reserve_flat_scratch 0
		.amdhsa_float_round_mode_32 0
		.amdhsa_float_round_mode_16_64 0
		.amdhsa_float_denorm_mode_32 3
		.amdhsa_float_denorm_mode_16_64 3
		.amdhsa_dx10_clamp 1
		.amdhsa_ieee_mode 1
		.amdhsa_fp16_overflow 0
		.amdhsa_tg_split 0
		.amdhsa_exception_fp_ieee_invalid_op 0
		.amdhsa_exception_fp_denorm_src 0
		.amdhsa_exception_fp_ieee_div_zero 0
		.amdhsa_exception_fp_ieee_overflow 0
		.amdhsa_exception_fp_ieee_underflow 0
		.amdhsa_exception_fp_ieee_inexact 0
		.amdhsa_exception_int_div_zero 0
	.end_amdhsa_kernel
	.section	.text._ZL24rocblas_dot_kernel_magsqIlLb0ELi512ELi4ELb0EfPKPK16rocblas_bfloat16fEviT5_lT_liPT6_PT4_,"axG",@progbits,_ZL24rocblas_dot_kernel_magsqIlLb0ELi512ELi4ELb0EfPKPK16rocblas_bfloat16fEviT5_lT_liPT6_PT4_,comdat
.Lfunc_end374:
	.size	_ZL24rocblas_dot_kernel_magsqIlLb0ELi512ELi4ELb0EfPKPK16rocblas_bfloat16fEviT5_lT_liPT6_PT4_, .Lfunc_end374-_ZL24rocblas_dot_kernel_magsqIlLb0ELi512ELi4ELb0EfPKPK16rocblas_bfloat16fEviT5_lT_liPT6_PT4_
                                        ; -- End function
	.section	.AMDGPU.csdata,"",@progbits
; Kernel info:
; codeLenInByte = 900
; NumSgprs: 28
; NumVgprs: 9
; NumAgprs: 0
; TotalNumVgprs: 9
; ScratchSize: 0
; MemoryBound: 0
; FloatMode: 240
; IeeeMode: 1
; LDSByteSize: 256 bytes/workgroup (compile time only)
; SGPRBlocks: 3
; VGPRBlocks: 1
; NumSGPRsForWavesPerEU: 28
; NumVGPRsForWavesPerEU: 9
; AccumOffset: 12
; Occupancy: 8
; WaveLimiterHint : 0
; COMPUTE_PGM_RSRC2:SCRATCH_EN: 0
; COMPUTE_PGM_RSRC2:USER_SGPR: 6
; COMPUTE_PGM_RSRC2:TRAP_HANDLER: 0
; COMPUTE_PGM_RSRC2:TGID_X_EN: 1
; COMPUTE_PGM_RSRC2:TGID_Y_EN: 0
; COMPUTE_PGM_RSRC2:TGID_Z_EN: 1
; COMPUTE_PGM_RSRC2:TIDIG_COMP_CNT: 0
; COMPUTE_PGM_RSRC3_GFX90A:ACCUM_OFFSET: 2
; COMPUTE_PGM_RSRC3_GFX90A:TG_SPLIT: 0
	.section	.text._ZL28rocblas_dot_batched_4_kernelIiLi32ELi4ELb0EfDF16_PKDF16_EviT5_lT_lS2_lS3_liPT4_,"axG",@progbits,_ZL28rocblas_dot_batched_4_kernelIiLi32ELi4ELb0EfDF16_PKDF16_EviT5_lT_lS2_lS3_liPT4_,comdat
	.globl	_ZL28rocblas_dot_batched_4_kernelIiLi32ELi4ELb0EfDF16_PKDF16_EviT5_lT_lS2_lS3_liPT4_ ; -- Begin function _ZL28rocblas_dot_batched_4_kernelIiLi32ELi4ELb0EfDF16_PKDF16_EviT5_lT_lS2_lS3_liPT4_
	.p2align	8
	.type	_ZL28rocblas_dot_batched_4_kernelIiLi32ELi4ELb0EfDF16_PKDF16_EviT5_lT_lS2_lS3_liPT4_,@function
_ZL28rocblas_dot_batched_4_kernelIiLi32ELi4ELb0EfDF16_PKDF16_EviT5_lT_lS2_lS3_liPT4_: ; @_ZL28rocblas_dot_batched_4_kernelIiLi32ELi4ELb0EfDF16_PKDF16_EviT5_lT_lS2_lS3_liPT4_
; %bb.0:
	s_load_dword s0, s[4:5], 0x48
	v_bfe_u32 v1, v0, 10, 10
	v_lshl_add_u32 v2, s6, 2, v1
	s_waitcnt lgkmcnt(0)
	v_cmp_gt_u32_e32 vcc, s0, v2
	s_and_saveexec_b64 s[0:1], vcc
	s_cbranch_execz .LBB375_7
; %bb.1:
	s_load_dword s10, s[4:5], 0x0
	s_load_dwordx2 s[0:1], s[4:5], 0x50
	v_mov_b32_e32 v3, 0
	v_and_b32_e32 v6, 0x3ff, v0
	v_mov_b32_e32 v7, v3
	s_waitcnt lgkmcnt(0)
	v_cmp_gt_i32_e32 vcc, s10, v6
	s_and_saveexec_b64 s[2:3], vcc
	s_cbranch_execz .LBB375_5
; %bb.2:
	s_load_dwordx4 s[12:15], s[4:5], 0x8
	s_load_dword s6, s[4:5], 0x18
	s_load_dword s8, s[4:5], 0x38
	s_load_dwordx4 s[16:19], s[4:5], 0x20
	s_load_dwordx2 s[20:21], s[4:5], 0x30
	s_load_dwordx2 s[22:23], s[4:5], 0x40
	s_waitcnt lgkmcnt(0)
	v_mad_i64_i32 v[0:1], s[4:5], s6, v6, 0
	v_mad_u64_u32 v[4:5], s[4:5], s16, v2, 0
	v_mov_b32_e32 v8, v5
	v_mad_u64_u32 v[8:9], s[4:5], s17, v2, v[8:9]
	v_mov_b32_e32 v5, v8
	s_ashr_i32 s7, s6, 31
	s_ashr_i32 s9, s8, 31
	v_lshlrev_b64 v[0:1], 1, v[0:1]
	v_lshlrev_b64 v[4:5], 1, v[4:5]
	s_lshl_b64 s[4:5], s[14:15], 1
	v_add_co_u32_e32 v0, vcc, v0, v4
	s_add_u32 s4, s12, s4
	v_addc_co_u32_e32 v1, vcc, v1, v5, vcc
	s_addc_u32 s5, s13, s5
	v_mov_b32_e32 v4, s5
	v_add_co_u32_e32 v0, vcc, s4, v0
	s_lshl_b64 s[4:5], s[6:7], 6
	v_mad_u64_u32 v[8:9], s[6:7], s22, v2, 0
	v_mov_b32_e32 v10, v9
	v_mad_u64_u32 v[10:11], s[6:7], s23, v2, v[10:11]
	v_addc_co_u32_e32 v1, vcc, v4, v1, vcc
	v_mad_i64_i32 v[4:5], s[6:7], s8, v6, 0
	v_mov_b32_e32 v9, v10
	v_lshlrev_b64 v[4:5], 1, v[4:5]
	v_lshlrev_b64 v[8:9], 1, v[8:9]
	s_lshl_b64 s[6:7], s[20:21], 1
	v_add_co_u32_e32 v4, vcc, v4, v8
	s_add_u32 s6, s18, s6
	v_addc_co_u32_e32 v5, vcc, v5, v9, vcc
	s_addc_u32 s7, s19, s7
	v_mov_b32_e32 v7, s7
	v_add_co_u32_e32 v4, vcc, s6, v4
	s_lshl_b64 s[8:9], s[8:9], 6
	v_addc_co_u32_e32 v5, vcc, v7, v5, vcc
	s_mov_b64 s[6:7], 0
	v_mov_b32_e32 v7, 0
	v_mov_b32_e32 v8, s5
	;; [unrolled: 1-line block ×4, first 2 shown]
.LBB375_3:                              ; =>This Inner Loop Header: Depth=1
	global_load_ushort v11, v[0:1], off
	global_load_ushort v12, v[4:5], off
	v_add_co_u32_e32 v0, vcc, s4, v0
	v_addc_co_u32_e32 v1, vcc, v1, v8, vcc
	v_add_co_u32_e32 v4, vcc, s8, v4
	v_add_u32_e32 v10, 32, v10
	v_addc_co_u32_e32 v5, vcc, v5, v9, vcc
	v_cmp_le_i32_e32 vcc, s10, v10
	s_or_b64 s[6:7], vcc, s[6:7]
	s_waitcnt vmcnt(0)
	v_fma_mix_f32 v7, v11, v12, v7 op_sel_hi:[1,1,0]
	s_andn2_b64 exec, exec, s[6:7]
	s_cbranch_execnz .LBB375_3
; %bb.4:
	s_or_b64 exec, exec, s[6:7]
.LBB375_5:
	s_or_b64 exec, exec, s[2:3]
	v_mbcnt_lo_u32_b32 v0, -1, 0
	v_mbcnt_hi_u32_b32 v0, -1, v0
	v_and_b32_e32 v1, 63, v0
	v_cmp_gt_u32_e32 vcc, 48, v1
	v_cndmask_b32_e64 v4, 0, 1, vcc
	v_lshlrev_b32_e32 v4, 4, v4
	v_add_lshl_u32 v4, v4, v0, 2
	ds_bpermute_b32 v4, v4, v7
	v_cmp_gt_u32_e32 vcc, 56, v1
	v_cndmask_b32_e64 v5, 0, 1, vcc
	v_lshlrev_b32_e32 v5, 3, v5
	v_add_lshl_u32 v5, v5, v0, 2
	s_waitcnt lgkmcnt(0)
	v_add_f32_e32 v4, v7, v4
	ds_bpermute_b32 v5, v5, v4
	v_cmp_gt_u32_e32 vcc, 60, v1
	v_cndmask_b32_e64 v7, 0, 1, vcc
	v_lshlrev_b32_e32 v7, 2, v7
	v_cmp_gt_u32_e32 vcc, 62, v1
	s_waitcnt lgkmcnt(0)
	v_add_f32_e32 v4, v4, v5
	v_add_lshl_u32 v5, v7, v0, 2
	ds_bpermute_b32 v5, v5, v4
	v_cndmask_b32_e64 v7, 0, 1, vcc
	v_lshlrev_b32_e32 v7, 1, v7
	v_cmp_ne_u32_e32 vcc, 63, v1
	v_addc_co_u32_e32 v1, vcc, 0, v0, vcc
	s_waitcnt lgkmcnt(0)
	v_add_f32_e32 v4, v4, v5
	v_add_lshl_u32 v5, v7, v0, 2
	ds_bpermute_b32 v5, v5, v4
	v_lshlrev_b32_e32 v1, 2, v1
	v_cmp_eq_u32_e32 vcc, 0, v6
	s_waitcnt lgkmcnt(0)
	s_barrier
	v_add_f32_e32 v0, v4, v5
	ds_bpermute_b32 v1, v1, v0
	s_waitcnt lgkmcnt(0)
	s_and_b64 exec, exec, vcc
	s_cbranch_execz .LBB375_7
; %bb.6:
	v_add_f32_e32 v0, v0, v1
	v_cvt_f16_f32_e32 v5, v0
	v_lshlrev_b64 v[2:3], 1, v[2:3]
	v_mov_b32_e32 v4, s1
	v_add_co_u32_e32 v0, vcc, s0, v2
	v_addc_co_u32_e32 v1, vcc, v4, v3, vcc
	global_store_short v[0:1], v5, off
.LBB375_7:
	s_endpgm
	.section	.rodata,"a",@progbits
	.p2align	6, 0x0
	.amdhsa_kernel _ZL28rocblas_dot_batched_4_kernelIiLi32ELi4ELb0EfDF16_PKDF16_EviT5_lT_lS2_lS3_liPT4_
		.amdhsa_group_segment_fixed_size 0
		.amdhsa_private_segment_fixed_size 0
		.amdhsa_kernarg_size 88
		.amdhsa_user_sgpr_count 6
		.amdhsa_user_sgpr_private_segment_buffer 1
		.amdhsa_user_sgpr_dispatch_ptr 0
		.amdhsa_user_sgpr_queue_ptr 0
		.amdhsa_user_sgpr_kernarg_segment_ptr 1
		.amdhsa_user_sgpr_dispatch_id 0
		.amdhsa_user_sgpr_flat_scratch_init 0
		.amdhsa_user_sgpr_kernarg_preload_length 0
		.amdhsa_user_sgpr_kernarg_preload_offset 0
		.amdhsa_user_sgpr_private_segment_size 0
		.amdhsa_uses_dynamic_stack 0
		.amdhsa_system_sgpr_private_segment_wavefront_offset 0
		.amdhsa_system_sgpr_workgroup_id_x 1
		.amdhsa_system_sgpr_workgroup_id_y 0
		.amdhsa_system_sgpr_workgroup_id_z 0
		.amdhsa_system_sgpr_workgroup_info 0
		.amdhsa_system_vgpr_workitem_id 1
		.amdhsa_next_free_vgpr 13
		.amdhsa_next_free_sgpr 24
		.amdhsa_accum_offset 16
		.amdhsa_reserve_vcc 1
		.amdhsa_reserve_flat_scratch 0
		.amdhsa_float_round_mode_32 0
		.amdhsa_float_round_mode_16_64 0
		.amdhsa_float_denorm_mode_32 3
		.amdhsa_float_denorm_mode_16_64 3
		.amdhsa_dx10_clamp 1
		.amdhsa_ieee_mode 1
		.amdhsa_fp16_overflow 0
		.amdhsa_tg_split 0
		.amdhsa_exception_fp_ieee_invalid_op 0
		.amdhsa_exception_fp_denorm_src 0
		.amdhsa_exception_fp_ieee_div_zero 0
		.amdhsa_exception_fp_ieee_overflow 0
		.amdhsa_exception_fp_ieee_underflow 0
		.amdhsa_exception_fp_ieee_inexact 0
		.amdhsa_exception_int_div_zero 0
	.end_amdhsa_kernel
	.section	.text._ZL28rocblas_dot_batched_4_kernelIiLi32ELi4ELb0EfDF16_PKDF16_EviT5_lT_lS2_lS3_liPT4_,"axG",@progbits,_ZL28rocblas_dot_batched_4_kernelIiLi32ELi4ELb0EfDF16_PKDF16_EviT5_lT_lS2_lS3_liPT4_,comdat
.Lfunc_end375:
	.size	_ZL28rocblas_dot_batched_4_kernelIiLi32ELi4ELb0EfDF16_PKDF16_EviT5_lT_lS2_lS3_liPT4_, .Lfunc_end375-_ZL28rocblas_dot_batched_4_kernelIiLi32ELi4ELb0EfDF16_PKDF16_EviT5_lT_lS2_lS3_liPT4_
                                        ; -- End function
	.section	.AMDGPU.csdata,"",@progbits
; Kernel info:
; codeLenInByte = 668
; NumSgprs: 28
; NumVgprs: 13
; NumAgprs: 0
; TotalNumVgprs: 13
; ScratchSize: 0
; MemoryBound: 0
; FloatMode: 240
; IeeeMode: 1
; LDSByteSize: 0 bytes/workgroup (compile time only)
; SGPRBlocks: 3
; VGPRBlocks: 1
; NumSGPRsForWavesPerEU: 28
; NumVGPRsForWavesPerEU: 13
; AccumOffset: 16
; Occupancy: 8
; WaveLimiterHint : 0
; COMPUTE_PGM_RSRC2:SCRATCH_EN: 0
; COMPUTE_PGM_RSRC2:USER_SGPR: 6
; COMPUTE_PGM_RSRC2:TRAP_HANDLER: 0
; COMPUTE_PGM_RSRC2:TGID_X_EN: 1
; COMPUTE_PGM_RSRC2:TGID_Y_EN: 0
; COMPUTE_PGM_RSRC2:TGID_Z_EN: 0
; COMPUTE_PGM_RSRC2:TIDIG_COMP_CNT: 1
; COMPUTE_PGM_RSRC3_GFX90A:ACCUM_OFFSET: 3
; COMPUTE_PGM_RSRC3_GFX90A:TG_SPLIT: 0
	.section	.text._ZL28rocblas_dot_batched_4_kernelIiLi64ELi4ELb0EfDF16_PKDF16_EviT5_lT_lS2_lS3_liPT4_,"axG",@progbits,_ZL28rocblas_dot_batched_4_kernelIiLi64ELi4ELb0EfDF16_PKDF16_EviT5_lT_lS2_lS3_liPT4_,comdat
	.globl	_ZL28rocblas_dot_batched_4_kernelIiLi64ELi4ELb0EfDF16_PKDF16_EviT5_lT_lS2_lS3_liPT4_ ; -- Begin function _ZL28rocblas_dot_batched_4_kernelIiLi64ELi4ELb0EfDF16_PKDF16_EviT5_lT_lS2_lS3_liPT4_
	.p2align	8
	.type	_ZL28rocblas_dot_batched_4_kernelIiLi64ELi4ELb0EfDF16_PKDF16_EviT5_lT_lS2_lS3_liPT4_,@function
_ZL28rocblas_dot_batched_4_kernelIiLi64ELi4ELb0EfDF16_PKDF16_EviT5_lT_lS2_lS3_liPT4_: ; @_ZL28rocblas_dot_batched_4_kernelIiLi64ELi4ELb0EfDF16_PKDF16_EviT5_lT_lS2_lS3_liPT4_
; %bb.0:
	s_load_dword s0, s[4:5], 0x48
	v_bfe_u32 v1, v0, 10, 10
	v_lshl_add_u32 v2, s6, 2, v1
	s_waitcnt lgkmcnt(0)
	v_cmp_gt_u32_e32 vcc, s0, v2
	s_and_saveexec_b64 s[0:1], vcc
	s_cbranch_execz .LBB376_7
; %bb.1:
	s_load_dword s10, s[4:5], 0x0
	s_load_dwordx2 s[0:1], s[4:5], 0x50
	v_mov_b32_e32 v3, 0
	v_and_b32_e32 v6, 0x3ff, v0
	v_mov_b32_e32 v7, v3
	s_waitcnt lgkmcnt(0)
	v_cmp_gt_i32_e32 vcc, s10, v6
	s_and_saveexec_b64 s[2:3], vcc
	s_cbranch_execz .LBB376_5
; %bb.2:
	s_load_dwordx4 s[12:15], s[4:5], 0x8
	s_load_dword s6, s[4:5], 0x18
	s_load_dword s8, s[4:5], 0x38
	s_load_dwordx4 s[16:19], s[4:5], 0x20
	s_load_dwordx2 s[20:21], s[4:5], 0x30
	s_load_dwordx2 s[22:23], s[4:5], 0x40
	s_waitcnt lgkmcnt(0)
	v_mad_i64_i32 v[0:1], s[4:5], s6, v6, 0
	v_mad_u64_u32 v[4:5], s[4:5], s16, v2, 0
	v_mov_b32_e32 v8, v5
	v_mad_u64_u32 v[8:9], s[4:5], s17, v2, v[8:9]
	v_mov_b32_e32 v5, v8
	s_ashr_i32 s7, s6, 31
	s_ashr_i32 s9, s8, 31
	v_lshlrev_b64 v[0:1], 1, v[0:1]
	v_lshlrev_b64 v[4:5], 1, v[4:5]
	s_lshl_b64 s[4:5], s[14:15], 1
	v_add_co_u32_e32 v0, vcc, v0, v4
	s_add_u32 s4, s12, s4
	v_addc_co_u32_e32 v1, vcc, v1, v5, vcc
	s_addc_u32 s5, s13, s5
	v_mov_b32_e32 v4, s5
	v_add_co_u32_e32 v0, vcc, s4, v0
	s_lshl_b64 s[4:5], s[6:7], 7
	v_mad_u64_u32 v[8:9], s[6:7], s22, v2, 0
	v_mov_b32_e32 v10, v9
	v_mad_u64_u32 v[10:11], s[6:7], s23, v2, v[10:11]
	v_addc_co_u32_e32 v1, vcc, v4, v1, vcc
	v_mad_i64_i32 v[4:5], s[6:7], s8, v6, 0
	v_mov_b32_e32 v9, v10
	v_lshlrev_b64 v[4:5], 1, v[4:5]
	v_lshlrev_b64 v[8:9], 1, v[8:9]
	s_lshl_b64 s[6:7], s[20:21], 1
	v_add_co_u32_e32 v4, vcc, v4, v8
	s_add_u32 s6, s18, s6
	v_addc_co_u32_e32 v5, vcc, v5, v9, vcc
	s_addc_u32 s7, s19, s7
	v_mov_b32_e32 v7, s7
	v_add_co_u32_e32 v4, vcc, s6, v4
	s_lshl_b64 s[8:9], s[8:9], 7
	v_addc_co_u32_e32 v5, vcc, v7, v5, vcc
	s_mov_b64 s[6:7], 0
	v_mov_b32_e32 v7, 0
	v_mov_b32_e32 v8, s5
	;; [unrolled: 1-line block ×4, first 2 shown]
.LBB376_3:                              ; =>This Inner Loop Header: Depth=1
	global_load_ushort v11, v[0:1], off
	global_load_ushort v12, v[4:5], off
	v_add_co_u32_e32 v0, vcc, s4, v0
	v_addc_co_u32_e32 v1, vcc, v1, v8, vcc
	v_add_co_u32_e32 v4, vcc, s8, v4
	v_add_u32_e32 v10, 64, v10
	v_addc_co_u32_e32 v5, vcc, v5, v9, vcc
	v_cmp_le_i32_e32 vcc, s10, v10
	s_or_b64 s[6:7], vcc, s[6:7]
	s_waitcnt vmcnt(0)
	v_fma_mix_f32 v7, v11, v12, v7 op_sel_hi:[1,1,0]
	s_andn2_b64 exec, exec, s[6:7]
	s_cbranch_execnz .LBB376_3
; %bb.4:
	s_or_b64 exec, exec, s[6:7]
.LBB376_5:
	s_or_b64 exec, exec, s[2:3]
	v_mbcnt_lo_u32_b32 v0, -1, 0
	v_mbcnt_hi_u32_b32 v0, -1, v0
	v_and_b32_e32 v1, 63, v0
	v_cmp_gt_u32_e32 vcc, 32, v1
	v_cndmask_b32_e64 v4, 0, 1, vcc
	v_lshlrev_b32_e32 v4, 5, v4
	v_add_lshl_u32 v4, v4, v0, 2
	ds_bpermute_b32 v4, v4, v7
	v_cmp_gt_u32_e32 vcc, 48, v1
	v_cndmask_b32_e64 v5, 0, 1, vcc
	v_lshlrev_b32_e32 v5, 4, v5
	v_add_lshl_u32 v5, v5, v0, 2
	s_waitcnt lgkmcnt(0)
	v_add_f32_e32 v4, v7, v4
	ds_bpermute_b32 v5, v5, v4
	v_cmp_gt_u32_e32 vcc, 56, v1
	v_cndmask_b32_e64 v7, 0, 1, vcc
	v_lshlrev_b32_e32 v7, 3, v7
	v_cmp_gt_u32_e32 vcc, 60, v1
	s_waitcnt lgkmcnt(0)
	v_add_f32_e32 v4, v4, v5
	v_add_lshl_u32 v5, v7, v0, 2
	ds_bpermute_b32 v5, v5, v4
	v_cndmask_b32_e64 v7, 0, 1, vcc
	v_lshlrev_b32_e32 v7, 2, v7
	v_cmp_gt_u32_e32 vcc, 62, v1
	s_waitcnt lgkmcnt(0)
	v_add_f32_e32 v4, v4, v5
	v_add_lshl_u32 v5, v7, v0, 2
	ds_bpermute_b32 v5, v5, v4
	v_cndmask_b32_e64 v7, 0, 1, vcc
	v_lshlrev_b32_e32 v7, 1, v7
	v_cmp_ne_u32_e32 vcc, 63, v1
	v_addc_co_u32_e32 v1, vcc, 0, v0, vcc
	s_waitcnt lgkmcnt(0)
	v_add_f32_e32 v4, v4, v5
	v_add_lshl_u32 v5, v7, v0, 2
	ds_bpermute_b32 v5, v5, v4
	v_lshlrev_b32_e32 v1, 2, v1
	v_cmp_eq_u32_e32 vcc, 0, v6
	s_barrier
	s_waitcnt lgkmcnt(0)
	v_add_f32_e32 v0, v4, v5
	ds_bpermute_b32 v1, v1, v0
	s_and_b64 exec, exec, vcc
	s_cbranch_execz .LBB376_7
; %bb.6:
	s_waitcnt lgkmcnt(0)
	v_add_f32_e32 v0, v0, v1
	v_cvt_f16_f32_e32 v5, v0
	v_lshlrev_b64 v[2:3], 1, v[2:3]
	v_mov_b32_e32 v4, s1
	v_add_co_u32_e32 v0, vcc, s0, v2
	v_addc_co_u32_e32 v1, vcc, v4, v3, vcc
	global_store_short v[0:1], v5, off
.LBB376_7:
	s_endpgm
	.section	.rodata,"a",@progbits
	.p2align	6, 0x0
	.amdhsa_kernel _ZL28rocblas_dot_batched_4_kernelIiLi64ELi4ELb0EfDF16_PKDF16_EviT5_lT_lS2_lS3_liPT4_
		.amdhsa_group_segment_fixed_size 0
		.amdhsa_private_segment_fixed_size 0
		.amdhsa_kernarg_size 88
		.amdhsa_user_sgpr_count 6
		.amdhsa_user_sgpr_private_segment_buffer 1
		.amdhsa_user_sgpr_dispatch_ptr 0
		.amdhsa_user_sgpr_queue_ptr 0
		.amdhsa_user_sgpr_kernarg_segment_ptr 1
		.amdhsa_user_sgpr_dispatch_id 0
		.amdhsa_user_sgpr_flat_scratch_init 0
		.amdhsa_user_sgpr_kernarg_preload_length 0
		.amdhsa_user_sgpr_kernarg_preload_offset 0
		.amdhsa_user_sgpr_private_segment_size 0
		.amdhsa_uses_dynamic_stack 0
		.amdhsa_system_sgpr_private_segment_wavefront_offset 0
		.amdhsa_system_sgpr_workgroup_id_x 1
		.amdhsa_system_sgpr_workgroup_id_y 0
		.amdhsa_system_sgpr_workgroup_id_z 0
		.amdhsa_system_sgpr_workgroup_info 0
		.amdhsa_system_vgpr_workitem_id 1
		.amdhsa_next_free_vgpr 13
		.amdhsa_next_free_sgpr 24
		.amdhsa_accum_offset 16
		.amdhsa_reserve_vcc 1
		.amdhsa_reserve_flat_scratch 0
		.amdhsa_float_round_mode_32 0
		.amdhsa_float_round_mode_16_64 0
		.amdhsa_float_denorm_mode_32 3
		.amdhsa_float_denorm_mode_16_64 3
		.amdhsa_dx10_clamp 1
		.amdhsa_ieee_mode 1
		.amdhsa_fp16_overflow 0
		.amdhsa_tg_split 0
		.amdhsa_exception_fp_ieee_invalid_op 0
		.amdhsa_exception_fp_denorm_src 0
		.amdhsa_exception_fp_ieee_div_zero 0
		.amdhsa_exception_fp_ieee_overflow 0
		.amdhsa_exception_fp_ieee_underflow 0
		.amdhsa_exception_fp_ieee_inexact 0
		.amdhsa_exception_int_div_zero 0
	.end_amdhsa_kernel
	.section	.text._ZL28rocblas_dot_batched_4_kernelIiLi64ELi4ELb0EfDF16_PKDF16_EviT5_lT_lS2_lS3_liPT4_,"axG",@progbits,_ZL28rocblas_dot_batched_4_kernelIiLi64ELi4ELb0EfDF16_PKDF16_EviT5_lT_lS2_lS3_liPT4_,comdat
.Lfunc_end376:
	.size	_ZL28rocblas_dot_batched_4_kernelIiLi64ELi4ELb0EfDF16_PKDF16_EviT5_lT_lS2_lS3_liPT4_, .Lfunc_end376-_ZL28rocblas_dot_batched_4_kernelIiLi64ELi4ELb0EfDF16_PKDF16_EviT5_lT_lS2_lS3_liPT4_
                                        ; -- End function
	.section	.AMDGPU.csdata,"",@progbits
; Kernel info:
; codeLenInByte = 708
; NumSgprs: 28
; NumVgprs: 13
; NumAgprs: 0
; TotalNumVgprs: 13
; ScratchSize: 0
; MemoryBound: 0
; FloatMode: 240
; IeeeMode: 1
; LDSByteSize: 0 bytes/workgroup (compile time only)
; SGPRBlocks: 3
; VGPRBlocks: 1
; NumSGPRsForWavesPerEU: 28
; NumVGPRsForWavesPerEU: 13
; AccumOffset: 16
; Occupancy: 8
; WaveLimiterHint : 0
; COMPUTE_PGM_RSRC2:SCRATCH_EN: 0
; COMPUTE_PGM_RSRC2:USER_SGPR: 6
; COMPUTE_PGM_RSRC2:TRAP_HANDLER: 0
; COMPUTE_PGM_RSRC2:TGID_X_EN: 1
; COMPUTE_PGM_RSRC2:TGID_Y_EN: 0
; COMPUTE_PGM_RSRC2:TGID_Z_EN: 0
; COMPUTE_PGM_RSRC2:TIDIG_COMP_CNT: 1
; COMPUTE_PGM_RSRC3_GFX90A:ACCUM_OFFSET: 3
; COMPUTE_PGM_RSRC3_GFX90A:TG_SPLIT: 0
	.section	.text._ZL26rocblas_dot_kernel_inc1by2ILb1ELi1024ELi32ELb0EDF16_PKDF16_fEviT4_llS2_lliPT5_PT3_,"axG",@progbits,_ZL26rocblas_dot_kernel_inc1by2ILb1ELi1024ELi32ELb0EDF16_PKDF16_fEviT4_llS2_lliPT5_PT3_,comdat
	.globl	_ZL26rocblas_dot_kernel_inc1by2ILb1ELi1024ELi32ELb0EDF16_PKDF16_fEviT4_llS2_lliPT5_PT3_ ; -- Begin function _ZL26rocblas_dot_kernel_inc1by2ILb1ELi1024ELi32ELb0EDF16_PKDF16_fEviT4_llS2_lliPT5_PT3_
	.p2align	8
	.type	_ZL26rocblas_dot_kernel_inc1by2ILb1ELi1024ELi32ELb0EDF16_PKDF16_fEviT4_llS2_lliPT5_PT3_,@function
_ZL26rocblas_dot_kernel_inc1by2ILb1ELi1024ELi32ELb0EDF16_PKDF16_fEviT4_llS2_lliPT5_PT3_: ; @_ZL26rocblas_dot_kernel_inc1by2ILb1ELi1024ELi32ELb0EDF16_PKDF16_fEviT4_llS2_lliPT5_PT3_
; %bb.0:
	s_mov_b32 s2, s7
	s_load_dword s24, s[4:5], 0x0
	s_load_dwordx2 s[18:19], s[4:5], 0x8
	s_load_dwordx4 s[12:15], s[4:5], 0x10
	s_load_dwordx2 s[16:17], s[4:5], 0x20
	s_load_dwordx2 s[6:7], s[4:5], 0x48
	s_load_dwordx4 s[8:11], s[4:5], 0x28
	v_lshlrev_b32_e32 v6, 1, v0
	s_waitcnt lgkmcnt(0)
	s_mul_i32 s0, s2, s15
	s_mul_hi_u32 s1, s2, s14
	s_add_i32 s15, s1, s0
	s_mul_i32 s0, s2, s11
	s_mul_hi_u32 s1, s2, s10
	s_add_i32 s4, s24, -1
	s_mov_b32 s3, 0
	s_mul_i32 s14, s2, s14
	s_add_i32 s11, s1, s0
	s_mul_i32 s10, s2, s10
	v_cmp_gt_i32_e32 vcc, s4, v6
	v_mov_b32_e32 v1, 0
	s_and_saveexec_b64 s[20:21], vcc
	s_cbranch_execz .LBB377_4
; %bb.1:
	s_lshl_b64 s[0:1], s[10:11], 1
	s_lshl_b64 s[22:23], s[8:9], 1
	s_add_u32 s5, s16, s22
	s_addc_u32 s22, s17, s23
	s_add_u32 s0, s5, s0
	v_lshlrev_b32_e32 v4, 2, v0
	s_addc_u32 s1, s22, s1
	v_mov_b32_e32 v3, s1
	v_add_co_u32_e32 v2, vcc, s0, v4
	s_lshl_b64 s[0:1], s[14:15], 1
	s_lshl_b64 s[22:23], s[12:13], 1
	s_add_u32 s5, s18, s22
	s_addc_u32 s22, s19, s23
	s_add_u32 s0, s5, s0
	v_addc_co_u32_e32 v3, vcc, 0, v3, vcc
	s_addc_u32 s1, s22, s1
	v_mov_b32_e32 v5, s1
	v_add_co_u32_e32 v4, vcc, s0, v4
	v_mov_b32_e32 v1, 0
	v_addc_co_u32_e32 v5, vcc, 0, v5, vcc
	s_mov_b64 s[22:23], 0
	s_mov_b32 s5, s3
.LBB377_2:                              ; =>This Inner Loop Header: Depth=1
	global_load_dword v7, v[2:3], off
	global_load_dword v10, v[4:5], off
	s_add_i32 s25, s5, 1
	v_add_u32_e32 v6, 0x800, v6
	s_cmp_gt_u32 s5, 30
	v_add_co_u32_e32 v2, vcc, 0x1000, v2
	v_cmp_le_i32_e64 s[0:1], s4, v6
	s_cselect_b64 s[26:27], -1, 0
	v_addc_co_u32_e32 v3, vcc, 0, v3, vcc
	s_or_b64 s[0:1], s[26:27], s[0:1]
	v_add_co_u32_e32 v4, vcc, 0x1000, v4
	s_and_b64 s[0:1], exec, s[0:1]
	s_mov_b32 s5, s25
	v_addc_co_u32_e32 v5, vcc, 0, v5, vcc
	s_or_b64 s[22:23], s[0:1], s[22:23]
	s_waitcnt vmcnt(1)
	v_cvt_f32_f16_sdwa v9, v7 dst_sel:DWORD dst_unused:UNUSED_PAD src0_sel:WORD_1
	v_cvt_f32_f16_e32 v8, v7
	s_waitcnt vmcnt(0)
	v_cvt_f32_f16_sdwa v11, v10 dst_sel:DWORD dst_unused:UNUSED_PAD src0_sel:WORD_1
	v_cvt_f32_f16_e32 v10, v10
	v_pk_mul_f32 v[8:9], v[8:9], v[10:11]
	v_add_f32_e32 v1, v1, v8
	v_add_f32_e32 v1, v1, v9
	s_andn2_b64 exec, exec, s[22:23]
	s_cbranch_execnz .LBB377_2
; %bb.3:
	s_or_b64 exec, exec, s[22:23]
.LBB377_4:
	s_or_b64 exec, exec, s[20:21]
	s_bitcmp1_b32 s24, 0
	s_cselect_b64 s[0:1], -1, 0
	v_cmp_eq_u32_e32 vcc, s4, v6
	s_and_b64 s[20:21], s[0:1], vcc
	s_and_saveexec_b64 s[0:1], s[20:21]
	s_cbranch_execz .LBB377_6
; %bb.5:
	s_lshl_b64 s[14:15], s[14:15], 1
	s_add_u32 s5, s18, s14
	s_addc_u32 s14, s19, s15
	s_lshl_b64 s[12:13], s[12:13], 1
	s_add_u32 s12, s5, s12
	s_addc_u32 s13, s14, s13
	s_lshl_b64 s[10:11], s[10:11], 1
	s_add_u32 s5, s16, s10
	s_addc_u32 s10, s17, s11
	s_lshl_b64 s[8:9], s[8:9], 1
	s_add_u32 s8, s5, s8
	s_mov_b32 s5, 0
	s_addc_u32 s9, s10, s9
	s_lshl_b64 s[4:5], s[4:5], 1
	s_add_u32 s8, s8, s4
	s_addc_u32 s9, s9, s5
	v_mov_b32_e32 v2, 0
	s_add_u32 s4, s12, s4
	s_addc_u32 s5, s13, s5
	global_load_ushort v3, v2, s[8:9]
	global_load_ushort v4, v2, s[4:5]
	s_waitcnt vmcnt(0)
	v_fma_mix_f32 v1, v3, v4, v1 op_sel_hi:[1,1,0]
.LBB377_6:
	s_or_b64 exec, exec, s[0:1]
	v_and_b32_e32 v3, 63, v0
	v_cmp_gt_u32_e32 vcc, 64, v0
	v_lshlrev_b32_e32 v2, 2, v3
	s_and_saveexec_b64 s[0:1], vcc
	s_cbranch_execz .LBB377_8
; %bb.7:
	v_mov_b32_e32 v4, 0
	ds_write_b32 v2, v4
.LBB377_8:
	s_or_b64 exec, exec, s[0:1]
	v_mbcnt_lo_u32_b32 v4, -1, 0
	v_mbcnt_hi_u32_b32 v6, -1, v4
	v_and_b32_e32 v7, 63, v6
	v_cmp_gt_u32_e64 s[0:1], 32, v7
	v_cndmask_b32_e64 v4, 0, 1, s[0:1]
	v_lshlrev_b32_e32 v4, 5, v4
	v_add_lshl_u32 v4, v4, v6, 2
	ds_bpermute_b32 v4, v4, v1
	v_cmp_gt_u32_e64 s[0:1], 48, v7
	v_cndmask_b32_e64 v5, 0, 1, s[0:1]
	v_lshlrev_b32_e32 v5, 4, v5
	v_cmp_gt_u32_e64 s[0:1], 56, v7
	s_waitcnt lgkmcnt(0)
	v_add_f32_e32 v1, v1, v4
	v_add_lshl_u32 v4, v5, v6, 2
	ds_bpermute_b32 v4, v4, v1
	v_cndmask_b32_e64 v5, 0, 1, s[0:1]
	v_lshlrev_b32_e32 v5, 3, v5
	v_cmp_gt_u32_e64 s[0:1], 60, v7
	v_cndmask_b32_e64 v8, 0, 1, s[0:1]
	s_waitcnt lgkmcnt(0)
	v_add_f32_e32 v4, v1, v4
	v_add_lshl_u32 v1, v5, v6, 2
	ds_bpermute_b32 v5, v1, v4
	v_lshlrev_b32_e32 v8, 2, v8
	v_cmp_gt_u32_e64 s[0:1], 62, v7
	v_cndmask_b32_e64 v9, 0, 1, s[0:1]
	v_lshlrev_b32_e32 v9, 1, v9
	s_waitcnt lgkmcnt(0)
	v_add_f32_e32 v5, v4, v5
	v_add_lshl_u32 v4, v8, v6, 2
	ds_bpermute_b32 v8, v4, v5
	v_cmp_ne_u32_e64 s[0:1], 63, v7
	s_waitcnt lgkmcnt(0)
	s_barrier
	v_add_f32_e32 v8, v5, v8
	v_add_lshl_u32 v5, v9, v6, 2
	ds_bpermute_b32 v9, v5, v8
	v_addc_co_u32_e64 v6, s[0:1], 0, v6, s[0:1]
	v_lshlrev_b32_e32 v6, 2, v6
	v_cmp_eq_u32_e64 s[0:1], 0, v3
	s_waitcnt lgkmcnt(0)
	v_add_f32_e32 v7, v8, v9
	ds_bpermute_b32 v8, v6, v7
	s_and_saveexec_b64 s[4:5], s[0:1]
	s_cbranch_execz .LBB377_10
; %bb.9:
	s_waitcnt lgkmcnt(0)
	v_add_f32_e32 v3, v7, v8
	v_lshrrev_b32_e32 v7, 4, v0
	v_and_b32_e32 v7, 60, v7
	ds_write_b32 v7, v3
.LBB377_10:
	s_or_b64 exec, exec, s[4:5]
	v_cmp_gt_u32_e64 s[0:1], 16, v0
	v_mov_b32_e32 v3, 0
	s_waitcnt lgkmcnt(0)
	s_barrier
	s_and_saveexec_b64 s[4:5], s[0:1]
	s_cbranch_execnz .LBB377_14
; %bb.11:
	s_or_b64 exec, exec, s[4:5]
	s_and_saveexec_b64 s[0:1], vcc
	s_cbranch_execnz .LBB377_15
.LBB377_12:
	s_or_b64 exec, exec, s[0:1]
	v_cmp_eq_u32_e32 vcc, 0, v0
	s_and_saveexec_b64 s[0:1], vcc
	s_cbranch_execnz .LBB377_16
.LBB377_13:
	s_endpgm
.LBB377_14:
	ds_read_b32 v3, v2
	s_or_b64 exec, exec, s[4:5]
	s_and_saveexec_b64 s[0:1], vcc
	s_cbranch_execz .LBB377_12
.LBB377_15:
	s_waitcnt lgkmcnt(0)
	ds_bpermute_b32 v1, v1, v3
	s_waitcnt lgkmcnt(0)
	v_add_f32_e32 v1, v3, v1
	ds_bpermute_b32 v2, v4, v1
	s_waitcnt lgkmcnt(0)
	v_add_f32_e32 v1, v1, v2
	;; [unrolled: 3-line block ×4, first 2 shown]
	s_or_b64 exec, exec, s[0:1]
	v_cmp_eq_u32_e32 vcc, 0, v0
	s_and_saveexec_b64 s[0:1], vcc
	s_cbranch_execz .LBB377_13
.LBB377_16:
	s_waitcnt lgkmcnt(0)
	v_cvt_f16_f32_e32 v0, v3
	s_lshl_b64 s[0:1], s[2:3], 1
	s_add_u32 s0, s6, s0
	s_addc_u32 s1, s7, s1
	v_mov_b32_e32 v1, 0
	global_store_short v1, v0, s[0:1]
	s_endpgm
	.section	.rodata,"a",@progbits
	.p2align	6, 0x0
	.amdhsa_kernel _ZL26rocblas_dot_kernel_inc1by2ILb1ELi1024ELi32ELb0EDF16_PKDF16_fEviT4_llS2_lliPT5_PT3_
		.amdhsa_group_segment_fixed_size 256
		.amdhsa_private_segment_fixed_size 0
		.amdhsa_kernarg_size 80
		.amdhsa_user_sgpr_count 6
		.amdhsa_user_sgpr_private_segment_buffer 1
		.amdhsa_user_sgpr_dispatch_ptr 0
		.amdhsa_user_sgpr_queue_ptr 0
		.amdhsa_user_sgpr_kernarg_segment_ptr 1
		.amdhsa_user_sgpr_dispatch_id 0
		.amdhsa_user_sgpr_flat_scratch_init 0
		.amdhsa_user_sgpr_kernarg_preload_length 0
		.amdhsa_user_sgpr_kernarg_preload_offset 0
		.amdhsa_user_sgpr_private_segment_size 0
		.amdhsa_uses_dynamic_stack 0
		.amdhsa_system_sgpr_private_segment_wavefront_offset 0
		.amdhsa_system_sgpr_workgroup_id_x 1
		.amdhsa_system_sgpr_workgroup_id_y 0
		.amdhsa_system_sgpr_workgroup_id_z 1
		.amdhsa_system_sgpr_workgroup_info 0
		.amdhsa_system_vgpr_workitem_id 0
		.amdhsa_next_free_vgpr 12
		.amdhsa_next_free_sgpr 28
		.amdhsa_accum_offset 12
		.amdhsa_reserve_vcc 1
		.amdhsa_reserve_flat_scratch 0
		.amdhsa_float_round_mode_32 0
		.amdhsa_float_round_mode_16_64 0
		.amdhsa_float_denorm_mode_32 3
		.amdhsa_float_denorm_mode_16_64 3
		.amdhsa_dx10_clamp 1
		.amdhsa_ieee_mode 1
		.amdhsa_fp16_overflow 0
		.amdhsa_tg_split 0
		.amdhsa_exception_fp_ieee_invalid_op 0
		.amdhsa_exception_fp_denorm_src 0
		.amdhsa_exception_fp_ieee_div_zero 0
		.amdhsa_exception_fp_ieee_overflow 0
		.amdhsa_exception_fp_ieee_underflow 0
		.amdhsa_exception_fp_ieee_inexact 0
		.amdhsa_exception_int_div_zero 0
	.end_amdhsa_kernel
	.section	.text._ZL26rocblas_dot_kernel_inc1by2ILb1ELi1024ELi32ELb0EDF16_PKDF16_fEviT4_llS2_lliPT5_PT3_,"axG",@progbits,_ZL26rocblas_dot_kernel_inc1by2ILb1ELi1024ELi32ELb0EDF16_PKDF16_fEviT4_llS2_lliPT5_PT3_,comdat
.Lfunc_end377:
	.size	_ZL26rocblas_dot_kernel_inc1by2ILb1ELi1024ELi32ELb0EDF16_PKDF16_fEviT4_llS2_lliPT5_PT3_, .Lfunc_end377-_ZL26rocblas_dot_kernel_inc1by2ILb1ELi1024ELi32ELb0EDF16_PKDF16_fEviT4_llS2_lliPT5_PT3_
                                        ; -- End function
	.section	.AMDGPU.csdata,"",@progbits
; Kernel info:
; codeLenInByte = 1036
; NumSgprs: 32
; NumVgprs: 12
; NumAgprs: 0
; TotalNumVgprs: 12
; ScratchSize: 0
; MemoryBound: 0
; FloatMode: 240
; IeeeMode: 1
; LDSByteSize: 256 bytes/workgroup (compile time only)
; SGPRBlocks: 3
; VGPRBlocks: 1
; NumSGPRsForWavesPerEU: 32
; NumVGPRsForWavesPerEU: 12
; AccumOffset: 12
; Occupancy: 8
; WaveLimiterHint : 0
; COMPUTE_PGM_RSRC2:SCRATCH_EN: 0
; COMPUTE_PGM_RSRC2:USER_SGPR: 6
; COMPUTE_PGM_RSRC2:TRAP_HANDLER: 0
; COMPUTE_PGM_RSRC2:TGID_X_EN: 1
; COMPUTE_PGM_RSRC2:TGID_Y_EN: 0
; COMPUTE_PGM_RSRC2:TGID_Z_EN: 1
; COMPUTE_PGM_RSRC2:TIDIG_COMP_CNT: 0
; COMPUTE_PGM_RSRC3_GFX90A:ACCUM_OFFSET: 2
; COMPUTE_PGM_RSRC3_GFX90A:TG_SPLIT: 0
	.section	.text._ZL18rocblas_dot_kernelIiLb1ELi1024ELi32ELb0EDF16_PKDF16_fEviT5_lT_lS2_lS3_liPT6_PT4_,"axG",@progbits,_ZL18rocblas_dot_kernelIiLb1ELi1024ELi32ELb0EDF16_PKDF16_fEviT5_lT_lS2_lS3_liPT6_PT4_,comdat
	.globl	_ZL18rocblas_dot_kernelIiLb1ELi1024ELi32ELb0EDF16_PKDF16_fEviT5_lT_lS2_lS3_liPT6_PT4_ ; -- Begin function _ZL18rocblas_dot_kernelIiLb1ELi1024ELi32ELb0EDF16_PKDF16_fEviT5_lT_lS2_lS3_liPT6_PT4_
	.p2align	8
	.type	_ZL18rocblas_dot_kernelIiLb1ELi1024ELi32ELb0EDF16_PKDF16_fEviT5_lT_lS2_lS3_liPT6_PT4_,@function
_ZL18rocblas_dot_kernelIiLb1ELi1024ELi32ELb0EDF16_PKDF16_fEviT5_lT_lS2_lS3_liPT6_PT4_: ; @_ZL18rocblas_dot_kernelIiLb1ELi1024ELi32ELb0EDF16_PKDF16_fEviT5_lT_lS2_lS3_liPT6_PT4_
; %bb.0:
	s_load_dword s14, s[4:5], 0x0
	s_load_dwordx2 s[8:9], s[4:5], 0x58
	s_mov_b32 s6, s7
	s_mov_b32 s7, 0
	v_mov_b32_e32 v6, 0
	s_waitcnt lgkmcnt(0)
	v_cmp_gt_i32_e32 vcc, s14, v0
	s_and_saveexec_b64 s[10:11], vcc
	s_cbranch_execz .LBB378_4
; %bb.1:
	s_load_dword s22, s[4:5], 0x38
	s_load_dwordx2 s[12:13], s[4:5], 0x40
	s_load_dword s15, s[4:5], 0x60
	s_load_dwordx4 s[0:3], s[4:5], 0x20
	s_load_dwordx4 s[16:19], s[4:5], 0x8
	s_load_dword s23, s[4:5], 0x18
	s_load_dwordx2 s[20:21], s[4:5], 0x30
	s_waitcnt lgkmcnt(0)
	s_lshl_b32 s15, s15, 10
	s_mul_i32 s1, s1, s6
	s_mul_hi_u32 s4, s0, s6
	s_add_i32 s1, s4, s1
	s_mul_i32 s0, s0, s6
	v_mad_i64_i32 v[2:3], s[4:5], s23, v0, 0
	s_lshl_b64 s[0:1], s[0:1], 1
	s_lshl_b64 s[4:5], s[18:19], 1
	s_add_u32 s4, s16, s4
	s_addc_u32 s5, s17, s5
	s_add_u32 s0, s4, s0
	v_lshlrev_b64 v[2:3], 1, v[2:3]
	s_addc_u32 s1, s5, s1
	v_mov_b32_e32 v4, s1
	v_add_co_u32_e32 v2, vcc, s0, v2
	s_mul_hi_i32 s1, s23, s15
	s_mul_i32 s0, s23, s15
	s_lshl_b64 s[4:5], s[0:1], 1
	s_mul_i32 s0, s13, s6
	s_mul_hi_u32 s1, s12, s6
	v_addc_co_u32_e32 v3, vcc, v4, v3, vcc
	s_add_i32 s1, s1, s0
	s_mul_i32 s0, s12, s6
	v_mad_i64_i32 v[4:5], s[12:13], s22, v0, 0
	s_lshl_b64 s[0:1], s[0:1], 1
	s_lshl_b64 s[12:13], s[20:21], 1
	s_add_u32 s2, s2, s12
	s_addc_u32 s3, s3, s13
	s_add_u32 s0, s2, s0
	v_lshlrev_b64 v[4:5], 1, v[4:5]
	s_addc_u32 s1, s3, s1
	v_mov_b32_e32 v6, s1
	v_add_co_u32_e32 v4, vcc, s0, v4
	s_mul_hi_i32 s1, s22, s15
	s_mul_i32 s0, s22, s15
	s_lshl_b64 s[12:13], s[0:1], 1
	v_or_b32_e32 v1, s15, v0
	v_addc_co_u32_e32 v5, vcc, v6, v5, vcc
	s_mov_b64 s[2:3], 0
	v_mov_b32_e32 v6, 0
	v_mov_b32_e32 v7, s5
	v_mov_b32_e32 v8, s13
	s_mov_b32 s5, s7
.LBB378_2:                              ; =>This Inner Loop Header: Depth=1
	global_load_ushort v9, v[4:5], off
	global_load_ushort v10, v[2:3], off
	v_add_co_u32_e64 v2, s[0:1], s4, v2
	v_addc_co_u32_e64 v3, s[0:1], v3, v7, s[0:1]
	s_add_i32 s13, s5, 1
	v_add_co_u32_e64 v4, s[0:1], s12, v4
	v_addc_co_u32_e64 v5, s[0:1], v5, v8, s[0:1]
	s_cmp_gt_u32 s5, 30
	v_cmp_le_i32_e32 vcc, s14, v1
	s_cselect_b64 s[0:1], -1, 0
	s_or_b64 s[0:1], s[0:1], vcc
	s_and_b64 s[0:1], exec, s[0:1]
	v_add_u32_e32 v1, s15, v1
	s_mov_b32 s5, s13
	s_or_b64 s[2:3], s[0:1], s[2:3]
	s_waitcnt vmcnt(0)
	v_fma_mix_f32 v6, v9, v10, v6 op_sel_hi:[1,1,0]
	s_andn2_b64 exec, exec, s[2:3]
	s_cbranch_execnz .LBB378_2
; %bb.3:
	s_or_b64 exec, exec, s[2:3]
.LBB378_4:
	s_or_b64 exec, exec, s[10:11]
	v_and_b32_e32 v2, 63, v0
	v_cmp_gt_u32_e32 vcc, 64, v0
	v_lshlrev_b32_e32 v1, 2, v2
	s_and_saveexec_b64 s[0:1], vcc
	s_cbranch_execz .LBB378_6
; %bb.5:
	v_mov_b32_e32 v3, 0
	ds_write_b32 v1, v3
.LBB378_6:
	s_or_b64 exec, exec, s[0:1]
	v_mbcnt_lo_u32_b32 v3, -1, 0
	v_mbcnt_hi_u32_b32 v7, -1, v3
	v_and_b32_e32 v8, 63, v7
	v_cmp_gt_u32_e64 s[0:1], 32, v8
	v_cndmask_b32_e64 v3, 0, 1, s[0:1]
	v_lshlrev_b32_e32 v3, 5, v3
	v_add_lshl_u32 v3, v3, v7, 2
	ds_bpermute_b32 v3, v3, v6
	v_cmp_gt_u32_e64 s[0:1], 48, v8
	v_cndmask_b32_e64 v4, 0, 1, s[0:1]
	v_lshlrev_b32_e32 v4, 4, v4
	v_add_lshl_u32 v4, v4, v7, 2
	s_waitcnt lgkmcnt(0)
	v_add_f32_e32 v3, v6, v3
	ds_bpermute_b32 v4, v4, v3
	v_cmp_gt_u32_e64 s[0:1], 56, v8
	v_cndmask_b32_e64 v5, 0, 1, s[0:1]
	v_lshlrev_b32_e32 v5, 3, v5
	v_cmp_gt_u32_e64 s[0:1], 60, v8
	s_waitcnt lgkmcnt(0)
	v_add_f32_e32 v4, v3, v4
	v_add_lshl_u32 v3, v5, v7, 2
	ds_bpermute_b32 v5, v3, v4
	v_cndmask_b32_e64 v6, 0, 1, s[0:1]
	v_lshlrev_b32_e32 v6, 2, v6
	v_cmp_gt_u32_e64 s[0:1], 62, v8
	v_cndmask_b32_e64 v9, 0, 1, s[0:1]
	s_waitcnt lgkmcnt(0)
	v_add_f32_e32 v5, v4, v5
	v_add_lshl_u32 v4, v6, v7, 2
	ds_bpermute_b32 v6, v4, v5
	v_lshlrev_b32_e32 v9, 1, v9
	v_cmp_ne_u32_e64 s[0:1], 63, v8
	v_addc_co_u32_e64 v8, s[0:1], 0, v7, s[0:1]
	s_waitcnt lgkmcnt(0)
	v_add_f32_e32 v6, v5, v6
	v_add_lshl_u32 v5, v9, v7, 2
	ds_bpermute_b32 v9, v5, v6
	v_cmp_eq_u32_e64 s[0:1], 0, v2
	s_waitcnt lgkmcnt(0)
	s_barrier
	v_add_f32_e32 v7, v6, v9
	v_lshlrev_b32_e32 v6, 2, v8
	ds_bpermute_b32 v8, v6, v7
	s_and_saveexec_b64 s[2:3], s[0:1]
	s_cbranch_execz .LBB378_8
; %bb.7:
	s_waitcnt lgkmcnt(0)
	v_add_f32_e32 v2, v7, v8
	v_lshrrev_b32_e32 v7, 4, v0
	v_and_b32_e32 v7, 60, v7
	ds_write_b32 v7, v2
.LBB378_8:
	s_or_b64 exec, exec, s[2:3]
	v_cmp_gt_u32_e64 s[0:1], 16, v0
	v_mov_b32_e32 v2, 0
	s_waitcnt lgkmcnt(0)
	s_barrier
	s_and_saveexec_b64 s[2:3], s[0:1]
	s_cbranch_execnz .LBB378_12
; %bb.9:
	s_or_b64 exec, exec, s[2:3]
	s_and_saveexec_b64 s[0:1], vcc
	s_cbranch_execnz .LBB378_13
.LBB378_10:
	s_or_b64 exec, exec, s[0:1]
	v_cmp_eq_u32_e32 vcc, 0, v0
	s_and_saveexec_b64 s[0:1], vcc
	s_cbranch_execnz .LBB378_14
.LBB378_11:
	s_endpgm
.LBB378_12:
	ds_read_b32 v2, v1
	s_or_b64 exec, exec, s[2:3]
	s_and_saveexec_b64 s[0:1], vcc
	s_cbranch_execz .LBB378_10
.LBB378_13:
	s_waitcnt lgkmcnt(0)
	ds_bpermute_b32 v1, v3, v2
	s_waitcnt lgkmcnt(0)
	v_add_f32_e32 v1, v2, v1
	ds_bpermute_b32 v2, v4, v1
	s_waitcnt lgkmcnt(0)
	v_add_f32_e32 v1, v1, v2
	ds_bpermute_b32 v2, v5, v1
	s_waitcnt lgkmcnt(0)
	v_add_f32_e32 v1, v1, v2
	ds_bpermute_b32 v2, v6, v1
	s_waitcnt lgkmcnt(0)
	v_add_f32_e32 v2, v1, v2
	s_or_b64 exec, exec, s[0:1]
	v_cmp_eq_u32_e32 vcc, 0, v0
	s_and_saveexec_b64 s[0:1], vcc
	s_cbranch_execz .LBB378_11
.LBB378_14:
	s_waitcnt lgkmcnt(0)
	v_cvt_f16_f32_e32 v0, v2
	s_lshl_b64 s[0:1], s[6:7], 1
	s_add_u32 s0, s8, s0
	s_addc_u32 s1, s9, s1
	v_mov_b32_e32 v1, 0
	global_store_short v1, v0, s[0:1]
	s_endpgm
	.section	.rodata,"a",@progbits
	.p2align	6, 0x0
	.amdhsa_kernel _ZL18rocblas_dot_kernelIiLb1ELi1024ELi32ELb0EDF16_PKDF16_fEviT5_lT_lS2_lS3_liPT6_PT4_
		.amdhsa_group_segment_fixed_size 256
		.amdhsa_private_segment_fixed_size 0
		.amdhsa_kernarg_size 352
		.amdhsa_user_sgpr_count 6
		.amdhsa_user_sgpr_private_segment_buffer 1
		.amdhsa_user_sgpr_dispatch_ptr 0
		.amdhsa_user_sgpr_queue_ptr 0
		.amdhsa_user_sgpr_kernarg_segment_ptr 1
		.amdhsa_user_sgpr_dispatch_id 0
		.amdhsa_user_sgpr_flat_scratch_init 0
		.amdhsa_user_sgpr_kernarg_preload_length 0
		.amdhsa_user_sgpr_kernarg_preload_offset 0
		.amdhsa_user_sgpr_private_segment_size 0
		.amdhsa_uses_dynamic_stack 0
		.amdhsa_system_sgpr_private_segment_wavefront_offset 0
		.amdhsa_system_sgpr_workgroup_id_x 1
		.amdhsa_system_sgpr_workgroup_id_y 0
		.amdhsa_system_sgpr_workgroup_id_z 1
		.amdhsa_system_sgpr_workgroup_info 0
		.amdhsa_system_vgpr_workitem_id 0
		.amdhsa_next_free_vgpr 11
		.amdhsa_next_free_sgpr 24
		.amdhsa_accum_offset 12
		.amdhsa_reserve_vcc 1
		.amdhsa_reserve_flat_scratch 0
		.amdhsa_float_round_mode_32 0
		.amdhsa_float_round_mode_16_64 0
		.amdhsa_float_denorm_mode_32 3
		.amdhsa_float_denorm_mode_16_64 3
		.amdhsa_dx10_clamp 1
		.amdhsa_ieee_mode 1
		.amdhsa_fp16_overflow 0
		.amdhsa_tg_split 0
		.amdhsa_exception_fp_ieee_invalid_op 0
		.amdhsa_exception_fp_denorm_src 0
		.amdhsa_exception_fp_ieee_div_zero 0
		.amdhsa_exception_fp_ieee_overflow 0
		.amdhsa_exception_fp_ieee_underflow 0
		.amdhsa_exception_fp_ieee_inexact 0
		.amdhsa_exception_int_div_zero 0
	.end_amdhsa_kernel
	.section	.text._ZL18rocblas_dot_kernelIiLb1ELi1024ELi32ELb0EDF16_PKDF16_fEviT5_lT_lS2_lS3_liPT6_PT4_,"axG",@progbits,_ZL18rocblas_dot_kernelIiLb1ELi1024ELi32ELb0EDF16_PKDF16_fEviT5_lT_lS2_lS3_liPT6_PT4_,comdat
.Lfunc_end378:
	.size	_ZL18rocblas_dot_kernelIiLb1ELi1024ELi32ELb0EDF16_PKDF16_fEviT5_lT_lS2_lS3_liPT6_PT4_, .Lfunc_end378-_ZL18rocblas_dot_kernelIiLb1ELi1024ELi32ELb0EDF16_PKDF16_fEviT5_lT_lS2_lS3_liPT6_PT4_
                                        ; -- End function
	.section	.AMDGPU.csdata,"",@progbits
; Kernel info:
; codeLenInByte = 956
; NumSgprs: 28
; NumVgprs: 11
; NumAgprs: 0
; TotalNumVgprs: 11
; ScratchSize: 0
; MemoryBound: 0
; FloatMode: 240
; IeeeMode: 1
; LDSByteSize: 256 bytes/workgroup (compile time only)
; SGPRBlocks: 3
; VGPRBlocks: 1
; NumSGPRsForWavesPerEU: 28
; NumVGPRsForWavesPerEU: 11
; AccumOffset: 12
; Occupancy: 8
; WaveLimiterHint : 0
; COMPUTE_PGM_RSRC2:SCRATCH_EN: 0
; COMPUTE_PGM_RSRC2:USER_SGPR: 6
; COMPUTE_PGM_RSRC2:TRAP_HANDLER: 0
; COMPUTE_PGM_RSRC2:TGID_X_EN: 1
; COMPUTE_PGM_RSRC2:TGID_Y_EN: 0
; COMPUTE_PGM_RSRC2:TGID_Z_EN: 1
; COMPUTE_PGM_RSRC2:TIDIG_COMP_CNT: 0
; COMPUTE_PGM_RSRC3_GFX90A:ACCUM_OFFSET: 2
; COMPUTE_PGM_RSRC3_GFX90A:TG_SPLIT: 0
	.section	.text._ZL24rocblas_dot_kernel_magsqIiLb1ELi1024ELi32ELb0EDF16_PKDF16_fEviT5_lT_liPT6_PT4_,"axG",@progbits,_ZL24rocblas_dot_kernel_magsqIiLb1ELi1024ELi32ELb0EDF16_PKDF16_fEviT5_lT_liPT6_PT4_,comdat
	.globl	_ZL24rocblas_dot_kernel_magsqIiLb1ELi1024ELi32ELb0EDF16_PKDF16_fEviT5_lT_liPT6_PT4_ ; -- Begin function _ZL24rocblas_dot_kernel_magsqIiLb1ELi1024ELi32ELb0EDF16_PKDF16_fEviT5_lT_liPT6_PT4_
	.p2align	8
	.type	_ZL24rocblas_dot_kernel_magsqIiLb1ELi1024ELi32ELb0EDF16_PKDF16_fEviT5_lT_liPT6_PT4_,@function
_ZL24rocblas_dot_kernel_magsqIiLb1ELi1024ELi32ELb0EDF16_PKDF16_fEviT5_lT_liPT6_PT4_: ; @_ZL24rocblas_dot_kernel_magsqIiLb1ELi1024ELi32ELb0EDF16_PKDF16_fEviT5_lT_liPT6_PT4_
; %bb.0:
	s_mov_b32 s2, s7
	s_load_dword s12, s[4:5], 0x0
	s_load_dwordx2 s[6:7], s[4:5], 0x38
	s_mov_b32 s3, 0
	v_mov_b32_e32 v1, 0
	s_waitcnt lgkmcnt(0)
	v_cmp_gt_i32_e32 vcc, s12, v0
	s_and_saveexec_b64 s[8:9], vcc
	s_cbranch_execz .LBB379_4
; %bb.1:
	s_load_dword s10, s[4:5], 0x40
	s_load_dwordx2 s[0:1], s[4:5], 0x20
	s_load_dwordx4 s[16:19], s[4:5], 0x8
	s_load_dword s11, s[4:5], 0x18
	s_waitcnt lgkmcnt(0)
	s_lshl_b32 s13, s10, 10
	s_mul_i32 s1, s1, s2
	s_mul_hi_u32 s4, s0, s2
	s_add_i32 s1, s4, s1
	s_mul_i32 s0, s0, s2
	v_mad_i64_i32 v[2:3], s[4:5], s11, v0, 0
	s_lshl_b64 s[0:1], s[0:1], 1
	s_lshl_b64 s[4:5], s[18:19], 1
	s_add_u32 s4, s16, s4
	s_addc_u32 s5, s17, s5
	s_add_u32 s0, s4, s0
	v_lshlrev_b64 v[2:3], 1, v[2:3]
	s_addc_u32 s1, s5, s1
	v_mov_b32_e32 v1, s1
	v_add_co_u32_e32 v2, vcc, s0, v2
	s_mul_hi_i32 s1, s11, s13
	s_mul_i32 s0, s11, s13
	s_lshl_b64 s[10:11], s[0:1], 1
	v_or_b32_e32 v4, s13, v0
	v_addc_co_u32_e32 v3, vcc, v1, v3, vcc
	s_mov_b64 s[4:5], 0
	v_mov_b32_e32 v1, 0
	v_mov_b32_e32 v5, s11
	s_mov_b32 s11, s3
.LBB379_2:                              ; =>This Inner Loop Header: Depth=1
	global_load_ushort v6, v[2:3], off
	s_add_i32 s14, s11, 1
	v_add_co_u32_e64 v2, s[0:1], s10, v2
	v_addc_co_u32_e64 v3, s[0:1], v3, v5, s[0:1]
	s_cmp_gt_u32 s11, 30
	v_cmp_le_i32_e32 vcc, s12, v4
	s_cselect_b64 s[0:1], -1, 0
	s_or_b64 s[0:1], s[0:1], vcc
	s_and_b64 s[0:1], exec, s[0:1]
	v_add_u32_e32 v4, s13, v4
	s_mov_b32 s11, s14
	s_or_b64 s[4:5], s[0:1], s[4:5]
	s_waitcnt vmcnt(0)
	v_fma_mix_f32 v1, v6, v6, v1 op_sel_hi:[1,1,0]
	s_andn2_b64 exec, exec, s[4:5]
	s_cbranch_execnz .LBB379_2
; %bb.3:
	s_or_b64 exec, exec, s[4:5]
.LBB379_4:
	s_or_b64 exec, exec, s[8:9]
	v_and_b32_e32 v3, 63, v0
	v_cmp_gt_u32_e32 vcc, 64, v0
	v_lshlrev_b32_e32 v2, 2, v3
	s_and_saveexec_b64 s[0:1], vcc
	s_cbranch_execz .LBB379_6
; %bb.5:
	v_mov_b32_e32 v4, 0
	ds_write_b32 v2, v4
.LBB379_6:
	s_or_b64 exec, exec, s[0:1]
	v_mbcnt_lo_u32_b32 v4, -1, 0
	v_mbcnt_hi_u32_b32 v6, -1, v4
	v_and_b32_e32 v7, 63, v6
	v_cmp_gt_u32_e64 s[0:1], 32, v7
	v_cndmask_b32_e64 v4, 0, 1, s[0:1]
	v_lshlrev_b32_e32 v4, 5, v4
	v_add_lshl_u32 v4, v4, v6, 2
	ds_bpermute_b32 v4, v4, v1
	v_cmp_gt_u32_e64 s[0:1], 48, v7
	v_cndmask_b32_e64 v5, 0, 1, s[0:1]
	v_lshlrev_b32_e32 v5, 4, v5
	v_cmp_gt_u32_e64 s[0:1], 56, v7
	s_waitcnt lgkmcnt(0)
	v_add_f32_e32 v1, v1, v4
	v_add_lshl_u32 v4, v5, v6, 2
	ds_bpermute_b32 v4, v4, v1
	v_cndmask_b32_e64 v5, 0, 1, s[0:1]
	v_lshlrev_b32_e32 v5, 3, v5
	v_cmp_gt_u32_e64 s[0:1], 60, v7
	v_cndmask_b32_e64 v8, 0, 1, s[0:1]
	s_waitcnt lgkmcnt(0)
	v_add_f32_e32 v4, v1, v4
	v_add_lshl_u32 v1, v5, v6, 2
	ds_bpermute_b32 v5, v1, v4
	v_lshlrev_b32_e32 v8, 2, v8
	v_cmp_gt_u32_e64 s[0:1], 62, v7
	v_cndmask_b32_e64 v9, 0, 1, s[0:1]
	v_lshlrev_b32_e32 v9, 1, v9
	s_waitcnt lgkmcnt(0)
	v_add_f32_e32 v5, v4, v5
	v_add_lshl_u32 v4, v8, v6, 2
	ds_bpermute_b32 v8, v4, v5
	v_cmp_ne_u32_e64 s[0:1], 63, v7
	s_waitcnt lgkmcnt(0)
	s_barrier
	v_add_f32_e32 v8, v5, v8
	v_add_lshl_u32 v5, v9, v6, 2
	ds_bpermute_b32 v9, v5, v8
	v_addc_co_u32_e64 v6, s[0:1], 0, v6, s[0:1]
	v_lshlrev_b32_e32 v6, 2, v6
	v_cmp_eq_u32_e64 s[0:1], 0, v3
	s_waitcnt lgkmcnt(0)
	v_add_f32_e32 v7, v8, v9
	ds_bpermute_b32 v8, v6, v7
	s_and_saveexec_b64 s[4:5], s[0:1]
	s_cbranch_execz .LBB379_8
; %bb.7:
	s_waitcnt lgkmcnt(0)
	v_add_f32_e32 v3, v7, v8
	v_lshrrev_b32_e32 v7, 4, v0
	v_and_b32_e32 v7, 60, v7
	ds_write_b32 v7, v3
.LBB379_8:
	s_or_b64 exec, exec, s[4:5]
	v_cmp_gt_u32_e64 s[0:1], 16, v0
	v_mov_b32_e32 v3, 0
	s_waitcnt lgkmcnt(0)
	s_barrier
	s_and_saveexec_b64 s[4:5], s[0:1]
	s_cbranch_execnz .LBB379_12
; %bb.9:
	s_or_b64 exec, exec, s[4:5]
	s_and_saveexec_b64 s[0:1], vcc
	s_cbranch_execnz .LBB379_13
.LBB379_10:
	s_or_b64 exec, exec, s[0:1]
	v_cmp_eq_u32_e32 vcc, 0, v0
	s_and_saveexec_b64 s[0:1], vcc
	s_cbranch_execnz .LBB379_14
.LBB379_11:
	s_endpgm
.LBB379_12:
	ds_read_b32 v3, v2
	s_or_b64 exec, exec, s[4:5]
	s_and_saveexec_b64 s[0:1], vcc
	s_cbranch_execz .LBB379_10
.LBB379_13:
	s_waitcnt lgkmcnt(0)
	ds_bpermute_b32 v1, v1, v3
	s_waitcnt lgkmcnt(0)
	v_add_f32_e32 v1, v3, v1
	ds_bpermute_b32 v2, v4, v1
	s_waitcnt lgkmcnt(0)
	v_add_f32_e32 v1, v1, v2
	ds_bpermute_b32 v2, v5, v1
	s_waitcnt lgkmcnt(0)
	v_add_f32_e32 v1, v1, v2
	ds_bpermute_b32 v2, v6, v1
	s_waitcnt lgkmcnt(0)
	v_add_f32_e32 v3, v1, v2
	s_or_b64 exec, exec, s[0:1]
	v_cmp_eq_u32_e32 vcc, 0, v0
	s_and_saveexec_b64 s[0:1], vcc
	s_cbranch_execz .LBB379_11
.LBB379_14:
	s_waitcnt lgkmcnt(0)
	v_cvt_f16_f32_e32 v0, v3
	s_lshl_b64 s[0:1], s[2:3], 1
	s_add_u32 s0, s6, s0
	s_addc_u32 s1, s7, s1
	v_mov_b32_e32 v1, 0
	global_store_short v1, v0, s[0:1]
	s_endpgm
	.section	.rodata,"a",@progbits
	.p2align	6, 0x0
	.amdhsa_kernel _ZL24rocblas_dot_kernel_magsqIiLb1ELi1024ELi32ELb0EDF16_PKDF16_fEviT5_lT_liPT6_PT4_
		.amdhsa_group_segment_fixed_size 256
		.amdhsa_private_segment_fixed_size 0
		.amdhsa_kernarg_size 320
		.amdhsa_user_sgpr_count 6
		.amdhsa_user_sgpr_private_segment_buffer 1
		.amdhsa_user_sgpr_dispatch_ptr 0
		.amdhsa_user_sgpr_queue_ptr 0
		.amdhsa_user_sgpr_kernarg_segment_ptr 1
		.amdhsa_user_sgpr_dispatch_id 0
		.amdhsa_user_sgpr_flat_scratch_init 0
		.amdhsa_user_sgpr_kernarg_preload_length 0
		.amdhsa_user_sgpr_kernarg_preload_offset 0
		.amdhsa_user_sgpr_private_segment_size 0
		.amdhsa_uses_dynamic_stack 0
		.amdhsa_system_sgpr_private_segment_wavefront_offset 0
		.amdhsa_system_sgpr_workgroup_id_x 1
		.amdhsa_system_sgpr_workgroup_id_y 0
		.amdhsa_system_sgpr_workgroup_id_z 1
		.amdhsa_system_sgpr_workgroup_info 0
		.amdhsa_system_vgpr_workitem_id 0
		.amdhsa_next_free_vgpr 10
		.amdhsa_next_free_sgpr 20
		.amdhsa_accum_offset 12
		.amdhsa_reserve_vcc 1
		.amdhsa_reserve_flat_scratch 0
		.amdhsa_float_round_mode_32 0
		.amdhsa_float_round_mode_16_64 0
		.amdhsa_float_denorm_mode_32 3
		.amdhsa_float_denorm_mode_16_64 3
		.amdhsa_dx10_clamp 1
		.amdhsa_ieee_mode 1
		.amdhsa_fp16_overflow 0
		.amdhsa_tg_split 0
		.amdhsa_exception_fp_ieee_invalid_op 0
		.amdhsa_exception_fp_denorm_src 0
		.amdhsa_exception_fp_ieee_div_zero 0
		.amdhsa_exception_fp_ieee_overflow 0
		.amdhsa_exception_fp_ieee_underflow 0
		.amdhsa_exception_fp_ieee_inexact 0
		.amdhsa_exception_int_div_zero 0
	.end_amdhsa_kernel
	.section	.text._ZL24rocblas_dot_kernel_magsqIiLb1ELi1024ELi32ELb0EDF16_PKDF16_fEviT5_lT_liPT6_PT4_,"axG",@progbits,_ZL24rocblas_dot_kernel_magsqIiLb1ELi1024ELi32ELb0EDF16_PKDF16_fEviT5_lT_liPT6_PT4_,comdat
.Lfunc_end379:
	.size	_ZL24rocblas_dot_kernel_magsqIiLb1ELi1024ELi32ELb0EDF16_PKDF16_fEviT5_lT_liPT6_PT4_, .Lfunc_end379-_ZL24rocblas_dot_kernel_magsqIiLb1ELi1024ELi32ELb0EDF16_PKDF16_fEviT5_lT_liPT6_PT4_
                                        ; -- End function
	.section	.AMDGPU.csdata,"",@progbits
; Kernel info:
; codeLenInByte = 824
; NumSgprs: 24
; NumVgprs: 10
; NumAgprs: 0
; TotalNumVgprs: 10
; ScratchSize: 0
; MemoryBound: 0
; FloatMode: 240
; IeeeMode: 1
; LDSByteSize: 256 bytes/workgroup (compile time only)
; SGPRBlocks: 2
; VGPRBlocks: 1
; NumSGPRsForWavesPerEU: 24
; NumVGPRsForWavesPerEU: 10
; AccumOffset: 12
; Occupancy: 8
; WaveLimiterHint : 0
; COMPUTE_PGM_RSRC2:SCRATCH_EN: 0
; COMPUTE_PGM_RSRC2:USER_SGPR: 6
; COMPUTE_PGM_RSRC2:TRAP_HANDLER: 0
; COMPUTE_PGM_RSRC2:TGID_X_EN: 1
; COMPUTE_PGM_RSRC2:TGID_Y_EN: 0
; COMPUTE_PGM_RSRC2:TGID_Z_EN: 1
; COMPUTE_PGM_RSRC2:TIDIG_COMP_CNT: 0
; COMPUTE_PGM_RSRC3_GFX90A:ACCUM_OFFSET: 2
; COMPUTE_PGM_RSRC3_GFX90A:TG_SPLIT: 0
	.section	.text._ZL38rocblas_dot_kernel_gfx942_float_doubleIiLi1024EDF16_PKDF16_fEviT2_lT_lS2_lS3_lPT3_PT1_,"axG",@progbits,_ZL38rocblas_dot_kernel_gfx942_float_doubleIiLi1024EDF16_PKDF16_fEviT2_lT_lS2_lS3_lPT3_PT1_,comdat
	.globl	_ZL38rocblas_dot_kernel_gfx942_float_doubleIiLi1024EDF16_PKDF16_fEviT2_lT_lS2_lS3_lPT3_PT1_ ; -- Begin function _ZL38rocblas_dot_kernel_gfx942_float_doubleIiLi1024EDF16_PKDF16_fEviT2_lT_lS2_lS3_lPT3_PT1_
	.p2align	8
	.type	_ZL38rocblas_dot_kernel_gfx942_float_doubleIiLi1024EDF16_PKDF16_fEviT2_lT_lS2_lS3_lPT3_PT1_,@function
_ZL38rocblas_dot_kernel_gfx942_float_doubleIiLi1024EDF16_PKDF16_fEviT2_lT_lS2_lS3_lPT3_PT1_: ; @_ZL38rocblas_dot_kernel_gfx942_float_doubleIiLi1024EDF16_PKDF16_fEviT2_lT_lS2_lS3_lPT3_PT1_
; %bb.0:
	s_endpgm
	.section	.rodata,"a",@progbits
	.p2align	6, 0x0
	.amdhsa_kernel _ZL38rocblas_dot_kernel_gfx942_float_doubleIiLi1024EDF16_PKDF16_fEviT2_lT_lS2_lS3_lPT3_PT1_
		.amdhsa_group_segment_fixed_size 0
		.amdhsa_private_segment_fixed_size 0
		.amdhsa_kernarg_size 88
		.amdhsa_user_sgpr_count 6
		.amdhsa_user_sgpr_private_segment_buffer 1
		.amdhsa_user_sgpr_dispatch_ptr 0
		.amdhsa_user_sgpr_queue_ptr 0
		.amdhsa_user_sgpr_kernarg_segment_ptr 1
		.amdhsa_user_sgpr_dispatch_id 0
		.amdhsa_user_sgpr_flat_scratch_init 0
		.amdhsa_user_sgpr_kernarg_preload_length 0
		.amdhsa_user_sgpr_kernarg_preload_offset 0
		.amdhsa_user_sgpr_private_segment_size 0
		.amdhsa_uses_dynamic_stack 0
		.amdhsa_system_sgpr_private_segment_wavefront_offset 0
		.amdhsa_system_sgpr_workgroup_id_x 1
		.amdhsa_system_sgpr_workgroup_id_y 0
		.amdhsa_system_sgpr_workgroup_id_z 0
		.amdhsa_system_sgpr_workgroup_info 0
		.amdhsa_system_vgpr_workitem_id 0
		.amdhsa_next_free_vgpr 1
		.amdhsa_next_free_sgpr 0
		.amdhsa_accum_offset 4
		.amdhsa_reserve_vcc 0
		.amdhsa_reserve_flat_scratch 0
		.amdhsa_float_round_mode_32 0
		.amdhsa_float_round_mode_16_64 0
		.amdhsa_float_denorm_mode_32 3
		.amdhsa_float_denorm_mode_16_64 3
		.amdhsa_dx10_clamp 1
		.amdhsa_ieee_mode 1
		.amdhsa_fp16_overflow 0
		.amdhsa_tg_split 0
		.amdhsa_exception_fp_ieee_invalid_op 0
		.amdhsa_exception_fp_denorm_src 0
		.amdhsa_exception_fp_ieee_div_zero 0
		.amdhsa_exception_fp_ieee_overflow 0
		.amdhsa_exception_fp_ieee_underflow 0
		.amdhsa_exception_fp_ieee_inexact 0
		.amdhsa_exception_int_div_zero 0
	.end_amdhsa_kernel
	.section	.text._ZL38rocblas_dot_kernel_gfx942_float_doubleIiLi1024EDF16_PKDF16_fEviT2_lT_lS2_lS3_lPT3_PT1_,"axG",@progbits,_ZL38rocblas_dot_kernel_gfx942_float_doubleIiLi1024EDF16_PKDF16_fEviT2_lT_lS2_lS3_lPT3_PT1_,comdat
.Lfunc_end380:
	.size	_ZL38rocblas_dot_kernel_gfx942_float_doubleIiLi1024EDF16_PKDF16_fEviT2_lT_lS2_lS3_lPT3_PT1_, .Lfunc_end380-_ZL38rocblas_dot_kernel_gfx942_float_doubleIiLi1024EDF16_PKDF16_fEviT2_lT_lS2_lS3_lPT3_PT1_
                                        ; -- End function
	.section	.AMDGPU.csdata,"",@progbits
; Kernel info:
; codeLenInByte = 4
; NumSgprs: 4
; NumVgprs: 0
; NumAgprs: 0
; TotalNumVgprs: 0
; ScratchSize: 0
; MemoryBound: 0
; FloatMode: 240
; IeeeMode: 1
; LDSByteSize: 0 bytes/workgroup (compile time only)
; SGPRBlocks: 0
; VGPRBlocks: 0
; NumSGPRsForWavesPerEU: 4
; NumVGPRsForWavesPerEU: 1
; AccumOffset: 4
; Occupancy: 8
; WaveLimiterHint : 0
; COMPUTE_PGM_RSRC2:SCRATCH_EN: 0
; COMPUTE_PGM_RSRC2:USER_SGPR: 6
; COMPUTE_PGM_RSRC2:TRAP_HANDLER: 0
; COMPUTE_PGM_RSRC2:TGID_X_EN: 1
; COMPUTE_PGM_RSRC2:TGID_Y_EN: 0
; COMPUTE_PGM_RSRC2:TGID_Z_EN: 0
; COMPUTE_PGM_RSRC2:TIDIG_COMP_CNT: 0
; COMPUTE_PGM_RSRC3_GFX90A:ACCUM_OFFSET: 0
; COMPUTE_PGM_RSRC3_GFX90A:TG_SPLIT: 0
	.section	.text._ZL30rocblas_reduction_kernel_part2ILi1024ELi4E25rocblas_finalize_identityfDF16_EviPT2_PT3_,"axG",@progbits,_ZL30rocblas_reduction_kernel_part2ILi1024ELi4E25rocblas_finalize_identityfDF16_EviPT2_PT3_,comdat
	.globl	_ZL30rocblas_reduction_kernel_part2ILi1024ELi4E25rocblas_finalize_identityfDF16_EviPT2_PT3_ ; -- Begin function _ZL30rocblas_reduction_kernel_part2ILi1024ELi4E25rocblas_finalize_identityfDF16_EviPT2_PT3_
	.p2align	8
	.type	_ZL30rocblas_reduction_kernel_part2ILi1024ELi4E25rocblas_finalize_identityfDF16_EviPT2_PT3_,@function
_ZL30rocblas_reduction_kernel_part2ILi1024ELi4E25rocblas_finalize_identityfDF16_EviPT2_PT3_: ; @_ZL30rocblas_reduction_kernel_part2ILi1024ELi4E25rocblas_finalize_identityfDF16_EviPT2_PT3_
; %bb.0:
	s_load_dword s12, s[4:5], 0x0
	s_load_dwordx4 s[0:3], s[4:5], 0x8
	v_lshlrev_b32_e32 v4, 2, v0
	s_mov_b32 s7, 0
	v_mov_b32_e32 v1, 0
	s_waitcnt lgkmcnt(0)
	s_ashr_i32 s8, s12, 31
	s_mul_i32 s5, s8, s6
	s_lshr_b32 s8, s8, 30
	s_add_i32 s8, s12, s8
	s_mul_hi_u32 s4, s12, s6
	s_and_b32 s13, s8, -4
	s_add_i32 s5, s4, s5
	s_mul_i32 s4, s12, s6
	v_cmp_gt_i32_e32 vcc, s13, v4
	s_and_saveexec_b64 s[8:9], vcc
	s_cbranch_execz .LBB381_4
; %bb.1:
	s_lshl_b64 s[10:11], s[4:5], 2
	s_add_u32 s10, s0, s10
	v_lshlrev_b32_e32 v2, 4, v0
	s_addc_u32 s11, s1, s11
	v_mov_b32_e32 v3, s11
	v_add_co_u32_e32 v2, vcc, s10, v2
	v_addc_co_u32_e32 v3, vcc, 0, v3, vcc
	v_add_co_u32_e32 v2, vcc, 8, v2
	v_mov_b32_e32 v1, 0
	v_addc_co_u32_e32 v3, vcc, 0, v3, vcc
	s_mov_b64 s[10:11], 0
.LBB381_2:                              ; =>This Inner Loop Header: Depth=1
	global_load_dwordx4 v[6:9], v[2:3], off offset:-8
	v_add_co_u32_e32 v2, vcc, 0x4000, v2
	v_add_u32_e32 v4, 0x1000, v4
	v_addc_co_u32_e32 v3, vcc, 0, v3, vcc
	v_cmp_le_i32_e32 vcc, s13, v4
	s_or_b64 s[10:11], vcc, s[10:11]
	s_waitcnt vmcnt(0)
	v_add_f32_e32 v1, v1, v6
	v_add_f32_e32 v1, v1, v7
	;; [unrolled: 1-line block ×4, first 2 shown]
	s_andn2_b64 exec, exec, s[10:11]
	s_cbranch_execnz .LBB381_2
; %bb.3:
	s_or_b64 exec, exec, s[10:11]
.LBB381_4:
	s_or_b64 exec, exec, s[8:9]
	s_sub_i32 s8, s12, s13
	v_cmp_gt_u32_e32 vcc, s8, v0
	s_and_saveexec_b64 s[8:9], vcc
	s_cbranch_execz .LBB381_6
; %bb.5:
	s_lshl_b64 s[4:5], s[4:5], 2
	s_add_u32 s0, s0, s4
	v_xad_u32 v2, v0, -1, s12
	v_mov_b32_e32 v3, 0
	s_addc_u32 s1, s1, s5
	v_lshlrev_b64 v[2:3], 2, v[2:3]
	v_mov_b32_e32 v4, s1
	v_add_co_u32_e32 v2, vcc, s0, v2
	v_addc_co_u32_e32 v3, vcc, v4, v3, vcc
	global_load_dword v2, v[2:3], off
	s_waitcnt vmcnt(0)
	v_add_f32_e32 v1, v1, v2
.LBB381_6:
	s_or_b64 exec, exec, s[8:9]
	v_and_b32_e32 v3, 63, v0
	v_cmp_gt_u32_e32 vcc, 64, v0
	v_lshlrev_b32_e32 v2, 2, v3
	s_and_saveexec_b64 s[0:1], vcc
	s_cbranch_execz .LBB381_8
; %bb.7:
	v_mov_b32_e32 v4, 0
	ds_write_b32 v2, v4
.LBB381_8:
	s_or_b64 exec, exec, s[0:1]
	v_mbcnt_lo_u32_b32 v4, -1, 0
	v_mbcnt_hi_u32_b32 v6, -1, v4
	v_and_b32_e32 v7, 63, v6
	v_cmp_gt_u32_e64 s[0:1], 32, v7
	v_cndmask_b32_e64 v4, 0, 1, s[0:1]
	v_lshlrev_b32_e32 v4, 5, v4
	v_add_lshl_u32 v4, v4, v6, 2
	ds_bpermute_b32 v4, v4, v1
	v_cmp_gt_u32_e64 s[0:1], 48, v7
	v_cndmask_b32_e64 v5, 0, 1, s[0:1]
	v_lshlrev_b32_e32 v5, 4, v5
	v_cmp_gt_u32_e64 s[0:1], 56, v7
	s_waitcnt lgkmcnt(0)
	v_add_f32_e32 v1, v1, v4
	v_add_lshl_u32 v4, v5, v6, 2
	ds_bpermute_b32 v4, v4, v1
	v_cndmask_b32_e64 v5, 0, 1, s[0:1]
	v_lshlrev_b32_e32 v5, 3, v5
	v_cmp_gt_u32_e64 s[0:1], 60, v7
	v_cndmask_b32_e64 v8, 0, 1, s[0:1]
	s_waitcnt lgkmcnt(0)
	v_add_f32_e32 v4, v1, v4
	v_add_lshl_u32 v1, v5, v6, 2
	ds_bpermute_b32 v5, v1, v4
	v_lshlrev_b32_e32 v8, 2, v8
	v_cmp_gt_u32_e64 s[0:1], 62, v7
	v_cndmask_b32_e64 v9, 0, 1, s[0:1]
	v_lshlrev_b32_e32 v9, 1, v9
	s_waitcnt lgkmcnt(0)
	v_add_f32_e32 v5, v4, v5
	v_add_lshl_u32 v4, v8, v6, 2
	ds_bpermute_b32 v8, v4, v5
	v_cmp_ne_u32_e64 s[0:1], 63, v7
	s_waitcnt lgkmcnt(0)
	s_barrier
	v_add_f32_e32 v8, v5, v8
	v_add_lshl_u32 v5, v9, v6, 2
	ds_bpermute_b32 v9, v5, v8
	v_addc_co_u32_e64 v6, s[0:1], 0, v6, s[0:1]
	v_lshlrev_b32_e32 v6, 2, v6
	v_cmp_eq_u32_e64 s[0:1], 0, v3
	s_waitcnt lgkmcnt(0)
	v_add_f32_e32 v7, v8, v9
	ds_bpermute_b32 v8, v6, v7
	s_and_saveexec_b64 s[4:5], s[0:1]
	s_cbranch_execz .LBB381_10
; %bb.9:
	s_waitcnt lgkmcnt(0)
	v_add_f32_e32 v3, v7, v8
	v_lshrrev_b32_e32 v7, 4, v0
	v_and_b32_e32 v7, 60, v7
	ds_write_b32 v7, v3
.LBB381_10:
	s_or_b64 exec, exec, s[4:5]
	v_cmp_gt_u32_e64 s[0:1], 16, v0
	v_mov_b32_e32 v3, 0
	s_waitcnt lgkmcnt(0)
	s_barrier
	s_and_saveexec_b64 s[4:5], s[0:1]
	s_cbranch_execnz .LBB381_14
; %bb.11:
	s_or_b64 exec, exec, s[4:5]
	s_and_saveexec_b64 s[0:1], vcc
	s_cbranch_execnz .LBB381_15
.LBB381_12:
	s_or_b64 exec, exec, s[0:1]
	v_cmp_eq_u32_e32 vcc, 0, v0
	s_and_saveexec_b64 s[0:1], vcc
	s_cbranch_execnz .LBB381_16
.LBB381_13:
	s_endpgm
.LBB381_14:
	ds_read_b32 v3, v2
	s_or_b64 exec, exec, s[4:5]
	s_and_saveexec_b64 s[0:1], vcc
	s_cbranch_execz .LBB381_12
.LBB381_15:
	s_waitcnt lgkmcnt(0)
	ds_bpermute_b32 v1, v1, v3
	s_waitcnt lgkmcnt(0)
	v_add_f32_e32 v1, v3, v1
	ds_bpermute_b32 v2, v4, v1
	s_waitcnt lgkmcnt(0)
	v_add_f32_e32 v1, v1, v2
	;; [unrolled: 3-line block ×4, first 2 shown]
	s_or_b64 exec, exec, s[0:1]
	v_cmp_eq_u32_e32 vcc, 0, v0
	s_and_saveexec_b64 s[0:1], vcc
	s_cbranch_execz .LBB381_13
.LBB381_16:
	s_waitcnt lgkmcnt(0)
	v_cvt_f16_f32_e32 v0, v3
	s_lshl_b64 s[0:1], s[6:7], 1
	s_add_u32 s0, s2, s0
	s_addc_u32 s1, s3, s1
	v_mov_b32_e32 v1, 0
	global_store_short v1, v0, s[0:1]
	s_endpgm
	.section	.rodata,"a",@progbits
	.p2align	6, 0x0
	.amdhsa_kernel _ZL30rocblas_reduction_kernel_part2ILi1024ELi4E25rocblas_finalize_identityfDF16_EviPT2_PT3_
		.amdhsa_group_segment_fixed_size 256
		.amdhsa_private_segment_fixed_size 0
		.amdhsa_kernarg_size 24
		.amdhsa_user_sgpr_count 6
		.amdhsa_user_sgpr_private_segment_buffer 1
		.amdhsa_user_sgpr_dispatch_ptr 0
		.amdhsa_user_sgpr_queue_ptr 0
		.amdhsa_user_sgpr_kernarg_segment_ptr 1
		.amdhsa_user_sgpr_dispatch_id 0
		.amdhsa_user_sgpr_flat_scratch_init 0
		.amdhsa_user_sgpr_kernarg_preload_length 0
		.amdhsa_user_sgpr_kernarg_preload_offset 0
		.amdhsa_user_sgpr_private_segment_size 0
		.amdhsa_uses_dynamic_stack 0
		.amdhsa_system_sgpr_private_segment_wavefront_offset 0
		.amdhsa_system_sgpr_workgroup_id_x 1
		.amdhsa_system_sgpr_workgroup_id_y 0
		.amdhsa_system_sgpr_workgroup_id_z 0
		.amdhsa_system_sgpr_workgroup_info 0
		.amdhsa_system_vgpr_workitem_id 0
		.amdhsa_next_free_vgpr 10
		.amdhsa_next_free_sgpr 14
		.amdhsa_accum_offset 12
		.amdhsa_reserve_vcc 1
		.amdhsa_reserve_flat_scratch 0
		.amdhsa_float_round_mode_32 0
		.amdhsa_float_round_mode_16_64 0
		.amdhsa_float_denorm_mode_32 3
		.amdhsa_float_denorm_mode_16_64 3
		.amdhsa_dx10_clamp 1
		.amdhsa_ieee_mode 1
		.amdhsa_fp16_overflow 0
		.amdhsa_tg_split 0
		.amdhsa_exception_fp_ieee_invalid_op 0
		.amdhsa_exception_fp_denorm_src 0
		.amdhsa_exception_fp_ieee_div_zero 0
		.amdhsa_exception_fp_ieee_overflow 0
		.amdhsa_exception_fp_ieee_underflow 0
		.amdhsa_exception_fp_ieee_inexact 0
		.amdhsa_exception_int_div_zero 0
	.end_amdhsa_kernel
	.section	.text._ZL30rocblas_reduction_kernel_part2ILi1024ELi4E25rocblas_finalize_identityfDF16_EviPT2_PT3_,"axG",@progbits,_ZL30rocblas_reduction_kernel_part2ILi1024ELi4E25rocblas_finalize_identityfDF16_EviPT2_PT3_,comdat
.Lfunc_end381:
	.size	_ZL30rocblas_reduction_kernel_part2ILi1024ELi4E25rocblas_finalize_identityfDF16_EviPT2_PT3_, .Lfunc_end381-_ZL30rocblas_reduction_kernel_part2ILi1024ELi4E25rocblas_finalize_identityfDF16_EviPT2_PT3_
                                        ; -- End function
	.section	.AMDGPU.csdata,"",@progbits
; Kernel info:
; codeLenInByte = 824
; NumSgprs: 18
; NumVgprs: 10
; NumAgprs: 0
; TotalNumVgprs: 10
; ScratchSize: 0
; MemoryBound: 0
; FloatMode: 240
; IeeeMode: 1
; LDSByteSize: 256 bytes/workgroup (compile time only)
; SGPRBlocks: 2
; VGPRBlocks: 1
; NumSGPRsForWavesPerEU: 18
; NumVGPRsForWavesPerEU: 10
; AccumOffset: 12
; Occupancy: 8
; WaveLimiterHint : 0
; COMPUTE_PGM_RSRC2:SCRATCH_EN: 0
; COMPUTE_PGM_RSRC2:USER_SGPR: 6
; COMPUTE_PGM_RSRC2:TRAP_HANDLER: 0
; COMPUTE_PGM_RSRC2:TGID_X_EN: 1
; COMPUTE_PGM_RSRC2:TGID_Y_EN: 0
; COMPUTE_PGM_RSRC2:TGID_Z_EN: 0
; COMPUTE_PGM_RSRC2:TIDIG_COMP_CNT: 0
; COMPUTE_PGM_RSRC3_GFX90A:ACCUM_OFFSET: 2
; COMPUTE_PGM_RSRC3_GFX90A:TG_SPLIT: 0
	.section	.text._ZL23rocblas_dot_kernel_inc1ILb0ELi512ELi8ELb0EDF16_PKDF16_fEviT4_llS2_lliPT5_PT3_,"axG",@progbits,_ZL23rocblas_dot_kernel_inc1ILb0ELi512ELi8ELb0EDF16_PKDF16_fEviT4_llS2_lliPT5_PT3_,comdat
	.globl	_ZL23rocblas_dot_kernel_inc1ILb0ELi512ELi8ELb0EDF16_PKDF16_fEviT4_llS2_lliPT5_PT3_ ; -- Begin function _ZL23rocblas_dot_kernel_inc1ILb0ELi512ELi8ELb0EDF16_PKDF16_fEviT4_llS2_lliPT5_PT3_
	.p2align	8
	.type	_ZL23rocblas_dot_kernel_inc1ILb0ELi512ELi8ELb0EDF16_PKDF16_fEviT4_llS2_lliPT5_PT3_,@function
_ZL23rocblas_dot_kernel_inc1ILb0ELi512ELi8ELb0EDF16_PKDF16_fEviT4_llS2_lliPT5_PT3_: ; @_ZL23rocblas_dot_kernel_inc1ILb0ELi512ELi8ELb0EDF16_PKDF16_fEviT4_llS2_lliPT5_PT3_
; %bb.0:
	s_mov_b32 s2, s7
	s_load_dword s18, s[4:5], 0x50
	s_load_dword s7, s[4:5], 0x0
	s_load_dwordx4 s[8:11], s[4:5], 0x40
	v_lshl_or_b32 v2, s6, 9, v0
	s_mov_b32 s3, 0
	v_mov_b32_e32 v1, 0
	s_waitcnt lgkmcnt(0)
	v_cmp_gt_i32_e32 vcc, s7, v2
	s_and_saveexec_b64 s[12:13], vcc
	s_cbranch_execz .LBB382_4
; %bb.1:
	s_load_dwordx4 s[20:23], s[4:5], 0x10
	s_load_dwordx2 s[0:1], s[4:5], 0x8
	s_load_dwordx2 s[14:15], s[4:5], 0x20
	s_load_dwordx4 s[24:27], s[4:5], 0x28
	v_ashrrev_i32_e32 v3, 31, v2
	s_waitcnt lgkmcnt(0)
	s_mul_i32 s4, s2, s23
	s_mul_hi_u32 s5, s2, s22
	s_add_i32 s5, s5, s4
	s_mul_i32 s4, s2, s22
	s_lshl_b64 s[4:5], s[4:5], 1
	s_add_u32 s4, s0, s4
	s_addc_u32 s5, s1, s5
	s_lshl_b64 s[0:1], s[20:21], 1
	s_add_u32 s19, s4, s0
	s_addc_u32 s21, s5, s1
	s_mul_i32 s0, s2, s27
	s_mul_hi_u32 s1, s2, s26
	s_add_i32 s1, s1, s0
	s_mul_i32 s0, s2, s26
	s_lshl_b64 s[0:1], s[0:1], 1
	s_add_u32 s4, s14, s0
	s_addc_u32 s5, s15, s1
	s_lshl_b64 s[0:1], s[24:25], 1
	s_add_u32 s20, s4, s0
	s_addc_u32 s0, s5, s1
	s_lshl_b32 s4, s18, 9
	s_ashr_i32 s5, s4, 31
	s_lshl_b64 s[16:17], s[4:5], 1
	v_add_u32_e32 v4, s4, v2
	v_lshlrev_b64 v[2:3], 1, v[2:3]
	s_mov_b64 s[14:15], 0
	v_mov_b32_e32 v1, 0
	v_mov_b32_e32 v5, s0
	;; [unrolled: 1-line block ×4, first 2 shown]
	s_mov_b32 s5, s3
.LBB382_2:                              ; =>This Inner Loop Header: Depth=1
	v_add_co_u32_e32 v8, vcc, s20, v2
	v_addc_co_u32_e32 v9, vcc, v5, v3, vcc
	v_add_co_u32_e32 v10, vcc, s19, v2
	v_addc_co_u32_e32 v11, vcc, v6, v3, vcc
	global_load_ushort v12, v[8:9], off
	global_load_ushort v13, v[10:11], off
	s_add_i32 s17, s5, 1
	v_add_co_u32_e64 v2, s[0:1], s16, v2
	v_addc_co_u32_e64 v3, s[0:1], v3, v7, s[0:1]
	s_cmp_gt_u32 s5, 6
	v_cmp_le_i32_e32 vcc, s7, v4
	s_cselect_b64 s[0:1], -1, 0
	s_or_b64 s[0:1], s[0:1], vcc
	s_and_b64 s[0:1], exec, s[0:1]
	v_add_u32_e32 v4, s4, v4
	s_mov_b32 s5, s17
	s_or_b64 s[14:15], s[0:1], s[14:15]
	s_waitcnt vmcnt(0)
	v_fma_mix_f32 v1, v12, v13, v1 op_sel_hi:[1,1,0]
	s_andn2_b64 exec, exec, s[14:15]
	s_cbranch_execnz .LBB382_2
; %bb.3:
	s_or_b64 exec, exec, s[14:15]
.LBB382_4:
	s_or_b64 exec, exec, s[12:13]
	v_and_b32_e32 v3, 63, v0
	v_cmp_gt_u32_e32 vcc, 64, v0
	v_lshlrev_b32_e32 v2, 2, v3
	s_and_saveexec_b64 s[0:1], vcc
	s_cbranch_execz .LBB382_6
; %bb.5:
	v_mov_b32_e32 v4, 0
	ds_write_b32 v2, v4
.LBB382_6:
	s_or_b64 exec, exec, s[0:1]
	v_mbcnt_lo_u32_b32 v4, -1, 0
	v_mbcnt_hi_u32_b32 v6, -1, v4
	v_and_b32_e32 v7, 63, v6
	v_cmp_gt_u32_e64 s[0:1], 32, v7
	v_cndmask_b32_e64 v4, 0, 1, s[0:1]
	v_lshlrev_b32_e32 v4, 5, v4
	v_add_lshl_u32 v4, v4, v6, 2
	ds_bpermute_b32 v4, v4, v1
	v_cmp_gt_u32_e64 s[0:1], 48, v7
	v_cndmask_b32_e64 v5, 0, 1, s[0:1]
	v_lshlrev_b32_e32 v5, 4, v5
	v_cmp_gt_u32_e64 s[0:1], 56, v7
	s_waitcnt lgkmcnt(0)
	v_add_f32_e32 v1, v1, v4
	v_add_lshl_u32 v4, v5, v6, 2
	ds_bpermute_b32 v4, v4, v1
	v_cndmask_b32_e64 v5, 0, 1, s[0:1]
	v_lshlrev_b32_e32 v5, 3, v5
	v_cmp_gt_u32_e64 s[0:1], 60, v7
	s_waitcnt lgkmcnt(0)
	v_add_f32_e32 v1, v1, v4
	v_add_lshl_u32 v4, v5, v6, 2
	ds_bpermute_b32 v4, v4, v1
	v_cndmask_b32_e64 v5, 0, 1, s[0:1]
	v_lshlrev_b32_e32 v5, 2, v5
	v_cmp_gt_u32_e64 s[0:1], 62, v7
	v_cndmask_b32_e64 v8, 0, 1, s[0:1]
	s_waitcnt lgkmcnt(0)
	v_add_f32_e32 v1, v1, v4
	v_add_lshl_u32 v4, v5, v6, 2
	ds_bpermute_b32 v5, v4, v1
	v_lshlrev_b32_e32 v8, 1, v8
	v_cmp_ne_u32_e64 s[0:1], 63, v7
	s_barrier
	s_waitcnt lgkmcnt(0)
	v_add_f32_e32 v1, v1, v5
	v_add_lshl_u32 v5, v8, v6, 2
	ds_bpermute_b32 v8, v5, v1
	v_addc_co_u32_e64 v6, s[0:1], 0, v6, s[0:1]
	v_lshlrev_b32_e32 v6, 2, v6
	v_cmp_eq_u32_e64 s[0:1], 0, v3
	s_waitcnt lgkmcnt(0)
	v_add_f32_e32 v1, v1, v8
	ds_bpermute_b32 v7, v6, v1
	s_and_saveexec_b64 s[4:5], s[0:1]
	s_cbranch_execz .LBB382_8
; %bb.7:
	v_lshrrev_b32_e32 v3, 4, v0
	s_waitcnt lgkmcnt(0)
	v_add_f32_e32 v1, v1, v7
	v_and_b32_e32 v3, 28, v3
	ds_write_b32 v3, v1
.LBB382_8:
	s_or_b64 exec, exec, s[4:5]
	v_cmp_gt_u32_e64 s[0:1], 8, v0
	v_mov_b32_e32 v1, 0
	s_waitcnt lgkmcnt(0)
	s_barrier
	s_and_saveexec_b64 s[4:5], s[0:1]
	s_cbranch_execnz .LBB382_12
; %bb.9:
	s_or_b64 exec, exec, s[4:5]
	s_and_saveexec_b64 s[0:1], vcc
	s_cbranch_execnz .LBB382_13
.LBB382_10:
	s_or_b64 exec, exec, s[0:1]
	v_cmp_eq_u32_e32 vcc, 0, v0
	s_and_saveexec_b64 s[0:1], vcc
	s_cbranch_execnz .LBB382_14
.LBB382_11:
	s_endpgm
.LBB382_12:
	ds_read_b32 v1, v2
	s_or_b64 exec, exec, s[4:5]
	s_and_saveexec_b64 s[0:1], vcc
	s_cbranch_execz .LBB382_10
.LBB382_13:
	s_waitcnt lgkmcnt(0)
	ds_bpermute_b32 v2, v4, v1
	s_waitcnt lgkmcnt(0)
	v_add_f32_e32 v1, v1, v2
	ds_bpermute_b32 v2, v5, v1
	s_waitcnt lgkmcnt(0)
	v_add_f32_e32 v1, v1, v2
	;; [unrolled: 3-line block ×3, first 2 shown]
	s_or_b64 exec, exec, s[0:1]
	v_cmp_eq_u32_e32 vcc, 0, v0
	s_and_saveexec_b64 s[0:1], vcc
	s_cbranch_execz .LBB382_11
.LBB382_14:
	s_cmp_lg_u32 s18, 1
	s_mov_b64 s[0:1], -1
	s_cbranch_scc0 .LBB382_16
; %bb.15:
	s_mul_hi_u32 s1, s18, s2
	s_mul_i32 s0, s18, s2
	s_lshl_b64 s[0:1], s[0:1], 2
	s_mov_b32 s7, 0
	s_add_u32 s4, s8, s0
	s_addc_u32 s5, s9, s1
	s_lshl_b64 s[0:1], s[6:7], 2
	s_add_u32 s0, s4, s0
	s_addc_u32 s1, s5, s1
	v_mov_b32_e32 v0, 0
	s_waitcnt lgkmcnt(0)
	global_store_dword v0, v1, s[0:1]
	s_mov_b64 s[0:1], 0
.LBB382_16:
	s_andn2_b64 vcc, exec, s[0:1]
	s_cbranch_vccnz .LBB382_11
; %bb.17:
	s_waitcnt lgkmcnt(0)
	v_cvt_f16_f32_e32 v0, v1
	s_lshl_b64 s[0:1], s[2:3], 1
	s_add_u32 s0, s10, s0
	s_addc_u32 s1, s11, s1
	v_mov_b32_e32 v1, 0
	global_store_short v1, v0, s[0:1]
	s_endpgm
	.section	.rodata,"a",@progbits
	.p2align	6, 0x0
	.amdhsa_kernel _ZL23rocblas_dot_kernel_inc1ILb0ELi512ELi8ELb0EDF16_PKDF16_fEviT4_llS2_lliPT5_PT3_
		.amdhsa_group_segment_fixed_size 256
		.amdhsa_private_segment_fixed_size 0
		.amdhsa_kernarg_size 336
		.amdhsa_user_sgpr_count 6
		.amdhsa_user_sgpr_private_segment_buffer 1
		.amdhsa_user_sgpr_dispatch_ptr 0
		.amdhsa_user_sgpr_queue_ptr 0
		.amdhsa_user_sgpr_kernarg_segment_ptr 1
		.amdhsa_user_sgpr_dispatch_id 0
		.amdhsa_user_sgpr_flat_scratch_init 0
		.amdhsa_user_sgpr_kernarg_preload_length 0
		.amdhsa_user_sgpr_kernarg_preload_offset 0
		.amdhsa_user_sgpr_private_segment_size 0
		.amdhsa_uses_dynamic_stack 0
		.amdhsa_system_sgpr_private_segment_wavefront_offset 0
		.amdhsa_system_sgpr_workgroup_id_x 1
		.amdhsa_system_sgpr_workgroup_id_y 0
		.amdhsa_system_sgpr_workgroup_id_z 1
		.amdhsa_system_sgpr_workgroup_info 0
		.amdhsa_system_vgpr_workitem_id 0
		.amdhsa_next_free_vgpr 14
		.amdhsa_next_free_sgpr 28
		.amdhsa_accum_offset 16
		.amdhsa_reserve_vcc 1
		.amdhsa_reserve_flat_scratch 0
		.amdhsa_float_round_mode_32 0
		.amdhsa_float_round_mode_16_64 0
		.amdhsa_float_denorm_mode_32 3
		.amdhsa_float_denorm_mode_16_64 3
		.amdhsa_dx10_clamp 1
		.amdhsa_ieee_mode 1
		.amdhsa_fp16_overflow 0
		.amdhsa_tg_split 0
		.amdhsa_exception_fp_ieee_invalid_op 0
		.amdhsa_exception_fp_denorm_src 0
		.amdhsa_exception_fp_ieee_div_zero 0
		.amdhsa_exception_fp_ieee_overflow 0
		.amdhsa_exception_fp_ieee_underflow 0
		.amdhsa_exception_fp_ieee_inexact 0
		.amdhsa_exception_int_div_zero 0
	.end_amdhsa_kernel
	.section	.text._ZL23rocblas_dot_kernel_inc1ILb0ELi512ELi8ELb0EDF16_PKDF16_fEviT4_llS2_lliPT5_PT3_,"axG",@progbits,_ZL23rocblas_dot_kernel_inc1ILb0ELi512ELi8ELb0EDF16_PKDF16_fEviT4_llS2_lliPT5_PT3_,comdat
.Lfunc_end382:
	.size	_ZL23rocblas_dot_kernel_inc1ILb0ELi512ELi8ELb0EDF16_PKDF16_fEviT4_llS2_lliPT5_PT3_, .Lfunc_end382-_ZL23rocblas_dot_kernel_inc1ILb0ELi512ELi8ELb0EDF16_PKDF16_fEviT4_llS2_lliPT5_PT3_
                                        ; -- End function
	.section	.AMDGPU.csdata,"",@progbits
; Kernel info:
; codeLenInByte = 952
; NumSgprs: 32
; NumVgprs: 14
; NumAgprs: 0
; TotalNumVgprs: 14
; ScratchSize: 0
; MemoryBound: 0
; FloatMode: 240
; IeeeMode: 1
; LDSByteSize: 256 bytes/workgroup (compile time only)
; SGPRBlocks: 3
; VGPRBlocks: 1
; NumSGPRsForWavesPerEU: 32
; NumVGPRsForWavesPerEU: 14
; AccumOffset: 16
; Occupancy: 8
; WaveLimiterHint : 0
; COMPUTE_PGM_RSRC2:SCRATCH_EN: 0
; COMPUTE_PGM_RSRC2:USER_SGPR: 6
; COMPUTE_PGM_RSRC2:TRAP_HANDLER: 0
; COMPUTE_PGM_RSRC2:TGID_X_EN: 1
; COMPUTE_PGM_RSRC2:TGID_Y_EN: 0
; COMPUTE_PGM_RSRC2:TGID_Z_EN: 1
; COMPUTE_PGM_RSRC2:TIDIG_COMP_CNT: 0
; COMPUTE_PGM_RSRC3_GFX90A:ACCUM_OFFSET: 3
; COMPUTE_PGM_RSRC3_GFX90A:TG_SPLIT: 0
	.section	.text._ZL18rocblas_dot_kernelIiLb0ELi512ELi8ELb0EDF16_PKDF16_fEviT5_lT_lS2_lS3_liPT6_PT4_,"axG",@progbits,_ZL18rocblas_dot_kernelIiLb0ELi512ELi8ELb0EDF16_PKDF16_fEviT5_lT_lS2_lS3_liPT6_PT4_,comdat
	.globl	_ZL18rocblas_dot_kernelIiLb0ELi512ELi8ELb0EDF16_PKDF16_fEviT5_lT_lS2_lS3_liPT6_PT4_ ; -- Begin function _ZL18rocblas_dot_kernelIiLb0ELi512ELi8ELb0EDF16_PKDF16_fEviT5_lT_lS2_lS3_liPT6_PT4_
	.p2align	8
	.type	_ZL18rocblas_dot_kernelIiLb0ELi512ELi8ELb0EDF16_PKDF16_fEviT5_lT_lS2_lS3_liPT6_PT4_,@function
_ZL18rocblas_dot_kernelIiLb0ELi512ELi8ELb0EDF16_PKDF16_fEviT5_lT_lS2_lS3_liPT6_PT4_: ; @_ZL18rocblas_dot_kernelIiLb0ELi512ELi8ELb0EDF16_PKDF16_fEviT5_lT_lS2_lS3_liPT6_PT4_
; %bb.0:
	s_mov_b32 s12, s7
	s_load_dword s18, s[4:5], 0x60
	s_load_dword s7, s[4:5], 0x0
	s_load_dwordx4 s[8:11], s[4:5], 0x50
	v_lshl_or_b32 v4, s6, 9, v0
	s_mov_b32 s13, 0
	v_mov_b32_e32 v6, 0
	s_waitcnt lgkmcnt(0)
	v_cmp_gt_i32_e32 vcc, s7, v4
	s_and_saveexec_b64 s[14:15], vcc
	s_cbranch_execz .LBB383_4
; %bb.1:
	s_load_dwordx4 s[20:23], s[4:5], 0x8
	s_load_dword s26, s[4:5], 0x18
	s_load_dwordx4 s[0:3], s[4:5], 0x20
	s_load_dwordx2 s[16:17], s[4:5], 0x30
	s_load_dword s27, s[4:5], 0x38
	s_load_dwordx2 s[24:25], s[4:5], 0x40
	s_waitcnt lgkmcnt(0)
	v_mad_i64_i32 v[2:3], s[4:5], s26, v4, 0
	s_mul_i32 s1, s1, s12
	s_mul_hi_u32 s4, s0, s12
	s_add_i32 s1, s4, s1
	s_mul_i32 s0, s0, s12
	s_lshl_b32 s19, s18, 9
	s_lshl_b64 s[0:1], s[0:1], 1
	s_lshl_b64 s[4:5], s[22:23], 1
	s_add_u32 s4, s20, s4
	s_addc_u32 s5, s21, s5
	s_add_u32 s0, s4, s0
	v_lshlrev_b64 v[2:3], 1, v[2:3]
	s_addc_u32 s1, s5, s1
	v_mov_b32_e32 v5, s1
	v_add_co_u32_e32 v2, vcc, s0, v2
	s_mul_hi_i32 s1, s26, s19
	s_mul_i32 s0, s26, s19
	v_add_u32_e32 v1, s19, v4
	v_addc_co_u32_e32 v3, vcc, v5, v3, vcc
	s_lshl_b64 s[4:5], s[0:1], 1
	v_mad_i64_i32 v[4:5], s[0:1], s27, v4, 0
	s_mul_i32 s0, s25, s12
	s_mul_hi_u32 s1, s24, s12
	s_add_i32 s1, s1, s0
	s_mul_i32 s0, s24, s12
	s_lshl_b64 s[0:1], s[0:1], 1
	s_lshl_b64 s[16:17], s[16:17], 1
	s_add_u32 s2, s2, s16
	s_addc_u32 s3, s3, s17
	s_add_u32 s0, s2, s0
	v_lshlrev_b64 v[4:5], 1, v[4:5]
	s_addc_u32 s1, s3, s1
	v_mov_b32_e32 v6, s1
	v_add_co_u32_e32 v4, vcc, s0, v4
	s_mul_hi_i32 s1, s27, s19
	s_mul_i32 s0, s27, s19
	s_lshl_b64 s[16:17], s[0:1], 1
	v_addc_co_u32_e32 v5, vcc, v6, v5, vcc
	s_mov_b64 s[2:3], 0
	v_mov_b32_e32 v6, 0
	v_mov_b32_e32 v7, s5
	;; [unrolled: 1-line block ×3, first 2 shown]
	s_mov_b32 s5, s13
.LBB383_2:                              ; =>This Inner Loop Header: Depth=1
	global_load_ushort v9, v[4:5], off
	global_load_ushort v10, v[2:3], off
	v_add_co_u32_e64 v2, s[0:1], s4, v2
	v_addc_co_u32_e64 v3, s[0:1], v3, v7, s[0:1]
	s_add_i32 s17, s5, 1
	v_add_co_u32_e64 v4, s[0:1], s16, v4
	v_addc_co_u32_e64 v5, s[0:1], v5, v8, s[0:1]
	s_cmp_gt_u32 s5, 6
	v_cmp_le_i32_e32 vcc, s7, v1
	s_cselect_b64 s[0:1], -1, 0
	s_or_b64 s[0:1], s[0:1], vcc
	s_and_b64 s[0:1], exec, s[0:1]
	v_add_u32_e32 v1, s19, v1
	s_mov_b32 s5, s17
	s_or_b64 s[2:3], s[0:1], s[2:3]
	s_waitcnt vmcnt(0)
	v_fma_mix_f32 v6, v9, v10, v6 op_sel_hi:[1,1,0]
	s_andn2_b64 exec, exec, s[2:3]
	s_cbranch_execnz .LBB383_2
; %bb.3:
	s_or_b64 exec, exec, s[2:3]
.LBB383_4:
	s_or_b64 exec, exec, s[14:15]
	v_and_b32_e32 v2, 63, v0
	v_cmp_gt_u32_e32 vcc, 64, v0
	v_lshlrev_b32_e32 v1, 2, v2
	s_and_saveexec_b64 s[0:1], vcc
	s_cbranch_execz .LBB383_6
; %bb.5:
	v_mov_b32_e32 v3, 0
	ds_write_b32 v1, v3
.LBB383_6:
	s_or_b64 exec, exec, s[0:1]
	v_mbcnt_lo_u32_b32 v3, -1, 0
	v_mbcnt_hi_u32_b32 v5, -1, v3
	v_and_b32_e32 v7, 63, v5
	v_cmp_gt_u32_e64 s[0:1], 32, v7
	v_cndmask_b32_e64 v3, 0, 1, s[0:1]
	v_lshlrev_b32_e32 v3, 5, v3
	v_add_lshl_u32 v3, v3, v5, 2
	ds_bpermute_b32 v3, v3, v6
	v_cmp_gt_u32_e64 s[0:1], 48, v7
	v_cndmask_b32_e64 v4, 0, 1, s[0:1]
	v_lshlrev_b32_e32 v4, 4, v4
	v_add_lshl_u32 v4, v4, v5, 2
	s_waitcnt lgkmcnt(0)
	v_add_f32_e32 v3, v6, v3
	ds_bpermute_b32 v4, v4, v3
	v_cmp_gt_u32_e64 s[0:1], 56, v7
	v_cndmask_b32_e64 v6, 0, 1, s[0:1]
	v_lshlrev_b32_e32 v6, 3, v6
	v_cmp_gt_u32_e64 s[0:1], 60, v7
	s_waitcnt lgkmcnt(0)
	v_add_f32_e32 v3, v3, v4
	v_add_lshl_u32 v4, v6, v5, 2
	ds_bpermute_b32 v4, v4, v3
	v_cndmask_b32_e64 v6, 0, 1, s[0:1]
	v_lshlrev_b32_e32 v6, 2, v6
	v_cmp_gt_u32_e64 s[0:1], 62, v7
	v_cndmask_b32_e64 v8, 0, 1, s[0:1]
	s_waitcnt lgkmcnt(0)
	v_add_f32_e32 v4, v3, v4
	v_add_lshl_u32 v3, v6, v5, 2
	ds_bpermute_b32 v6, v3, v4
	v_lshlrev_b32_e32 v8, 1, v8
	v_cmp_ne_u32_e64 s[0:1], 63, v7
	s_waitcnt lgkmcnt(0)
	s_barrier
	v_add_f32_e32 v6, v4, v6
	v_add_lshl_u32 v4, v8, v5, 2
	ds_bpermute_b32 v8, v4, v6
	v_addc_co_u32_e64 v5, s[0:1], 0, v5, s[0:1]
	v_lshlrev_b32_e32 v5, 2, v5
	v_cmp_eq_u32_e64 s[0:1], 0, v2
	s_waitcnt lgkmcnt(0)
	v_add_f32_e32 v6, v6, v8
	ds_bpermute_b32 v7, v5, v6
	s_waitcnt lgkmcnt(0)
	s_and_saveexec_b64 s[2:3], s[0:1]
	s_cbranch_execz .LBB383_8
; %bb.7:
	v_add_f32_e32 v2, v6, v7
	v_lshrrev_b32_e32 v6, 4, v0
	v_and_b32_e32 v6, 28, v6
	ds_write_b32 v6, v2
.LBB383_8:
	s_or_b64 exec, exec, s[2:3]
	v_cmp_gt_u32_e64 s[0:1], 8, v0
	v_mov_b32_e32 v2, 0
	s_waitcnt lgkmcnt(0)
	s_barrier
	s_and_saveexec_b64 s[2:3], s[0:1]
	s_cbranch_execnz .LBB383_12
; %bb.9:
	s_or_b64 exec, exec, s[2:3]
	s_and_saveexec_b64 s[0:1], vcc
	s_cbranch_execnz .LBB383_13
.LBB383_10:
	s_or_b64 exec, exec, s[0:1]
	v_cmp_eq_u32_e32 vcc, 0, v0
	s_and_saveexec_b64 s[0:1], vcc
	s_cbranch_execnz .LBB383_14
.LBB383_11:
	s_endpgm
.LBB383_12:
	ds_read_b32 v2, v1
	s_or_b64 exec, exec, s[2:3]
	s_and_saveexec_b64 s[0:1], vcc
	s_cbranch_execz .LBB383_10
.LBB383_13:
	s_waitcnt lgkmcnt(0)
	ds_bpermute_b32 v1, v3, v2
	s_waitcnt lgkmcnt(0)
	v_add_f32_e32 v1, v2, v1
	ds_bpermute_b32 v2, v4, v1
	s_waitcnt lgkmcnt(0)
	v_add_f32_e32 v1, v1, v2
	;; [unrolled: 3-line block ×3, first 2 shown]
	s_or_b64 exec, exec, s[0:1]
	v_cmp_eq_u32_e32 vcc, 0, v0
	s_and_saveexec_b64 s[0:1], vcc
	s_cbranch_execz .LBB383_11
.LBB383_14:
	s_cmp_lg_u32 s18, 1
	s_mov_b64 s[0:1], -1
	s_cbranch_scc0 .LBB383_16
; %bb.15:
	s_mul_hi_u32 s1, s18, s12
	s_mul_i32 s0, s18, s12
	s_lshl_b64 s[0:1], s[0:1], 2
	s_mov_b32 s7, 0
	s_add_u32 s2, s8, s0
	s_addc_u32 s3, s9, s1
	s_lshl_b64 s[0:1], s[6:7], 2
	s_add_u32 s0, s2, s0
	s_addc_u32 s1, s3, s1
	v_mov_b32_e32 v0, 0
	s_waitcnt lgkmcnt(0)
	global_store_dword v0, v2, s[0:1]
	s_mov_b64 s[0:1], 0
.LBB383_16:
	s_andn2_b64 vcc, exec, s[0:1]
	s_cbranch_vccnz .LBB383_11
; %bb.17:
	s_waitcnt lgkmcnt(0)
	v_cvt_f16_f32_e32 v0, v2
	s_lshl_b64 s[0:1], s[12:13], 1
	s_add_u32 s0, s10, s0
	s_addc_u32 s1, s11, s1
	v_mov_b32_e32 v1, 0
	global_store_short v1, v0, s[0:1]
	s_endpgm
	.section	.rodata,"a",@progbits
	.p2align	6, 0x0
	.amdhsa_kernel _ZL18rocblas_dot_kernelIiLb0ELi512ELi8ELb0EDF16_PKDF16_fEviT5_lT_lS2_lS3_liPT6_PT4_
		.amdhsa_group_segment_fixed_size 256
		.amdhsa_private_segment_fixed_size 0
		.amdhsa_kernarg_size 352
		.amdhsa_user_sgpr_count 6
		.amdhsa_user_sgpr_private_segment_buffer 1
		.amdhsa_user_sgpr_dispatch_ptr 0
		.amdhsa_user_sgpr_queue_ptr 0
		.amdhsa_user_sgpr_kernarg_segment_ptr 1
		.amdhsa_user_sgpr_dispatch_id 0
		.amdhsa_user_sgpr_flat_scratch_init 0
		.amdhsa_user_sgpr_kernarg_preload_length 0
		.amdhsa_user_sgpr_kernarg_preload_offset 0
		.amdhsa_user_sgpr_private_segment_size 0
		.amdhsa_uses_dynamic_stack 0
		.amdhsa_system_sgpr_private_segment_wavefront_offset 0
		.amdhsa_system_sgpr_workgroup_id_x 1
		.amdhsa_system_sgpr_workgroup_id_y 0
		.amdhsa_system_sgpr_workgroup_id_z 1
		.amdhsa_system_sgpr_workgroup_info 0
		.amdhsa_system_vgpr_workitem_id 0
		.amdhsa_next_free_vgpr 11
		.amdhsa_next_free_sgpr 28
		.amdhsa_accum_offset 12
		.amdhsa_reserve_vcc 1
		.amdhsa_reserve_flat_scratch 0
		.amdhsa_float_round_mode_32 0
		.amdhsa_float_round_mode_16_64 0
		.amdhsa_float_denorm_mode_32 3
		.amdhsa_float_denorm_mode_16_64 3
		.amdhsa_dx10_clamp 1
		.amdhsa_ieee_mode 1
		.amdhsa_fp16_overflow 0
		.amdhsa_tg_split 0
		.amdhsa_exception_fp_ieee_invalid_op 0
		.amdhsa_exception_fp_denorm_src 0
		.amdhsa_exception_fp_ieee_div_zero 0
		.amdhsa_exception_fp_ieee_overflow 0
		.amdhsa_exception_fp_ieee_underflow 0
		.amdhsa_exception_fp_ieee_inexact 0
		.amdhsa_exception_int_div_zero 0
	.end_amdhsa_kernel
	.section	.text._ZL18rocblas_dot_kernelIiLb0ELi512ELi8ELb0EDF16_PKDF16_fEviT5_lT_lS2_lS3_liPT6_PT4_,"axG",@progbits,_ZL18rocblas_dot_kernelIiLb0ELi512ELi8ELb0EDF16_PKDF16_fEviT5_lT_lS2_lS3_liPT6_PT4_,comdat
.Lfunc_end383:
	.size	_ZL18rocblas_dot_kernelIiLb0ELi512ELi8ELb0EDF16_PKDF16_fEviT5_lT_lS2_lS3_liPT6_PT4_, .Lfunc_end383-_ZL18rocblas_dot_kernelIiLb0ELi512ELi8ELb0EDF16_PKDF16_fEviT5_lT_lS2_lS3_liPT6_PT4_
                                        ; -- End function
	.section	.AMDGPU.csdata,"",@progbits
; Kernel info:
; codeLenInByte = 1024
; NumSgprs: 32
; NumVgprs: 11
; NumAgprs: 0
; TotalNumVgprs: 11
; ScratchSize: 0
; MemoryBound: 0
; FloatMode: 240
; IeeeMode: 1
; LDSByteSize: 256 bytes/workgroup (compile time only)
; SGPRBlocks: 3
; VGPRBlocks: 1
; NumSGPRsForWavesPerEU: 32
; NumVGPRsForWavesPerEU: 11
; AccumOffset: 12
; Occupancy: 8
; WaveLimiterHint : 0
; COMPUTE_PGM_RSRC2:SCRATCH_EN: 0
; COMPUTE_PGM_RSRC2:USER_SGPR: 6
; COMPUTE_PGM_RSRC2:TRAP_HANDLER: 0
; COMPUTE_PGM_RSRC2:TGID_X_EN: 1
; COMPUTE_PGM_RSRC2:TGID_Y_EN: 0
; COMPUTE_PGM_RSRC2:TGID_Z_EN: 1
; COMPUTE_PGM_RSRC2:TIDIG_COMP_CNT: 0
; COMPUTE_PGM_RSRC3_GFX90A:ACCUM_OFFSET: 2
; COMPUTE_PGM_RSRC3_GFX90A:TG_SPLIT: 0
	.section	.text._ZL24rocblas_dot_kernel_magsqIiLb0ELi512ELi8ELb0EDF16_PKDF16_fEviT5_lT_liPT6_PT4_,"axG",@progbits,_ZL24rocblas_dot_kernel_magsqIiLb0ELi512ELi8ELb0EDF16_PKDF16_fEviT5_lT_liPT6_PT4_,comdat
	.globl	_ZL24rocblas_dot_kernel_magsqIiLb0ELi512ELi8ELb0EDF16_PKDF16_fEviT5_lT_liPT6_PT4_ ; -- Begin function _ZL24rocblas_dot_kernel_magsqIiLb0ELi512ELi8ELb0EDF16_PKDF16_fEviT5_lT_liPT6_PT4_
	.p2align	8
	.type	_ZL24rocblas_dot_kernel_magsqIiLb0ELi512ELi8ELb0EDF16_PKDF16_fEviT5_lT_liPT6_PT4_,@function
_ZL24rocblas_dot_kernel_magsqIiLb0ELi512ELi8ELb0EDF16_PKDF16_fEviT5_lT_liPT6_PT4_: ; @_ZL24rocblas_dot_kernel_magsqIiLb0ELi512ELi8ELb0EDF16_PKDF16_fEviT5_lT_liPT6_PT4_
; %bb.0:
	s_mov_b32 s2, s7
	s_load_dword s7, s[4:5], 0x0
	s_load_dwordx4 s[8:11], s[4:5], 0x30
	s_load_dword s16, s[4:5], 0x40
	v_lshl_or_b32 v2, s6, 9, v0
	s_mov_b32 s3, 0
	s_waitcnt lgkmcnt(0)
	v_cmp_gt_i32_e32 vcc, s7, v2
	v_mov_b32_e32 v1, 0
	s_and_saveexec_b64 s[12:13], vcc
	s_cbranch_execz .LBB384_4
; %bb.1:
	s_load_dwordx4 s[20:23], s[4:5], 0x8
	s_load_dword s14, s[4:5], 0x18
	s_load_dwordx2 s[0:1], s[4:5], 0x20
	s_lshl_b32 s17, s16, 9
	v_add_u32_e32 v4, s17, v2
	s_waitcnt lgkmcnt(0)
	v_mad_i64_i32 v[2:3], s[4:5], s14, v2, 0
	s_mul_i32 s1, s1, s2
	s_mul_hi_u32 s4, s0, s2
	s_add_i32 s1, s4, s1
	s_mul_i32 s0, s0, s2
	s_lshl_b64 s[0:1], s[0:1], 1
	s_lshl_b64 s[4:5], s[22:23], 1
	s_add_u32 s4, s20, s4
	s_addc_u32 s5, s21, s5
	s_add_u32 s0, s4, s0
	v_lshlrev_b64 v[2:3], 1, v[2:3]
	s_addc_u32 s1, s5, s1
	v_mov_b32_e32 v1, s1
	v_add_co_u32_e32 v2, vcc, s0, v2
	s_mul_hi_i32 s1, s14, s17
	s_mul_i32 s0, s14, s17
	s_lshl_b64 s[14:15], s[0:1], 1
	v_addc_co_u32_e32 v3, vcc, v1, v3, vcc
	s_mov_b64 s[4:5], 0
	v_mov_b32_e32 v1, 0
	v_mov_b32_e32 v5, s15
	s_mov_b32 s15, s3
.LBB384_2:                              ; =>This Inner Loop Header: Depth=1
	global_load_ushort v6, v[2:3], off
	s_add_i32 s18, s15, 1
	v_add_co_u32_e64 v2, s[0:1], s14, v2
	v_addc_co_u32_e64 v3, s[0:1], v3, v5, s[0:1]
	s_cmp_gt_u32 s15, 6
	v_cmp_le_i32_e32 vcc, s7, v4
	s_cselect_b64 s[0:1], -1, 0
	s_or_b64 s[0:1], s[0:1], vcc
	s_and_b64 s[0:1], exec, s[0:1]
	v_add_u32_e32 v4, s17, v4
	s_mov_b32 s15, s18
	s_or_b64 s[4:5], s[0:1], s[4:5]
	s_waitcnt vmcnt(0)
	v_fma_mix_f32 v1, v6, v6, v1 op_sel_hi:[1,1,0]
	s_andn2_b64 exec, exec, s[4:5]
	s_cbranch_execnz .LBB384_2
; %bb.3:
	s_or_b64 exec, exec, s[4:5]
.LBB384_4:
	s_or_b64 exec, exec, s[12:13]
	v_and_b32_e32 v3, 63, v0
	v_cmp_gt_u32_e32 vcc, 64, v0
	v_lshlrev_b32_e32 v2, 2, v3
	s_and_saveexec_b64 s[0:1], vcc
	s_cbranch_execz .LBB384_6
; %bb.5:
	v_mov_b32_e32 v4, 0
	ds_write_b32 v2, v4
.LBB384_6:
	s_or_b64 exec, exec, s[0:1]
	v_mbcnt_lo_u32_b32 v4, -1, 0
	v_mbcnt_hi_u32_b32 v6, -1, v4
	v_and_b32_e32 v7, 63, v6
	v_cmp_gt_u32_e64 s[0:1], 32, v7
	v_cndmask_b32_e64 v4, 0, 1, s[0:1]
	v_lshlrev_b32_e32 v4, 5, v4
	v_add_lshl_u32 v4, v4, v6, 2
	ds_bpermute_b32 v4, v4, v1
	v_cmp_gt_u32_e64 s[0:1], 48, v7
	v_cndmask_b32_e64 v5, 0, 1, s[0:1]
	v_lshlrev_b32_e32 v5, 4, v5
	v_cmp_gt_u32_e64 s[0:1], 56, v7
	s_waitcnt lgkmcnt(0)
	v_add_f32_e32 v1, v1, v4
	v_add_lshl_u32 v4, v5, v6, 2
	ds_bpermute_b32 v4, v4, v1
	v_cndmask_b32_e64 v5, 0, 1, s[0:1]
	v_lshlrev_b32_e32 v5, 3, v5
	v_cmp_gt_u32_e64 s[0:1], 60, v7
	s_waitcnt lgkmcnt(0)
	v_add_f32_e32 v1, v1, v4
	v_add_lshl_u32 v4, v5, v6, 2
	ds_bpermute_b32 v4, v4, v1
	v_cndmask_b32_e64 v5, 0, 1, s[0:1]
	v_lshlrev_b32_e32 v5, 2, v5
	v_cmp_gt_u32_e64 s[0:1], 62, v7
	v_cndmask_b32_e64 v8, 0, 1, s[0:1]
	s_waitcnt lgkmcnt(0)
	v_add_f32_e32 v1, v1, v4
	v_add_lshl_u32 v4, v5, v6, 2
	ds_bpermute_b32 v5, v4, v1
	v_lshlrev_b32_e32 v8, 1, v8
	v_cmp_ne_u32_e64 s[0:1], 63, v7
	s_barrier
	s_waitcnt lgkmcnt(0)
	v_add_f32_e32 v1, v1, v5
	v_add_lshl_u32 v5, v8, v6, 2
	ds_bpermute_b32 v8, v5, v1
	v_addc_co_u32_e64 v6, s[0:1], 0, v6, s[0:1]
	v_lshlrev_b32_e32 v6, 2, v6
	v_cmp_eq_u32_e64 s[0:1], 0, v3
	s_waitcnt lgkmcnt(0)
	v_add_f32_e32 v1, v1, v8
	ds_bpermute_b32 v7, v6, v1
	s_and_saveexec_b64 s[4:5], s[0:1]
	s_cbranch_execz .LBB384_8
; %bb.7:
	v_lshrrev_b32_e32 v3, 4, v0
	s_waitcnt lgkmcnt(0)
	v_add_f32_e32 v1, v1, v7
	v_and_b32_e32 v3, 28, v3
	ds_write_b32 v3, v1
.LBB384_8:
	s_or_b64 exec, exec, s[4:5]
	v_cmp_gt_u32_e64 s[0:1], 8, v0
	v_mov_b32_e32 v1, 0
	s_waitcnt lgkmcnt(0)
	s_barrier
	s_and_saveexec_b64 s[4:5], s[0:1]
	s_cbranch_execnz .LBB384_12
; %bb.9:
	s_or_b64 exec, exec, s[4:5]
	s_and_saveexec_b64 s[0:1], vcc
	s_cbranch_execnz .LBB384_13
.LBB384_10:
	s_or_b64 exec, exec, s[0:1]
	v_cmp_eq_u32_e32 vcc, 0, v0
	s_and_saveexec_b64 s[0:1], vcc
	s_cbranch_execnz .LBB384_14
.LBB384_11:
	s_endpgm
.LBB384_12:
	ds_read_b32 v1, v2
	s_or_b64 exec, exec, s[4:5]
	s_and_saveexec_b64 s[0:1], vcc
	s_cbranch_execz .LBB384_10
.LBB384_13:
	s_waitcnt lgkmcnt(0)
	ds_bpermute_b32 v2, v4, v1
	s_waitcnt lgkmcnt(0)
	v_add_f32_e32 v1, v1, v2
	ds_bpermute_b32 v2, v5, v1
	s_waitcnt lgkmcnt(0)
	v_add_f32_e32 v1, v1, v2
	;; [unrolled: 3-line block ×3, first 2 shown]
	s_or_b64 exec, exec, s[0:1]
	v_cmp_eq_u32_e32 vcc, 0, v0
	s_and_saveexec_b64 s[0:1], vcc
	s_cbranch_execz .LBB384_11
.LBB384_14:
	s_cmp_lg_u32 s16, 1
	s_mov_b64 s[0:1], -1
	s_cbranch_scc0 .LBB384_16
; %bb.15:
	s_mul_hi_u32 s1, s16, s2
	s_mul_i32 s0, s16, s2
	s_lshl_b64 s[0:1], s[0:1], 2
	s_mov_b32 s7, 0
	s_add_u32 s4, s8, s0
	s_addc_u32 s5, s9, s1
	s_lshl_b64 s[0:1], s[6:7], 2
	s_add_u32 s0, s4, s0
	s_addc_u32 s1, s5, s1
	v_mov_b32_e32 v0, 0
	s_waitcnt lgkmcnt(0)
	global_store_dword v0, v1, s[0:1]
	s_mov_b64 s[0:1], 0
.LBB384_16:
	s_andn2_b64 vcc, exec, s[0:1]
	s_cbranch_vccnz .LBB384_11
; %bb.17:
	s_waitcnt lgkmcnt(0)
	v_cvt_f16_f32_e32 v0, v1
	s_lshl_b64 s[0:1], s[2:3], 1
	s_add_u32 s0, s10, s0
	s_addc_u32 s1, s11, s1
	v_mov_b32_e32 v1, 0
	global_store_short v1, v0, s[0:1]
	s_endpgm
	.section	.rodata,"a",@progbits
	.p2align	6, 0x0
	.amdhsa_kernel _ZL24rocblas_dot_kernel_magsqIiLb0ELi512ELi8ELb0EDF16_PKDF16_fEviT5_lT_liPT6_PT4_
		.amdhsa_group_segment_fixed_size 256
		.amdhsa_private_segment_fixed_size 0
		.amdhsa_kernarg_size 320
		.amdhsa_user_sgpr_count 6
		.amdhsa_user_sgpr_private_segment_buffer 1
		.amdhsa_user_sgpr_dispatch_ptr 0
		.amdhsa_user_sgpr_queue_ptr 0
		.amdhsa_user_sgpr_kernarg_segment_ptr 1
		.amdhsa_user_sgpr_dispatch_id 0
		.amdhsa_user_sgpr_flat_scratch_init 0
		.amdhsa_user_sgpr_kernarg_preload_length 0
		.amdhsa_user_sgpr_kernarg_preload_offset 0
		.amdhsa_user_sgpr_private_segment_size 0
		.amdhsa_uses_dynamic_stack 0
		.amdhsa_system_sgpr_private_segment_wavefront_offset 0
		.amdhsa_system_sgpr_workgroup_id_x 1
		.amdhsa_system_sgpr_workgroup_id_y 0
		.amdhsa_system_sgpr_workgroup_id_z 1
		.amdhsa_system_sgpr_workgroup_info 0
		.amdhsa_system_vgpr_workitem_id 0
		.amdhsa_next_free_vgpr 9
		.amdhsa_next_free_sgpr 24
		.amdhsa_accum_offset 12
		.amdhsa_reserve_vcc 1
		.amdhsa_reserve_flat_scratch 0
		.amdhsa_float_round_mode_32 0
		.amdhsa_float_round_mode_16_64 0
		.amdhsa_float_denorm_mode_32 3
		.amdhsa_float_denorm_mode_16_64 3
		.amdhsa_dx10_clamp 1
		.amdhsa_ieee_mode 1
		.amdhsa_fp16_overflow 0
		.amdhsa_tg_split 0
		.amdhsa_exception_fp_ieee_invalid_op 0
		.amdhsa_exception_fp_denorm_src 0
		.amdhsa_exception_fp_ieee_div_zero 0
		.amdhsa_exception_fp_ieee_overflow 0
		.amdhsa_exception_fp_ieee_underflow 0
		.amdhsa_exception_fp_ieee_inexact 0
		.amdhsa_exception_int_div_zero 0
	.end_amdhsa_kernel
	.section	.text._ZL24rocblas_dot_kernel_magsqIiLb0ELi512ELi8ELb0EDF16_PKDF16_fEviT5_lT_liPT6_PT4_,"axG",@progbits,_ZL24rocblas_dot_kernel_magsqIiLb0ELi512ELi8ELb0EDF16_PKDF16_fEviT5_lT_liPT6_PT4_,comdat
.Lfunc_end384:
	.size	_ZL24rocblas_dot_kernel_magsqIiLb0ELi512ELi8ELb0EDF16_PKDF16_fEviT5_lT_liPT6_PT4_, .Lfunc_end384-_ZL24rocblas_dot_kernel_magsqIiLb0ELi512ELi8ELb0EDF16_PKDF16_fEviT5_lT_liPT6_PT4_
                                        ; -- End function
	.section	.AMDGPU.csdata,"",@progbits
; Kernel info:
; codeLenInByte = 892
; NumSgprs: 28
; NumVgprs: 9
; NumAgprs: 0
; TotalNumVgprs: 9
; ScratchSize: 0
; MemoryBound: 0
; FloatMode: 240
; IeeeMode: 1
; LDSByteSize: 256 bytes/workgroup (compile time only)
; SGPRBlocks: 3
; VGPRBlocks: 1
; NumSGPRsForWavesPerEU: 28
; NumVGPRsForWavesPerEU: 9
; AccumOffset: 12
; Occupancy: 8
; WaveLimiterHint : 0
; COMPUTE_PGM_RSRC2:SCRATCH_EN: 0
; COMPUTE_PGM_RSRC2:USER_SGPR: 6
; COMPUTE_PGM_RSRC2:TRAP_HANDLER: 0
; COMPUTE_PGM_RSRC2:TGID_X_EN: 1
; COMPUTE_PGM_RSRC2:TGID_Y_EN: 0
; COMPUTE_PGM_RSRC2:TGID_Z_EN: 1
; COMPUTE_PGM_RSRC2:TIDIG_COMP_CNT: 0
; COMPUTE_PGM_RSRC3_GFX90A:ACCUM_OFFSET: 2
; COMPUTE_PGM_RSRC3_GFX90A:TG_SPLIT: 0
	.section	.text._ZL28rocblas_dot_batched_4_kernelIiLi32ELi4ELb0EffPKDF16_EviT5_lT_lS2_lS3_liPT4_,"axG",@progbits,_ZL28rocblas_dot_batched_4_kernelIiLi32ELi4ELb0EffPKDF16_EviT5_lT_lS2_lS3_liPT4_,comdat
	.globl	_ZL28rocblas_dot_batched_4_kernelIiLi32ELi4ELb0EffPKDF16_EviT5_lT_lS2_lS3_liPT4_ ; -- Begin function _ZL28rocblas_dot_batched_4_kernelIiLi32ELi4ELb0EffPKDF16_EviT5_lT_lS2_lS3_liPT4_
	.p2align	8
	.type	_ZL28rocblas_dot_batched_4_kernelIiLi32ELi4ELb0EffPKDF16_EviT5_lT_lS2_lS3_liPT4_,@function
_ZL28rocblas_dot_batched_4_kernelIiLi32ELi4ELb0EffPKDF16_EviT5_lT_lS2_lS3_liPT4_: ; @_ZL28rocblas_dot_batched_4_kernelIiLi32ELi4ELb0EffPKDF16_EviT5_lT_lS2_lS3_liPT4_
; %bb.0:
	s_load_dword s0, s[4:5], 0x48
	v_bfe_u32 v1, v0, 10, 10
	v_lshl_add_u32 v2, s6, 2, v1
	s_waitcnt lgkmcnt(0)
	v_cmp_gt_u32_e32 vcc, s0, v2
	s_and_saveexec_b64 s[0:1], vcc
	s_cbranch_execz .LBB385_7
; %bb.1:
	s_load_dword s10, s[4:5], 0x0
	s_load_dwordx2 s[0:1], s[4:5], 0x50
	v_mov_b32_e32 v3, 0
	v_and_b32_e32 v6, 0x3ff, v0
	v_mov_b32_e32 v7, v3
	s_waitcnt lgkmcnt(0)
	v_cmp_gt_i32_e32 vcc, s10, v6
	s_and_saveexec_b64 s[2:3], vcc
	s_cbranch_execz .LBB385_5
; %bb.2:
	s_load_dwordx4 s[12:15], s[4:5], 0x8
	s_load_dword s6, s[4:5], 0x18
	s_load_dword s8, s[4:5], 0x38
	s_load_dwordx4 s[16:19], s[4:5], 0x20
	s_load_dwordx2 s[20:21], s[4:5], 0x30
	s_load_dwordx2 s[22:23], s[4:5], 0x40
	s_waitcnt lgkmcnt(0)
	v_mad_i64_i32 v[0:1], s[4:5], s6, v6, 0
	v_mad_u64_u32 v[4:5], s[4:5], s16, v2, 0
	v_mov_b32_e32 v8, v5
	v_mad_u64_u32 v[8:9], s[4:5], s17, v2, v[8:9]
	v_mov_b32_e32 v5, v8
	s_ashr_i32 s7, s6, 31
	s_ashr_i32 s9, s8, 31
	v_lshlrev_b64 v[0:1], 1, v[0:1]
	v_lshlrev_b64 v[4:5], 1, v[4:5]
	s_lshl_b64 s[4:5], s[14:15], 1
	v_add_co_u32_e32 v0, vcc, v0, v4
	s_add_u32 s4, s12, s4
	v_addc_co_u32_e32 v1, vcc, v1, v5, vcc
	s_addc_u32 s5, s13, s5
	v_mov_b32_e32 v4, s5
	v_add_co_u32_e32 v0, vcc, s4, v0
	s_lshl_b64 s[4:5], s[6:7], 6
	v_mad_u64_u32 v[8:9], s[6:7], s22, v2, 0
	v_mov_b32_e32 v10, v9
	v_mad_u64_u32 v[10:11], s[6:7], s23, v2, v[10:11]
	v_addc_co_u32_e32 v1, vcc, v4, v1, vcc
	v_mad_i64_i32 v[4:5], s[6:7], s8, v6, 0
	v_mov_b32_e32 v9, v10
	v_lshlrev_b64 v[4:5], 1, v[4:5]
	v_lshlrev_b64 v[8:9], 1, v[8:9]
	s_lshl_b64 s[6:7], s[20:21], 1
	v_add_co_u32_e32 v4, vcc, v4, v8
	s_add_u32 s6, s18, s6
	v_addc_co_u32_e32 v5, vcc, v5, v9, vcc
	s_addc_u32 s7, s19, s7
	v_mov_b32_e32 v7, s7
	v_add_co_u32_e32 v4, vcc, s6, v4
	s_lshl_b64 s[8:9], s[8:9], 6
	v_addc_co_u32_e32 v5, vcc, v7, v5, vcc
	s_mov_b64 s[6:7], 0
	v_mov_b32_e32 v7, 0
	v_mov_b32_e32 v8, s5
	;; [unrolled: 1-line block ×4, first 2 shown]
.LBB385_3:                              ; =>This Inner Loop Header: Depth=1
	global_load_ushort v11, v[0:1], off
	global_load_ushort v12, v[4:5], off
	v_add_co_u32_e32 v0, vcc, s4, v0
	v_addc_co_u32_e32 v1, vcc, v1, v8, vcc
	v_add_co_u32_e32 v4, vcc, s8, v4
	v_add_u32_e32 v10, 32, v10
	v_addc_co_u32_e32 v5, vcc, v5, v9, vcc
	v_cmp_le_i32_e32 vcc, s10, v10
	s_or_b64 s[6:7], vcc, s[6:7]
	s_waitcnt vmcnt(0)
	v_fma_mix_f32 v7, v11, v12, v7 op_sel_hi:[1,1,0]
	s_andn2_b64 exec, exec, s[6:7]
	s_cbranch_execnz .LBB385_3
; %bb.4:
	s_or_b64 exec, exec, s[6:7]
.LBB385_5:
	s_or_b64 exec, exec, s[2:3]
	v_mbcnt_lo_u32_b32 v0, -1, 0
	v_mbcnt_hi_u32_b32 v0, -1, v0
	v_and_b32_e32 v1, 63, v0
	v_cmp_gt_u32_e32 vcc, 48, v1
	v_cndmask_b32_e64 v4, 0, 1, vcc
	v_lshlrev_b32_e32 v4, 4, v4
	v_add_lshl_u32 v4, v4, v0, 2
	ds_bpermute_b32 v4, v4, v7
	v_cmp_gt_u32_e32 vcc, 56, v1
	v_cndmask_b32_e64 v5, 0, 1, vcc
	v_lshlrev_b32_e32 v5, 3, v5
	v_add_lshl_u32 v5, v5, v0, 2
	s_waitcnt lgkmcnt(0)
	v_add_f32_e32 v4, v7, v4
	ds_bpermute_b32 v5, v5, v4
	v_cmp_gt_u32_e32 vcc, 60, v1
	v_cndmask_b32_e64 v7, 0, 1, vcc
	v_lshlrev_b32_e32 v7, 2, v7
	v_cmp_gt_u32_e32 vcc, 62, v1
	s_waitcnt lgkmcnt(0)
	v_add_f32_e32 v4, v4, v5
	v_add_lshl_u32 v5, v7, v0, 2
	ds_bpermute_b32 v5, v5, v4
	v_cndmask_b32_e64 v7, 0, 1, vcc
	v_lshlrev_b32_e32 v7, 1, v7
	v_cmp_ne_u32_e32 vcc, 63, v1
	v_addc_co_u32_e32 v1, vcc, 0, v0, vcc
	s_waitcnt lgkmcnt(0)
	v_add_f32_e32 v4, v4, v5
	v_add_lshl_u32 v5, v7, v0, 2
	ds_bpermute_b32 v5, v5, v4
	v_lshlrev_b32_e32 v1, 2, v1
	v_cmp_eq_u32_e32 vcc, 0, v6
	s_waitcnt lgkmcnt(0)
	s_barrier
	v_add_f32_e32 v0, v4, v5
	ds_bpermute_b32 v1, v1, v0
	s_waitcnt lgkmcnt(0)
	s_and_b64 exec, exec, vcc
	s_cbranch_execz .LBB385_7
; %bb.6:
	v_lshlrev_b64 v[2:3], 2, v[2:3]
	v_mov_b32_e32 v4, s1
	v_add_co_u32_e32 v2, vcc, s0, v2
	v_addc_co_u32_e32 v3, vcc, v4, v3, vcc
	v_add_f32_e32 v0, v0, v1
	global_store_dword v[2:3], v0, off
.LBB385_7:
	s_endpgm
	.section	.rodata,"a",@progbits
	.p2align	6, 0x0
	.amdhsa_kernel _ZL28rocblas_dot_batched_4_kernelIiLi32ELi4ELb0EffPKDF16_EviT5_lT_lS2_lS3_liPT4_
		.amdhsa_group_segment_fixed_size 0
		.amdhsa_private_segment_fixed_size 0
		.amdhsa_kernarg_size 88
		.amdhsa_user_sgpr_count 6
		.amdhsa_user_sgpr_private_segment_buffer 1
		.amdhsa_user_sgpr_dispatch_ptr 0
		.amdhsa_user_sgpr_queue_ptr 0
		.amdhsa_user_sgpr_kernarg_segment_ptr 1
		.amdhsa_user_sgpr_dispatch_id 0
		.amdhsa_user_sgpr_flat_scratch_init 0
		.amdhsa_user_sgpr_kernarg_preload_length 0
		.amdhsa_user_sgpr_kernarg_preload_offset 0
		.amdhsa_user_sgpr_private_segment_size 0
		.amdhsa_uses_dynamic_stack 0
		.amdhsa_system_sgpr_private_segment_wavefront_offset 0
		.amdhsa_system_sgpr_workgroup_id_x 1
		.amdhsa_system_sgpr_workgroup_id_y 0
		.amdhsa_system_sgpr_workgroup_id_z 0
		.amdhsa_system_sgpr_workgroup_info 0
		.amdhsa_system_vgpr_workitem_id 1
		.amdhsa_next_free_vgpr 13
		.amdhsa_next_free_sgpr 24
		.amdhsa_accum_offset 16
		.amdhsa_reserve_vcc 1
		.amdhsa_reserve_flat_scratch 0
		.amdhsa_float_round_mode_32 0
		.amdhsa_float_round_mode_16_64 0
		.amdhsa_float_denorm_mode_32 3
		.amdhsa_float_denorm_mode_16_64 3
		.amdhsa_dx10_clamp 1
		.amdhsa_ieee_mode 1
		.amdhsa_fp16_overflow 0
		.amdhsa_tg_split 0
		.amdhsa_exception_fp_ieee_invalid_op 0
		.amdhsa_exception_fp_denorm_src 0
		.amdhsa_exception_fp_ieee_div_zero 0
		.amdhsa_exception_fp_ieee_overflow 0
		.amdhsa_exception_fp_ieee_underflow 0
		.amdhsa_exception_fp_ieee_inexact 0
		.amdhsa_exception_int_div_zero 0
	.end_amdhsa_kernel
	.section	.text._ZL28rocblas_dot_batched_4_kernelIiLi32ELi4ELb0EffPKDF16_EviT5_lT_lS2_lS3_liPT4_,"axG",@progbits,_ZL28rocblas_dot_batched_4_kernelIiLi32ELi4ELb0EffPKDF16_EviT5_lT_lS2_lS3_liPT4_,comdat
.Lfunc_end385:
	.size	_ZL28rocblas_dot_batched_4_kernelIiLi32ELi4ELb0EffPKDF16_EviT5_lT_lS2_lS3_liPT4_, .Lfunc_end385-_ZL28rocblas_dot_batched_4_kernelIiLi32ELi4ELb0EffPKDF16_EviT5_lT_lS2_lS3_liPT4_
                                        ; -- End function
	.section	.AMDGPU.csdata,"",@progbits
; Kernel info:
; codeLenInByte = 664
; NumSgprs: 28
; NumVgprs: 13
; NumAgprs: 0
; TotalNumVgprs: 13
; ScratchSize: 0
; MemoryBound: 0
; FloatMode: 240
; IeeeMode: 1
; LDSByteSize: 0 bytes/workgroup (compile time only)
; SGPRBlocks: 3
; VGPRBlocks: 1
; NumSGPRsForWavesPerEU: 28
; NumVGPRsForWavesPerEU: 13
; AccumOffset: 16
; Occupancy: 8
; WaveLimiterHint : 0
; COMPUTE_PGM_RSRC2:SCRATCH_EN: 0
; COMPUTE_PGM_RSRC2:USER_SGPR: 6
; COMPUTE_PGM_RSRC2:TRAP_HANDLER: 0
; COMPUTE_PGM_RSRC2:TGID_X_EN: 1
; COMPUTE_PGM_RSRC2:TGID_Y_EN: 0
; COMPUTE_PGM_RSRC2:TGID_Z_EN: 0
; COMPUTE_PGM_RSRC2:TIDIG_COMP_CNT: 1
; COMPUTE_PGM_RSRC3_GFX90A:ACCUM_OFFSET: 3
; COMPUTE_PGM_RSRC3_GFX90A:TG_SPLIT: 0
	.section	.text._ZL28rocblas_dot_batched_4_kernelIiLi64ELi4ELb0EffPKDF16_EviT5_lT_lS2_lS3_liPT4_,"axG",@progbits,_ZL28rocblas_dot_batched_4_kernelIiLi64ELi4ELb0EffPKDF16_EviT5_lT_lS2_lS3_liPT4_,comdat
	.globl	_ZL28rocblas_dot_batched_4_kernelIiLi64ELi4ELb0EffPKDF16_EviT5_lT_lS2_lS3_liPT4_ ; -- Begin function _ZL28rocblas_dot_batched_4_kernelIiLi64ELi4ELb0EffPKDF16_EviT5_lT_lS2_lS3_liPT4_
	.p2align	8
	.type	_ZL28rocblas_dot_batched_4_kernelIiLi64ELi4ELb0EffPKDF16_EviT5_lT_lS2_lS3_liPT4_,@function
_ZL28rocblas_dot_batched_4_kernelIiLi64ELi4ELb0EffPKDF16_EviT5_lT_lS2_lS3_liPT4_: ; @_ZL28rocblas_dot_batched_4_kernelIiLi64ELi4ELb0EffPKDF16_EviT5_lT_lS2_lS3_liPT4_
; %bb.0:
	s_load_dword s0, s[4:5], 0x48
	v_bfe_u32 v1, v0, 10, 10
	v_lshl_add_u32 v2, s6, 2, v1
	s_waitcnt lgkmcnt(0)
	v_cmp_gt_u32_e32 vcc, s0, v2
	s_and_saveexec_b64 s[0:1], vcc
	s_cbranch_execz .LBB386_7
; %bb.1:
	s_load_dword s10, s[4:5], 0x0
	s_load_dwordx2 s[0:1], s[4:5], 0x50
	v_mov_b32_e32 v3, 0
	v_and_b32_e32 v6, 0x3ff, v0
	v_mov_b32_e32 v7, v3
	s_waitcnt lgkmcnt(0)
	v_cmp_gt_i32_e32 vcc, s10, v6
	s_and_saveexec_b64 s[2:3], vcc
	s_cbranch_execz .LBB386_5
; %bb.2:
	s_load_dwordx4 s[12:15], s[4:5], 0x8
	s_load_dword s6, s[4:5], 0x18
	s_load_dword s8, s[4:5], 0x38
	s_load_dwordx4 s[16:19], s[4:5], 0x20
	s_load_dwordx2 s[20:21], s[4:5], 0x30
	s_load_dwordx2 s[22:23], s[4:5], 0x40
	s_waitcnt lgkmcnt(0)
	v_mad_i64_i32 v[0:1], s[4:5], s6, v6, 0
	v_mad_u64_u32 v[4:5], s[4:5], s16, v2, 0
	v_mov_b32_e32 v8, v5
	v_mad_u64_u32 v[8:9], s[4:5], s17, v2, v[8:9]
	v_mov_b32_e32 v5, v8
	s_ashr_i32 s7, s6, 31
	s_ashr_i32 s9, s8, 31
	v_lshlrev_b64 v[0:1], 1, v[0:1]
	v_lshlrev_b64 v[4:5], 1, v[4:5]
	s_lshl_b64 s[4:5], s[14:15], 1
	v_add_co_u32_e32 v0, vcc, v0, v4
	s_add_u32 s4, s12, s4
	v_addc_co_u32_e32 v1, vcc, v1, v5, vcc
	s_addc_u32 s5, s13, s5
	v_mov_b32_e32 v4, s5
	v_add_co_u32_e32 v0, vcc, s4, v0
	s_lshl_b64 s[4:5], s[6:7], 7
	v_mad_u64_u32 v[8:9], s[6:7], s22, v2, 0
	v_mov_b32_e32 v10, v9
	v_mad_u64_u32 v[10:11], s[6:7], s23, v2, v[10:11]
	v_addc_co_u32_e32 v1, vcc, v4, v1, vcc
	v_mad_i64_i32 v[4:5], s[6:7], s8, v6, 0
	v_mov_b32_e32 v9, v10
	v_lshlrev_b64 v[4:5], 1, v[4:5]
	v_lshlrev_b64 v[8:9], 1, v[8:9]
	s_lshl_b64 s[6:7], s[20:21], 1
	v_add_co_u32_e32 v4, vcc, v4, v8
	s_add_u32 s6, s18, s6
	v_addc_co_u32_e32 v5, vcc, v5, v9, vcc
	s_addc_u32 s7, s19, s7
	v_mov_b32_e32 v7, s7
	v_add_co_u32_e32 v4, vcc, s6, v4
	s_lshl_b64 s[8:9], s[8:9], 7
	v_addc_co_u32_e32 v5, vcc, v7, v5, vcc
	s_mov_b64 s[6:7], 0
	v_mov_b32_e32 v7, 0
	v_mov_b32_e32 v8, s5
	;; [unrolled: 1-line block ×4, first 2 shown]
.LBB386_3:                              ; =>This Inner Loop Header: Depth=1
	global_load_ushort v11, v[0:1], off
	global_load_ushort v12, v[4:5], off
	v_add_co_u32_e32 v0, vcc, s4, v0
	v_addc_co_u32_e32 v1, vcc, v1, v8, vcc
	v_add_co_u32_e32 v4, vcc, s8, v4
	v_add_u32_e32 v10, 64, v10
	v_addc_co_u32_e32 v5, vcc, v5, v9, vcc
	v_cmp_le_i32_e32 vcc, s10, v10
	s_or_b64 s[6:7], vcc, s[6:7]
	s_waitcnt vmcnt(0)
	v_fma_mix_f32 v7, v11, v12, v7 op_sel_hi:[1,1,0]
	s_andn2_b64 exec, exec, s[6:7]
	s_cbranch_execnz .LBB386_3
; %bb.4:
	s_or_b64 exec, exec, s[6:7]
.LBB386_5:
	s_or_b64 exec, exec, s[2:3]
	v_mbcnt_lo_u32_b32 v0, -1, 0
	v_mbcnt_hi_u32_b32 v0, -1, v0
	v_and_b32_e32 v1, 63, v0
	v_cmp_gt_u32_e32 vcc, 32, v1
	v_cndmask_b32_e64 v4, 0, 1, vcc
	v_lshlrev_b32_e32 v4, 5, v4
	v_add_lshl_u32 v4, v4, v0, 2
	ds_bpermute_b32 v4, v4, v7
	v_cmp_gt_u32_e32 vcc, 48, v1
	v_cndmask_b32_e64 v5, 0, 1, vcc
	v_lshlrev_b32_e32 v5, 4, v5
	v_add_lshl_u32 v5, v5, v0, 2
	s_waitcnt lgkmcnt(0)
	v_add_f32_e32 v4, v7, v4
	ds_bpermute_b32 v5, v5, v4
	v_cmp_gt_u32_e32 vcc, 56, v1
	v_cndmask_b32_e64 v7, 0, 1, vcc
	v_lshlrev_b32_e32 v7, 3, v7
	v_cmp_gt_u32_e32 vcc, 60, v1
	s_waitcnt lgkmcnt(0)
	v_add_f32_e32 v4, v4, v5
	v_add_lshl_u32 v5, v7, v0, 2
	ds_bpermute_b32 v5, v5, v4
	v_cndmask_b32_e64 v7, 0, 1, vcc
	v_lshlrev_b32_e32 v7, 2, v7
	v_cmp_gt_u32_e32 vcc, 62, v1
	s_waitcnt lgkmcnt(0)
	v_add_f32_e32 v4, v4, v5
	v_add_lshl_u32 v5, v7, v0, 2
	ds_bpermute_b32 v5, v5, v4
	v_cndmask_b32_e64 v7, 0, 1, vcc
	v_lshlrev_b32_e32 v7, 1, v7
	v_cmp_ne_u32_e32 vcc, 63, v1
	v_addc_co_u32_e32 v1, vcc, 0, v0, vcc
	s_waitcnt lgkmcnt(0)
	v_add_f32_e32 v4, v4, v5
	v_add_lshl_u32 v5, v7, v0, 2
	ds_bpermute_b32 v5, v5, v4
	v_lshlrev_b32_e32 v1, 2, v1
	v_cmp_eq_u32_e32 vcc, 0, v6
	s_barrier
	s_waitcnt lgkmcnt(0)
	v_add_f32_e32 v0, v4, v5
	ds_bpermute_b32 v1, v1, v0
	s_and_b64 exec, exec, vcc
	s_cbranch_execz .LBB386_7
; %bb.6:
	v_lshlrev_b64 v[2:3], 2, v[2:3]
	v_mov_b32_e32 v4, s1
	v_add_co_u32_e32 v2, vcc, s0, v2
	v_addc_co_u32_e32 v3, vcc, v4, v3, vcc
	s_waitcnt lgkmcnt(0)
	v_add_f32_e32 v0, v0, v1
	global_store_dword v[2:3], v0, off
.LBB386_7:
	s_endpgm
	.section	.rodata,"a",@progbits
	.p2align	6, 0x0
	.amdhsa_kernel _ZL28rocblas_dot_batched_4_kernelIiLi64ELi4ELb0EffPKDF16_EviT5_lT_lS2_lS3_liPT4_
		.amdhsa_group_segment_fixed_size 0
		.amdhsa_private_segment_fixed_size 0
		.amdhsa_kernarg_size 88
		.amdhsa_user_sgpr_count 6
		.amdhsa_user_sgpr_private_segment_buffer 1
		.amdhsa_user_sgpr_dispatch_ptr 0
		.amdhsa_user_sgpr_queue_ptr 0
		.amdhsa_user_sgpr_kernarg_segment_ptr 1
		.amdhsa_user_sgpr_dispatch_id 0
		.amdhsa_user_sgpr_flat_scratch_init 0
		.amdhsa_user_sgpr_kernarg_preload_length 0
		.amdhsa_user_sgpr_kernarg_preload_offset 0
		.amdhsa_user_sgpr_private_segment_size 0
		.amdhsa_uses_dynamic_stack 0
		.amdhsa_system_sgpr_private_segment_wavefront_offset 0
		.amdhsa_system_sgpr_workgroup_id_x 1
		.amdhsa_system_sgpr_workgroup_id_y 0
		.amdhsa_system_sgpr_workgroup_id_z 0
		.amdhsa_system_sgpr_workgroup_info 0
		.amdhsa_system_vgpr_workitem_id 1
		.amdhsa_next_free_vgpr 13
		.amdhsa_next_free_sgpr 24
		.amdhsa_accum_offset 16
		.amdhsa_reserve_vcc 1
		.amdhsa_reserve_flat_scratch 0
		.amdhsa_float_round_mode_32 0
		.amdhsa_float_round_mode_16_64 0
		.amdhsa_float_denorm_mode_32 3
		.amdhsa_float_denorm_mode_16_64 3
		.amdhsa_dx10_clamp 1
		.amdhsa_ieee_mode 1
		.amdhsa_fp16_overflow 0
		.amdhsa_tg_split 0
		.amdhsa_exception_fp_ieee_invalid_op 0
		.amdhsa_exception_fp_denorm_src 0
		.amdhsa_exception_fp_ieee_div_zero 0
		.amdhsa_exception_fp_ieee_overflow 0
		.amdhsa_exception_fp_ieee_underflow 0
		.amdhsa_exception_fp_ieee_inexact 0
		.amdhsa_exception_int_div_zero 0
	.end_amdhsa_kernel
	.section	.text._ZL28rocblas_dot_batched_4_kernelIiLi64ELi4ELb0EffPKDF16_EviT5_lT_lS2_lS3_liPT4_,"axG",@progbits,_ZL28rocblas_dot_batched_4_kernelIiLi64ELi4ELb0EffPKDF16_EviT5_lT_lS2_lS3_liPT4_,comdat
.Lfunc_end386:
	.size	_ZL28rocblas_dot_batched_4_kernelIiLi64ELi4ELb0EffPKDF16_EviT5_lT_lS2_lS3_liPT4_, .Lfunc_end386-_ZL28rocblas_dot_batched_4_kernelIiLi64ELi4ELb0EffPKDF16_EviT5_lT_lS2_lS3_liPT4_
                                        ; -- End function
	.section	.AMDGPU.csdata,"",@progbits
; Kernel info:
; codeLenInByte = 704
; NumSgprs: 28
; NumVgprs: 13
; NumAgprs: 0
; TotalNumVgprs: 13
; ScratchSize: 0
; MemoryBound: 0
; FloatMode: 240
; IeeeMode: 1
; LDSByteSize: 0 bytes/workgroup (compile time only)
; SGPRBlocks: 3
; VGPRBlocks: 1
; NumSGPRsForWavesPerEU: 28
; NumVGPRsForWavesPerEU: 13
; AccumOffset: 16
; Occupancy: 8
; WaveLimiterHint : 0
; COMPUTE_PGM_RSRC2:SCRATCH_EN: 0
; COMPUTE_PGM_RSRC2:USER_SGPR: 6
; COMPUTE_PGM_RSRC2:TRAP_HANDLER: 0
; COMPUTE_PGM_RSRC2:TGID_X_EN: 1
; COMPUTE_PGM_RSRC2:TGID_Y_EN: 0
; COMPUTE_PGM_RSRC2:TGID_Z_EN: 0
; COMPUTE_PGM_RSRC2:TIDIG_COMP_CNT: 1
; COMPUTE_PGM_RSRC3_GFX90A:ACCUM_OFFSET: 3
; COMPUTE_PGM_RSRC3_GFX90A:TG_SPLIT: 0
	.section	.text._ZL18rocblas_dot_kernelIiLb1ELi1024ELi32ELb0EfPKDF16_fEviT5_lT_lS2_lS3_liPT6_PT4_,"axG",@progbits,_ZL18rocblas_dot_kernelIiLb1ELi1024ELi32ELb0EfPKDF16_fEviT5_lT_lS2_lS3_liPT6_PT4_,comdat
	.globl	_ZL18rocblas_dot_kernelIiLb1ELi1024ELi32ELb0EfPKDF16_fEviT5_lT_lS2_lS3_liPT6_PT4_ ; -- Begin function _ZL18rocblas_dot_kernelIiLb1ELi1024ELi32ELb0EfPKDF16_fEviT5_lT_lS2_lS3_liPT6_PT4_
	.p2align	8
	.type	_ZL18rocblas_dot_kernelIiLb1ELi1024ELi32ELb0EfPKDF16_fEviT5_lT_lS2_lS3_liPT6_PT4_,@function
_ZL18rocblas_dot_kernelIiLb1ELi1024ELi32ELb0EfPKDF16_fEviT5_lT_lS2_lS3_liPT6_PT4_: ; @_ZL18rocblas_dot_kernelIiLb1ELi1024ELi32ELb0EfPKDF16_fEviT5_lT_lS2_lS3_liPT6_PT4_
; %bb.0:
	s_load_dword s14, s[4:5], 0x0
	s_load_dwordx2 s[8:9], s[4:5], 0x58
	s_mov_b32 s6, s7
	s_mov_b32 s7, 0
	v_mov_b32_e32 v6, 0
	s_waitcnt lgkmcnt(0)
	v_cmp_gt_i32_e32 vcc, s14, v0
	s_and_saveexec_b64 s[10:11], vcc
	s_cbranch_execz .LBB387_4
; %bb.1:
	s_load_dword s22, s[4:5], 0x38
	s_load_dwordx2 s[12:13], s[4:5], 0x40
	s_load_dword s15, s[4:5], 0x60
	s_load_dwordx4 s[0:3], s[4:5], 0x20
	s_load_dwordx4 s[16:19], s[4:5], 0x8
	s_load_dword s23, s[4:5], 0x18
	s_load_dwordx2 s[20:21], s[4:5], 0x30
	s_waitcnt lgkmcnt(0)
	s_lshl_b32 s15, s15, 10
	s_mul_i32 s1, s1, s6
	s_mul_hi_u32 s4, s0, s6
	s_add_i32 s1, s4, s1
	s_mul_i32 s0, s0, s6
	v_mad_i64_i32 v[2:3], s[4:5], s23, v0, 0
	s_lshl_b64 s[0:1], s[0:1], 1
	s_lshl_b64 s[4:5], s[18:19], 1
	s_add_u32 s4, s16, s4
	s_addc_u32 s5, s17, s5
	s_add_u32 s0, s4, s0
	v_lshlrev_b64 v[2:3], 1, v[2:3]
	s_addc_u32 s1, s5, s1
	v_mov_b32_e32 v4, s1
	v_add_co_u32_e32 v2, vcc, s0, v2
	s_mul_hi_i32 s1, s23, s15
	s_mul_i32 s0, s23, s15
	s_lshl_b64 s[4:5], s[0:1], 1
	s_mul_i32 s0, s13, s6
	s_mul_hi_u32 s1, s12, s6
	v_addc_co_u32_e32 v3, vcc, v4, v3, vcc
	s_add_i32 s1, s1, s0
	s_mul_i32 s0, s12, s6
	v_mad_i64_i32 v[4:5], s[12:13], s22, v0, 0
	s_lshl_b64 s[0:1], s[0:1], 1
	s_lshl_b64 s[12:13], s[20:21], 1
	s_add_u32 s2, s2, s12
	s_addc_u32 s3, s3, s13
	s_add_u32 s0, s2, s0
	v_lshlrev_b64 v[4:5], 1, v[4:5]
	s_addc_u32 s1, s3, s1
	v_mov_b32_e32 v6, s1
	v_add_co_u32_e32 v4, vcc, s0, v4
	s_mul_hi_i32 s1, s22, s15
	s_mul_i32 s0, s22, s15
	s_lshl_b64 s[12:13], s[0:1], 1
	v_or_b32_e32 v1, s15, v0
	v_addc_co_u32_e32 v5, vcc, v6, v5, vcc
	s_mov_b64 s[2:3], 0
	v_mov_b32_e32 v6, 0
	v_mov_b32_e32 v7, s5
	;; [unrolled: 1-line block ×3, first 2 shown]
	s_mov_b32 s5, s7
.LBB387_2:                              ; =>This Inner Loop Header: Depth=1
	global_load_ushort v9, v[4:5], off
	global_load_ushort v10, v[2:3], off
	v_add_co_u32_e64 v2, s[0:1], s4, v2
	v_addc_co_u32_e64 v3, s[0:1], v3, v7, s[0:1]
	s_add_i32 s13, s5, 1
	v_add_co_u32_e64 v4, s[0:1], s12, v4
	v_addc_co_u32_e64 v5, s[0:1], v5, v8, s[0:1]
	s_cmp_gt_u32 s5, 30
	v_cmp_le_i32_e32 vcc, s14, v1
	s_cselect_b64 s[0:1], -1, 0
	s_or_b64 s[0:1], s[0:1], vcc
	s_and_b64 s[0:1], exec, s[0:1]
	v_add_u32_e32 v1, s15, v1
	s_mov_b32 s5, s13
	s_or_b64 s[2:3], s[0:1], s[2:3]
	s_waitcnt vmcnt(0)
	v_fma_mix_f32 v6, v9, v10, v6 op_sel_hi:[1,1,0]
	s_andn2_b64 exec, exec, s[2:3]
	s_cbranch_execnz .LBB387_2
; %bb.3:
	s_or_b64 exec, exec, s[2:3]
.LBB387_4:
	s_or_b64 exec, exec, s[10:11]
	v_and_b32_e32 v2, 63, v0
	v_cmp_gt_u32_e32 vcc, 64, v0
	v_lshlrev_b32_e32 v1, 2, v2
	s_and_saveexec_b64 s[0:1], vcc
	s_cbranch_execz .LBB387_6
; %bb.5:
	v_mov_b32_e32 v3, 0
	ds_write_b32 v1, v3
.LBB387_6:
	s_or_b64 exec, exec, s[0:1]
	v_mbcnt_lo_u32_b32 v3, -1, 0
	v_mbcnt_hi_u32_b32 v7, -1, v3
	v_and_b32_e32 v8, 63, v7
	v_cmp_gt_u32_e64 s[0:1], 32, v8
	v_cndmask_b32_e64 v3, 0, 1, s[0:1]
	v_lshlrev_b32_e32 v3, 5, v3
	v_add_lshl_u32 v3, v3, v7, 2
	ds_bpermute_b32 v3, v3, v6
	v_cmp_gt_u32_e64 s[0:1], 48, v8
	v_cndmask_b32_e64 v4, 0, 1, s[0:1]
	v_lshlrev_b32_e32 v4, 4, v4
	v_add_lshl_u32 v4, v4, v7, 2
	s_waitcnt lgkmcnt(0)
	v_add_f32_e32 v3, v6, v3
	ds_bpermute_b32 v4, v4, v3
	v_cmp_gt_u32_e64 s[0:1], 56, v8
	v_cndmask_b32_e64 v5, 0, 1, s[0:1]
	v_lshlrev_b32_e32 v5, 3, v5
	v_cmp_gt_u32_e64 s[0:1], 60, v8
	s_waitcnt lgkmcnt(0)
	v_add_f32_e32 v4, v3, v4
	v_add_lshl_u32 v3, v5, v7, 2
	ds_bpermute_b32 v5, v3, v4
	v_cndmask_b32_e64 v6, 0, 1, s[0:1]
	v_lshlrev_b32_e32 v6, 2, v6
	v_cmp_gt_u32_e64 s[0:1], 62, v8
	v_cndmask_b32_e64 v9, 0, 1, s[0:1]
	s_waitcnt lgkmcnt(0)
	v_add_f32_e32 v5, v4, v5
	v_add_lshl_u32 v4, v6, v7, 2
	ds_bpermute_b32 v6, v4, v5
	v_lshlrev_b32_e32 v9, 1, v9
	v_cmp_ne_u32_e64 s[0:1], 63, v8
	v_addc_co_u32_e64 v8, s[0:1], 0, v7, s[0:1]
	s_waitcnt lgkmcnt(0)
	v_add_f32_e32 v6, v5, v6
	v_add_lshl_u32 v5, v9, v7, 2
	ds_bpermute_b32 v9, v5, v6
	v_cmp_eq_u32_e64 s[0:1], 0, v2
	s_waitcnt lgkmcnt(0)
	s_barrier
	v_add_f32_e32 v7, v6, v9
	v_lshlrev_b32_e32 v6, 2, v8
	ds_bpermute_b32 v8, v6, v7
	s_and_saveexec_b64 s[2:3], s[0:1]
	s_cbranch_execz .LBB387_8
; %bb.7:
	s_waitcnt lgkmcnt(0)
	v_add_f32_e32 v2, v7, v8
	v_lshrrev_b32_e32 v7, 4, v0
	v_and_b32_e32 v7, 60, v7
	ds_write_b32 v7, v2
.LBB387_8:
	s_or_b64 exec, exec, s[2:3]
	v_cmp_gt_u32_e64 s[0:1], 16, v0
	v_mov_b32_e32 v2, 0
	s_waitcnt lgkmcnt(0)
	s_barrier
	s_and_saveexec_b64 s[2:3], s[0:1]
	s_cbranch_execnz .LBB387_12
; %bb.9:
	s_or_b64 exec, exec, s[2:3]
	s_and_saveexec_b64 s[0:1], vcc
	s_cbranch_execnz .LBB387_13
.LBB387_10:
	s_or_b64 exec, exec, s[0:1]
	v_cmp_eq_u32_e32 vcc, 0, v0
	s_and_saveexec_b64 s[0:1], vcc
	s_cbranch_execnz .LBB387_14
.LBB387_11:
	s_endpgm
.LBB387_12:
	ds_read_b32 v2, v1
	s_or_b64 exec, exec, s[2:3]
	s_and_saveexec_b64 s[0:1], vcc
	s_cbranch_execz .LBB387_10
.LBB387_13:
	s_waitcnt lgkmcnt(0)
	ds_bpermute_b32 v1, v3, v2
	s_waitcnt lgkmcnt(0)
	v_add_f32_e32 v1, v2, v1
	ds_bpermute_b32 v2, v4, v1
	s_waitcnt lgkmcnt(0)
	v_add_f32_e32 v1, v1, v2
	;; [unrolled: 3-line block ×4, first 2 shown]
	s_or_b64 exec, exec, s[0:1]
	v_cmp_eq_u32_e32 vcc, 0, v0
	s_and_saveexec_b64 s[0:1], vcc
	s_cbranch_execz .LBB387_11
.LBB387_14:
	s_lshl_b64 s[0:1], s[6:7], 2
	s_add_u32 s0, s8, s0
	s_addc_u32 s1, s9, s1
	v_mov_b32_e32 v0, 0
	s_waitcnt lgkmcnt(0)
	global_store_dword v0, v2, s[0:1]
	s_endpgm
	.section	.rodata,"a",@progbits
	.p2align	6, 0x0
	.amdhsa_kernel _ZL18rocblas_dot_kernelIiLb1ELi1024ELi32ELb0EfPKDF16_fEviT5_lT_lS2_lS3_liPT6_PT4_
		.amdhsa_group_segment_fixed_size 256
		.amdhsa_private_segment_fixed_size 0
		.amdhsa_kernarg_size 352
		.amdhsa_user_sgpr_count 6
		.amdhsa_user_sgpr_private_segment_buffer 1
		.amdhsa_user_sgpr_dispatch_ptr 0
		.amdhsa_user_sgpr_queue_ptr 0
		.amdhsa_user_sgpr_kernarg_segment_ptr 1
		.amdhsa_user_sgpr_dispatch_id 0
		.amdhsa_user_sgpr_flat_scratch_init 0
		.amdhsa_user_sgpr_kernarg_preload_length 0
		.amdhsa_user_sgpr_kernarg_preload_offset 0
		.amdhsa_user_sgpr_private_segment_size 0
		.amdhsa_uses_dynamic_stack 0
		.amdhsa_system_sgpr_private_segment_wavefront_offset 0
		.amdhsa_system_sgpr_workgroup_id_x 1
		.amdhsa_system_sgpr_workgroup_id_y 0
		.amdhsa_system_sgpr_workgroup_id_z 1
		.amdhsa_system_sgpr_workgroup_info 0
		.amdhsa_system_vgpr_workitem_id 0
		.amdhsa_next_free_vgpr 11
		.amdhsa_next_free_sgpr 24
		.amdhsa_accum_offset 12
		.amdhsa_reserve_vcc 1
		.amdhsa_reserve_flat_scratch 0
		.amdhsa_float_round_mode_32 0
		.amdhsa_float_round_mode_16_64 0
		.amdhsa_float_denorm_mode_32 3
		.amdhsa_float_denorm_mode_16_64 3
		.amdhsa_dx10_clamp 1
		.amdhsa_ieee_mode 1
		.amdhsa_fp16_overflow 0
		.amdhsa_tg_split 0
		.amdhsa_exception_fp_ieee_invalid_op 0
		.amdhsa_exception_fp_denorm_src 0
		.amdhsa_exception_fp_ieee_div_zero 0
		.amdhsa_exception_fp_ieee_overflow 0
		.amdhsa_exception_fp_ieee_underflow 0
		.amdhsa_exception_fp_ieee_inexact 0
		.amdhsa_exception_int_div_zero 0
	.end_amdhsa_kernel
	.section	.text._ZL18rocblas_dot_kernelIiLb1ELi1024ELi32ELb0EfPKDF16_fEviT5_lT_lS2_lS3_liPT6_PT4_,"axG",@progbits,_ZL18rocblas_dot_kernelIiLb1ELi1024ELi32ELb0EfPKDF16_fEviT5_lT_lS2_lS3_liPT6_PT4_,comdat
.Lfunc_end387:
	.size	_ZL18rocblas_dot_kernelIiLb1ELi1024ELi32ELb0EfPKDF16_fEviT5_lT_lS2_lS3_liPT6_PT4_, .Lfunc_end387-_ZL18rocblas_dot_kernelIiLb1ELi1024ELi32ELb0EfPKDF16_fEviT5_lT_lS2_lS3_liPT6_PT4_
                                        ; -- End function
	.section	.AMDGPU.csdata,"",@progbits
; Kernel info:
; codeLenInByte = 952
; NumSgprs: 28
; NumVgprs: 11
; NumAgprs: 0
; TotalNumVgprs: 11
; ScratchSize: 0
; MemoryBound: 0
; FloatMode: 240
; IeeeMode: 1
; LDSByteSize: 256 bytes/workgroup (compile time only)
; SGPRBlocks: 3
; VGPRBlocks: 1
; NumSGPRsForWavesPerEU: 28
; NumVGPRsForWavesPerEU: 11
; AccumOffset: 12
; Occupancy: 8
; WaveLimiterHint : 0
; COMPUTE_PGM_RSRC2:SCRATCH_EN: 0
; COMPUTE_PGM_RSRC2:USER_SGPR: 6
; COMPUTE_PGM_RSRC2:TRAP_HANDLER: 0
; COMPUTE_PGM_RSRC2:TGID_X_EN: 1
; COMPUTE_PGM_RSRC2:TGID_Y_EN: 0
; COMPUTE_PGM_RSRC2:TGID_Z_EN: 1
; COMPUTE_PGM_RSRC2:TIDIG_COMP_CNT: 0
; COMPUTE_PGM_RSRC3_GFX90A:ACCUM_OFFSET: 2
; COMPUTE_PGM_RSRC3_GFX90A:TG_SPLIT: 0
	.section	.text._ZL24rocblas_dot_kernel_magsqIiLb1ELi1024ELi32ELb0EfPKDF16_fEviT5_lT_liPT6_PT4_,"axG",@progbits,_ZL24rocblas_dot_kernel_magsqIiLb1ELi1024ELi32ELb0EfPKDF16_fEviT5_lT_liPT6_PT4_,comdat
	.globl	_ZL24rocblas_dot_kernel_magsqIiLb1ELi1024ELi32ELb0EfPKDF16_fEviT5_lT_liPT6_PT4_ ; -- Begin function _ZL24rocblas_dot_kernel_magsqIiLb1ELi1024ELi32ELb0EfPKDF16_fEviT5_lT_liPT6_PT4_
	.p2align	8
	.type	_ZL24rocblas_dot_kernel_magsqIiLb1ELi1024ELi32ELb0EfPKDF16_fEviT5_lT_liPT6_PT4_,@function
_ZL24rocblas_dot_kernel_magsqIiLb1ELi1024ELi32ELb0EfPKDF16_fEviT5_lT_liPT6_PT4_: ; @_ZL24rocblas_dot_kernel_magsqIiLb1ELi1024ELi32ELb0EfPKDF16_fEviT5_lT_liPT6_PT4_
; %bb.0:
	s_mov_b32 s2, s7
	s_load_dword s12, s[4:5], 0x0
	s_load_dwordx2 s[6:7], s[4:5], 0x38
	s_mov_b32 s3, 0
	v_mov_b32_e32 v1, 0
	s_waitcnt lgkmcnt(0)
	v_cmp_gt_i32_e32 vcc, s12, v0
	s_and_saveexec_b64 s[8:9], vcc
	s_cbranch_execz .LBB388_4
; %bb.1:
	s_load_dword s10, s[4:5], 0x40
	s_load_dwordx2 s[0:1], s[4:5], 0x20
	s_load_dwordx4 s[16:19], s[4:5], 0x8
	s_load_dword s11, s[4:5], 0x18
	s_waitcnt lgkmcnt(0)
	s_lshl_b32 s13, s10, 10
	s_mul_i32 s1, s1, s2
	s_mul_hi_u32 s4, s0, s2
	s_add_i32 s1, s4, s1
	s_mul_i32 s0, s0, s2
	v_mad_i64_i32 v[2:3], s[4:5], s11, v0, 0
	s_lshl_b64 s[0:1], s[0:1], 1
	s_lshl_b64 s[4:5], s[18:19], 1
	s_add_u32 s4, s16, s4
	s_addc_u32 s5, s17, s5
	s_add_u32 s0, s4, s0
	v_lshlrev_b64 v[2:3], 1, v[2:3]
	s_addc_u32 s1, s5, s1
	v_mov_b32_e32 v1, s1
	v_add_co_u32_e32 v2, vcc, s0, v2
	s_mul_hi_i32 s1, s11, s13
	s_mul_i32 s0, s11, s13
	s_lshl_b64 s[10:11], s[0:1], 1
	v_or_b32_e32 v4, s13, v0
	v_addc_co_u32_e32 v3, vcc, v1, v3, vcc
	s_mov_b64 s[4:5], 0
	v_mov_b32_e32 v1, 0
	v_mov_b32_e32 v5, s11
	s_mov_b32 s11, s3
.LBB388_2:                              ; =>This Inner Loop Header: Depth=1
	global_load_ushort v6, v[2:3], off
	s_add_i32 s14, s11, 1
	v_add_co_u32_e64 v2, s[0:1], s10, v2
	v_addc_co_u32_e64 v3, s[0:1], v3, v5, s[0:1]
	s_cmp_gt_u32 s11, 30
	v_cmp_le_i32_e32 vcc, s12, v4
	s_cselect_b64 s[0:1], -1, 0
	s_or_b64 s[0:1], s[0:1], vcc
	s_and_b64 s[0:1], exec, s[0:1]
	v_add_u32_e32 v4, s13, v4
	s_mov_b32 s11, s14
	s_or_b64 s[4:5], s[0:1], s[4:5]
	s_waitcnt vmcnt(0)
	v_fma_mix_f32 v1, v6, v6, v1 op_sel_hi:[1,1,0]
	s_andn2_b64 exec, exec, s[4:5]
	s_cbranch_execnz .LBB388_2
; %bb.3:
	s_or_b64 exec, exec, s[4:5]
.LBB388_4:
	s_or_b64 exec, exec, s[8:9]
	v_and_b32_e32 v3, 63, v0
	v_cmp_gt_u32_e32 vcc, 64, v0
	v_lshlrev_b32_e32 v2, 2, v3
	s_and_saveexec_b64 s[0:1], vcc
	s_cbranch_execz .LBB388_6
; %bb.5:
	v_mov_b32_e32 v4, 0
	ds_write_b32 v2, v4
.LBB388_6:
	s_or_b64 exec, exec, s[0:1]
	v_mbcnt_lo_u32_b32 v4, -1, 0
	v_mbcnt_hi_u32_b32 v6, -1, v4
	v_and_b32_e32 v7, 63, v6
	v_cmp_gt_u32_e64 s[0:1], 32, v7
	v_cndmask_b32_e64 v4, 0, 1, s[0:1]
	v_lshlrev_b32_e32 v4, 5, v4
	v_add_lshl_u32 v4, v4, v6, 2
	ds_bpermute_b32 v4, v4, v1
	v_cmp_gt_u32_e64 s[0:1], 48, v7
	v_cndmask_b32_e64 v5, 0, 1, s[0:1]
	v_lshlrev_b32_e32 v5, 4, v5
	v_cmp_gt_u32_e64 s[0:1], 56, v7
	s_waitcnt lgkmcnt(0)
	v_add_f32_e32 v1, v1, v4
	v_add_lshl_u32 v4, v5, v6, 2
	ds_bpermute_b32 v4, v4, v1
	v_cndmask_b32_e64 v5, 0, 1, s[0:1]
	v_lshlrev_b32_e32 v5, 3, v5
	v_cmp_gt_u32_e64 s[0:1], 60, v7
	v_cndmask_b32_e64 v8, 0, 1, s[0:1]
	s_waitcnt lgkmcnt(0)
	v_add_f32_e32 v4, v1, v4
	v_add_lshl_u32 v1, v5, v6, 2
	ds_bpermute_b32 v5, v1, v4
	v_lshlrev_b32_e32 v8, 2, v8
	v_cmp_gt_u32_e64 s[0:1], 62, v7
	v_cndmask_b32_e64 v9, 0, 1, s[0:1]
	v_lshlrev_b32_e32 v9, 1, v9
	s_waitcnt lgkmcnt(0)
	v_add_f32_e32 v5, v4, v5
	v_add_lshl_u32 v4, v8, v6, 2
	ds_bpermute_b32 v8, v4, v5
	v_cmp_ne_u32_e64 s[0:1], 63, v7
	s_waitcnt lgkmcnt(0)
	s_barrier
	v_add_f32_e32 v8, v5, v8
	v_add_lshl_u32 v5, v9, v6, 2
	ds_bpermute_b32 v9, v5, v8
	v_addc_co_u32_e64 v6, s[0:1], 0, v6, s[0:1]
	v_lshlrev_b32_e32 v6, 2, v6
	v_cmp_eq_u32_e64 s[0:1], 0, v3
	s_waitcnt lgkmcnt(0)
	v_add_f32_e32 v7, v8, v9
	ds_bpermute_b32 v8, v6, v7
	s_and_saveexec_b64 s[4:5], s[0:1]
	s_cbranch_execz .LBB388_8
; %bb.7:
	s_waitcnt lgkmcnt(0)
	v_add_f32_e32 v3, v7, v8
	v_lshrrev_b32_e32 v7, 4, v0
	v_and_b32_e32 v7, 60, v7
	ds_write_b32 v7, v3
.LBB388_8:
	s_or_b64 exec, exec, s[4:5]
	v_cmp_gt_u32_e64 s[0:1], 16, v0
	v_mov_b32_e32 v3, 0
	s_waitcnt lgkmcnt(0)
	s_barrier
	s_and_saveexec_b64 s[4:5], s[0:1]
	s_cbranch_execnz .LBB388_12
; %bb.9:
	s_or_b64 exec, exec, s[4:5]
	s_and_saveexec_b64 s[0:1], vcc
	s_cbranch_execnz .LBB388_13
.LBB388_10:
	s_or_b64 exec, exec, s[0:1]
	v_cmp_eq_u32_e32 vcc, 0, v0
	s_and_saveexec_b64 s[0:1], vcc
	s_cbranch_execnz .LBB388_14
.LBB388_11:
	s_endpgm
.LBB388_12:
	ds_read_b32 v3, v2
	s_or_b64 exec, exec, s[4:5]
	s_and_saveexec_b64 s[0:1], vcc
	s_cbranch_execz .LBB388_10
.LBB388_13:
	s_waitcnt lgkmcnt(0)
	ds_bpermute_b32 v1, v1, v3
	s_waitcnt lgkmcnt(0)
	v_add_f32_e32 v1, v3, v1
	ds_bpermute_b32 v2, v4, v1
	s_waitcnt lgkmcnt(0)
	v_add_f32_e32 v1, v1, v2
	;; [unrolled: 3-line block ×4, first 2 shown]
	s_or_b64 exec, exec, s[0:1]
	v_cmp_eq_u32_e32 vcc, 0, v0
	s_and_saveexec_b64 s[0:1], vcc
	s_cbranch_execz .LBB388_11
.LBB388_14:
	s_lshl_b64 s[0:1], s[2:3], 2
	s_add_u32 s0, s6, s0
	s_addc_u32 s1, s7, s1
	v_mov_b32_e32 v0, 0
	s_waitcnt lgkmcnt(0)
	global_store_dword v0, v3, s[0:1]
	s_endpgm
	.section	.rodata,"a",@progbits
	.p2align	6, 0x0
	.amdhsa_kernel _ZL24rocblas_dot_kernel_magsqIiLb1ELi1024ELi32ELb0EfPKDF16_fEviT5_lT_liPT6_PT4_
		.amdhsa_group_segment_fixed_size 256
		.amdhsa_private_segment_fixed_size 0
		.amdhsa_kernarg_size 320
		.amdhsa_user_sgpr_count 6
		.amdhsa_user_sgpr_private_segment_buffer 1
		.amdhsa_user_sgpr_dispatch_ptr 0
		.amdhsa_user_sgpr_queue_ptr 0
		.amdhsa_user_sgpr_kernarg_segment_ptr 1
		.amdhsa_user_sgpr_dispatch_id 0
		.amdhsa_user_sgpr_flat_scratch_init 0
		.amdhsa_user_sgpr_kernarg_preload_length 0
		.amdhsa_user_sgpr_kernarg_preload_offset 0
		.amdhsa_user_sgpr_private_segment_size 0
		.amdhsa_uses_dynamic_stack 0
		.amdhsa_system_sgpr_private_segment_wavefront_offset 0
		.amdhsa_system_sgpr_workgroup_id_x 1
		.amdhsa_system_sgpr_workgroup_id_y 0
		.amdhsa_system_sgpr_workgroup_id_z 1
		.amdhsa_system_sgpr_workgroup_info 0
		.amdhsa_system_vgpr_workitem_id 0
		.amdhsa_next_free_vgpr 10
		.amdhsa_next_free_sgpr 20
		.amdhsa_accum_offset 12
		.amdhsa_reserve_vcc 1
		.amdhsa_reserve_flat_scratch 0
		.amdhsa_float_round_mode_32 0
		.amdhsa_float_round_mode_16_64 0
		.amdhsa_float_denorm_mode_32 3
		.amdhsa_float_denorm_mode_16_64 3
		.amdhsa_dx10_clamp 1
		.amdhsa_ieee_mode 1
		.amdhsa_fp16_overflow 0
		.amdhsa_tg_split 0
		.amdhsa_exception_fp_ieee_invalid_op 0
		.amdhsa_exception_fp_denorm_src 0
		.amdhsa_exception_fp_ieee_div_zero 0
		.amdhsa_exception_fp_ieee_overflow 0
		.amdhsa_exception_fp_ieee_underflow 0
		.amdhsa_exception_fp_ieee_inexact 0
		.amdhsa_exception_int_div_zero 0
	.end_amdhsa_kernel
	.section	.text._ZL24rocblas_dot_kernel_magsqIiLb1ELi1024ELi32ELb0EfPKDF16_fEviT5_lT_liPT6_PT4_,"axG",@progbits,_ZL24rocblas_dot_kernel_magsqIiLb1ELi1024ELi32ELb0EfPKDF16_fEviT5_lT_liPT6_PT4_,comdat
.Lfunc_end388:
	.size	_ZL24rocblas_dot_kernel_magsqIiLb1ELi1024ELi32ELb0EfPKDF16_fEviT5_lT_liPT6_PT4_, .Lfunc_end388-_ZL24rocblas_dot_kernel_magsqIiLb1ELi1024ELi32ELb0EfPKDF16_fEviT5_lT_liPT6_PT4_
                                        ; -- End function
	.section	.AMDGPU.csdata,"",@progbits
; Kernel info:
; codeLenInByte = 820
; NumSgprs: 24
; NumVgprs: 10
; NumAgprs: 0
; TotalNumVgprs: 10
; ScratchSize: 0
; MemoryBound: 0
; FloatMode: 240
; IeeeMode: 1
; LDSByteSize: 256 bytes/workgroup (compile time only)
; SGPRBlocks: 2
; VGPRBlocks: 1
; NumSGPRsForWavesPerEU: 24
; NumVGPRsForWavesPerEU: 10
; AccumOffset: 12
; Occupancy: 8
; WaveLimiterHint : 0
; COMPUTE_PGM_RSRC2:SCRATCH_EN: 0
; COMPUTE_PGM_RSRC2:USER_SGPR: 6
; COMPUTE_PGM_RSRC2:TRAP_HANDLER: 0
; COMPUTE_PGM_RSRC2:TGID_X_EN: 1
; COMPUTE_PGM_RSRC2:TGID_Y_EN: 0
; COMPUTE_PGM_RSRC2:TGID_Z_EN: 1
; COMPUTE_PGM_RSRC2:TIDIG_COMP_CNT: 0
; COMPUTE_PGM_RSRC3_GFX90A:ACCUM_OFFSET: 2
; COMPUTE_PGM_RSRC3_GFX90A:TG_SPLIT: 0
	.section	.text._ZL38rocblas_dot_kernel_gfx942_float_doubleIiLi1024EfPKDF16_fEviT2_lT_lS2_lS3_lPT3_PT1_,"axG",@progbits,_ZL38rocblas_dot_kernel_gfx942_float_doubleIiLi1024EfPKDF16_fEviT2_lT_lS2_lS3_lPT3_PT1_,comdat
	.globl	_ZL38rocblas_dot_kernel_gfx942_float_doubleIiLi1024EfPKDF16_fEviT2_lT_lS2_lS3_lPT3_PT1_ ; -- Begin function _ZL38rocblas_dot_kernel_gfx942_float_doubleIiLi1024EfPKDF16_fEviT2_lT_lS2_lS3_lPT3_PT1_
	.p2align	8
	.type	_ZL38rocblas_dot_kernel_gfx942_float_doubleIiLi1024EfPKDF16_fEviT2_lT_lS2_lS3_lPT3_PT1_,@function
_ZL38rocblas_dot_kernel_gfx942_float_doubleIiLi1024EfPKDF16_fEviT2_lT_lS2_lS3_lPT3_PT1_: ; @_ZL38rocblas_dot_kernel_gfx942_float_doubleIiLi1024EfPKDF16_fEviT2_lT_lS2_lS3_lPT3_PT1_
; %bb.0:
	s_endpgm
	.section	.rodata,"a",@progbits
	.p2align	6, 0x0
	.amdhsa_kernel _ZL38rocblas_dot_kernel_gfx942_float_doubleIiLi1024EfPKDF16_fEviT2_lT_lS2_lS3_lPT3_PT1_
		.amdhsa_group_segment_fixed_size 0
		.amdhsa_private_segment_fixed_size 0
		.amdhsa_kernarg_size 88
		.amdhsa_user_sgpr_count 6
		.amdhsa_user_sgpr_private_segment_buffer 1
		.amdhsa_user_sgpr_dispatch_ptr 0
		.amdhsa_user_sgpr_queue_ptr 0
		.amdhsa_user_sgpr_kernarg_segment_ptr 1
		.amdhsa_user_sgpr_dispatch_id 0
		.amdhsa_user_sgpr_flat_scratch_init 0
		.amdhsa_user_sgpr_kernarg_preload_length 0
		.amdhsa_user_sgpr_kernarg_preload_offset 0
		.amdhsa_user_sgpr_private_segment_size 0
		.amdhsa_uses_dynamic_stack 0
		.amdhsa_system_sgpr_private_segment_wavefront_offset 0
		.amdhsa_system_sgpr_workgroup_id_x 1
		.amdhsa_system_sgpr_workgroup_id_y 0
		.amdhsa_system_sgpr_workgroup_id_z 0
		.amdhsa_system_sgpr_workgroup_info 0
		.amdhsa_system_vgpr_workitem_id 0
		.amdhsa_next_free_vgpr 1
		.amdhsa_next_free_sgpr 0
		.amdhsa_accum_offset 4
		.amdhsa_reserve_vcc 0
		.amdhsa_reserve_flat_scratch 0
		.amdhsa_float_round_mode_32 0
		.amdhsa_float_round_mode_16_64 0
		.amdhsa_float_denorm_mode_32 3
		.amdhsa_float_denorm_mode_16_64 3
		.amdhsa_dx10_clamp 1
		.amdhsa_ieee_mode 1
		.amdhsa_fp16_overflow 0
		.amdhsa_tg_split 0
		.amdhsa_exception_fp_ieee_invalid_op 0
		.amdhsa_exception_fp_denorm_src 0
		.amdhsa_exception_fp_ieee_div_zero 0
		.amdhsa_exception_fp_ieee_overflow 0
		.amdhsa_exception_fp_ieee_underflow 0
		.amdhsa_exception_fp_ieee_inexact 0
		.amdhsa_exception_int_div_zero 0
	.end_amdhsa_kernel
	.section	.text._ZL38rocblas_dot_kernel_gfx942_float_doubleIiLi1024EfPKDF16_fEviT2_lT_lS2_lS3_lPT3_PT1_,"axG",@progbits,_ZL38rocblas_dot_kernel_gfx942_float_doubleIiLi1024EfPKDF16_fEviT2_lT_lS2_lS3_lPT3_PT1_,comdat
.Lfunc_end389:
	.size	_ZL38rocblas_dot_kernel_gfx942_float_doubleIiLi1024EfPKDF16_fEviT2_lT_lS2_lS3_lPT3_PT1_, .Lfunc_end389-_ZL38rocblas_dot_kernel_gfx942_float_doubleIiLi1024EfPKDF16_fEviT2_lT_lS2_lS3_lPT3_PT1_
                                        ; -- End function
	.section	.AMDGPU.csdata,"",@progbits
; Kernel info:
; codeLenInByte = 4
; NumSgprs: 4
; NumVgprs: 0
; NumAgprs: 0
; TotalNumVgprs: 0
; ScratchSize: 0
; MemoryBound: 0
; FloatMode: 240
; IeeeMode: 1
; LDSByteSize: 0 bytes/workgroup (compile time only)
; SGPRBlocks: 0
; VGPRBlocks: 0
; NumSGPRsForWavesPerEU: 4
; NumVGPRsForWavesPerEU: 1
; AccumOffset: 4
; Occupancy: 8
; WaveLimiterHint : 0
; COMPUTE_PGM_RSRC2:SCRATCH_EN: 0
; COMPUTE_PGM_RSRC2:USER_SGPR: 6
; COMPUTE_PGM_RSRC2:TRAP_HANDLER: 0
; COMPUTE_PGM_RSRC2:TGID_X_EN: 1
; COMPUTE_PGM_RSRC2:TGID_Y_EN: 0
; COMPUTE_PGM_RSRC2:TGID_Z_EN: 0
; COMPUTE_PGM_RSRC2:TIDIG_COMP_CNT: 0
; COMPUTE_PGM_RSRC3_GFX90A:ACCUM_OFFSET: 0
; COMPUTE_PGM_RSRC3_GFX90A:TG_SPLIT: 0
	.section	.text._ZL18rocblas_dot_kernelIiLb0ELi512ELi4ELb0EfPKDF16_fEviT5_lT_lS2_lS3_liPT6_PT4_,"axG",@progbits,_ZL18rocblas_dot_kernelIiLb0ELi512ELi4ELb0EfPKDF16_fEviT5_lT_lS2_lS3_liPT6_PT4_,comdat
	.globl	_ZL18rocblas_dot_kernelIiLb0ELi512ELi4ELb0EfPKDF16_fEviT5_lT_lS2_lS3_liPT6_PT4_ ; -- Begin function _ZL18rocblas_dot_kernelIiLb0ELi512ELi4ELb0EfPKDF16_fEviT5_lT_lS2_lS3_liPT6_PT4_
	.p2align	8
	.type	_ZL18rocblas_dot_kernelIiLb0ELi512ELi4ELb0EfPKDF16_fEviT5_lT_lS2_lS3_liPT6_PT4_,@function
_ZL18rocblas_dot_kernelIiLb0ELi512ELi4ELb0EfPKDF16_fEviT5_lT_lS2_lS3_liPT6_PT4_: ; @_ZL18rocblas_dot_kernelIiLb0ELi512ELi4ELb0EfPKDF16_fEviT5_lT_lS2_lS3_liPT6_PT4_
; %bb.0:
	s_mov_b32 s12, s7
	s_load_dword s18, s[4:5], 0x60
	s_load_dword s7, s[4:5], 0x0
	s_load_dwordx4 s[8:11], s[4:5], 0x50
	v_lshl_or_b32 v4, s6, 9, v0
	s_mov_b32 s13, 0
	v_mov_b32_e32 v6, 0
	s_waitcnt lgkmcnt(0)
	v_cmp_gt_i32_e32 vcc, s7, v4
	s_and_saveexec_b64 s[14:15], vcc
	s_cbranch_execz .LBB390_4
; %bb.1:
	s_load_dwordx4 s[20:23], s[4:5], 0x8
	s_load_dword s26, s[4:5], 0x18
	s_load_dwordx4 s[0:3], s[4:5], 0x20
	s_load_dwordx2 s[16:17], s[4:5], 0x30
	s_load_dword s27, s[4:5], 0x38
	s_load_dwordx2 s[24:25], s[4:5], 0x40
	s_waitcnt lgkmcnt(0)
	v_mad_i64_i32 v[2:3], s[4:5], s26, v4, 0
	s_mul_i32 s1, s1, s12
	s_mul_hi_u32 s4, s0, s12
	s_add_i32 s1, s4, s1
	s_mul_i32 s0, s0, s12
	s_lshl_b32 s19, s18, 9
	s_lshl_b64 s[0:1], s[0:1], 1
	s_lshl_b64 s[4:5], s[22:23], 1
	s_add_u32 s4, s20, s4
	s_addc_u32 s5, s21, s5
	s_add_u32 s0, s4, s0
	v_lshlrev_b64 v[2:3], 1, v[2:3]
	s_addc_u32 s1, s5, s1
	v_mov_b32_e32 v5, s1
	v_add_co_u32_e32 v2, vcc, s0, v2
	s_mul_hi_i32 s1, s26, s19
	s_mul_i32 s0, s26, s19
	v_add_u32_e32 v1, s19, v4
	v_addc_co_u32_e32 v3, vcc, v5, v3, vcc
	s_lshl_b64 s[4:5], s[0:1], 1
	v_mad_i64_i32 v[4:5], s[0:1], s27, v4, 0
	s_mul_i32 s0, s25, s12
	s_mul_hi_u32 s1, s24, s12
	s_add_i32 s1, s1, s0
	s_mul_i32 s0, s24, s12
	s_lshl_b64 s[0:1], s[0:1], 1
	s_lshl_b64 s[16:17], s[16:17], 1
	s_add_u32 s2, s2, s16
	s_addc_u32 s3, s3, s17
	s_add_u32 s0, s2, s0
	v_lshlrev_b64 v[4:5], 1, v[4:5]
	s_addc_u32 s1, s3, s1
	v_mov_b32_e32 v6, s1
	v_add_co_u32_e32 v4, vcc, s0, v4
	s_mul_hi_i32 s1, s27, s19
	s_mul_i32 s0, s27, s19
	s_lshl_b64 s[16:17], s[0:1], 1
	v_addc_co_u32_e32 v5, vcc, v6, v5, vcc
	s_mov_b64 s[2:3], 0
	v_mov_b32_e32 v6, 0
	v_mov_b32_e32 v7, s5
	;; [unrolled: 1-line block ×3, first 2 shown]
	s_mov_b32 s5, s13
.LBB390_2:                              ; =>This Inner Loop Header: Depth=1
	global_load_ushort v9, v[4:5], off
	global_load_ushort v10, v[2:3], off
	v_add_co_u32_e64 v2, s[0:1], s4, v2
	v_addc_co_u32_e64 v3, s[0:1], v3, v7, s[0:1]
	s_add_i32 s17, s5, 1
	v_add_co_u32_e64 v4, s[0:1], s16, v4
	v_addc_co_u32_e64 v5, s[0:1], v5, v8, s[0:1]
	s_cmp_gt_u32 s5, 2
	v_cmp_le_i32_e32 vcc, s7, v1
	s_cselect_b64 s[0:1], -1, 0
	s_or_b64 s[0:1], s[0:1], vcc
	s_and_b64 s[0:1], exec, s[0:1]
	v_add_u32_e32 v1, s19, v1
	s_mov_b32 s5, s17
	s_or_b64 s[2:3], s[0:1], s[2:3]
	s_waitcnt vmcnt(0)
	v_fma_mix_f32 v6, v9, v10, v6 op_sel_hi:[1,1,0]
	s_andn2_b64 exec, exec, s[2:3]
	s_cbranch_execnz .LBB390_2
; %bb.3:
	s_or_b64 exec, exec, s[2:3]
.LBB390_4:
	s_or_b64 exec, exec, s[14:15]
	v_and_b32_e32 v2, 63, v0
	v_cmp_gt_u32_e32 vcc, 64, v0
	v_lshlrev_b32_e32 v1, 2, v2
	s_and_saveexec_b64 s[0:1], vcc
	s_cbranch_execz .LBB390_6
; %bb.5:
	v_mov_b32_e32 v3, 0
	ds_write_b32 v1, v3
.LBB390_6:
	s_or_b64 exec, exec, s[0:1]
	v_mbcnt_lo_u32_b32 v3, -1, 0
	v_mbcnt_hi_u32_b32 v5, -1, v3
	v_and_b32_e32 v7, 63, v5
	v_cmp_gt_u32_e64 s[0:1], 32, v7
	v_cndmask_b32_e64 v3, 0, 1, s[0:1]
	v_lshlrev_b32_e32 v3, 5, v3
	v_add_lshl_u32 v3, v3, v5, 2
	ds_bpermute_b32 v3, v3, v6
	v_cmp_gt_u32_e64 s[0:1], 48, v7
	v_cndmask_b32_e64 v4, 0, 1, s[0:1]
	v_lshlrev_b32_e32 v4, 4, v4
	v_add_lshl_u32 v4, v4, v5, 2
	s_waitcnt lgkmcnt(0)
	v_add_f32_e32 v3, v6, v3
	ds_bpermute_b32 v4, v4, v3
	v_cmp_gt_u32_e64 s[0:1], 56, v7
	v_cndmask_b32_e64 v6, 0, 1, s[0:1]
	v_lshlrev_b32_e32 v6, 3, v6
	v_cmp_gt_u32_e64 s[0:1], 60, v7
	s_waitcnt lgkmcnt(0)
	v_add_f32_e32 v3, v3, v4
	v_add_lshl_u32 v4, v6, v5, 2
	ds_bpermute_b32 v4, v4, v3
	v_cndmask_b32_e64 v6, 0, 1, s[0:1]
	v_lshlrev_b32_e32 v6, 2, v6
	v_cmp_gt_u32_e64 s[0:1], 62, v7
	v_cndmask_b32_e64 v8, 0, 1, s[0:1]
	s_waitcnt lgkmcnt(0)
	v_add_f32_e32 v4, v3, v4
	v_add_lshl_u32 v3, v6, v5, 2
	ds_bpermute_b32 v6, v3, v4
	v_lshlrev_b32_e32 v8, 1, v8
	v_cmp_ne_u32_e64 s[0:1], 63, v7
	s_waitcnt lgkmcnt(0)
	s_barrier
	v_add_f32_e32 v6, v4, v6
	v_add_lshl_u32 v4, v8, v5, 2
	ds_bpermute_b32 v8, v4, v6
	v_addc_co_u32_e64 v5, s[0:1], 0, v5, s[0:1]
	v_lshlrev_b32_e32 v5, 2, v5
	v_cmp_eq_u32_e64 s[0:1], 0, v2
	s_waitcnt lgkmcnt(0)
	v_add_f32_e32 v6, v6, v8
	ds_bpermute_b32 v7, v5, v6
	s_waitcnt lgkmcnt(0)
	s_and_saveexec_b64 s[2:3], s[0:1]
	s_cbranch_execz .LBB390_8
; %bb.7:
	v_add_f32_e32 v2, v6, v7
	v_lshrrev_b32_e32 v6, 4, v0
	v_and_b32_e32 v6, 28, v6
	ds_write_b32 v6, v2
.LBB390_8:
	s_or_b64 exec, exec, s[2:3]
	v_cmp_gt_u32_e64 s[0:1], 8, v0
	v_mov_b32_e32 v2, 0
	s_waitcnt lgkmcnt(0)
	s_barrier
	s_and_saveexec_b64 s[2:3], s[0:1]
	s_cbranch_execnz .LBB390_12
; %bb.9:
	s_or_b64 exec, exec, s[2:3]
	s_and_saveexec_b64 s[0:1], vcc
	s_cbranch_execnz .LBB390_13
.LBB390_10:
	s_or_b64 exec, exec, s[0:1]
	v_cmp_eq_u32_e32 vcc, 0, v0
	s_and_saveexec_b64 s[0:1], vcc
	s_cbranch_execnz .LBB390_14
.LBB390_11:
	s_endpgm
.LBB390_12:
	ds_read_b32 v2, v1
	s_or_b64 exec, exec, s[2:3]
	s_and_saveexec_b64 s[0:1], vcc
	s_cbranch_execz .LBB390_10
.LBB390_13:
	s_waitcnt lgkmcnt(0)
	ds_bpermute_b32 v1, v3, v2
	s_waitcnt lgkmcnt(0)
	v_add_f32_e32 v1, v2, v1
	ds_bpermute_b32 v2, v4, v1
	s_waitcnt lgkmcnt(0)
	v_add_f32_e32 v1, v1, v2
	;; [unrolled: 3-line block ×3, first 2 shown]
	s_or_b64 exec, exec, s[0:1]
	v_cmp_eq_u32_e32 vcc, 0, v0
	s_and_saveexec_b64 s[0:1], vcc
	s_cbranch_execz .LBB390_11
.LBB390_14:
	s_cmp_lg_u32 s18, 1
	s_cbranch_scc0 .LBB390_16
; %bb.15:
	s_mul_hi_u32 s1, s18, s12
	s_mul_i32 s0, s18, s12
	s_lshl_b64 s[0:1], s[0:1], 2
	s_mov_b32 s7, 0
	s_add_u32 s2, s8, s0
	s_addc_u32 s3, s9, s1
	s_lshl_b64 s[0:1], s[6:7], 2
	s_add_u32 s0, s2, s0
	s_addc_u32 s1, s3, s1
	s_cbranch_execz .LBB390_17
	s_branch .LBB390_18
.LBB390_16:
                                        ; implicit-def: $sgpr0_sgpr1
.LBB390_17:
	s_lshl_b64 s[0:1], s[12:13], 2
	s_add_u32 s0, s10, s0
	s_addc_u32 s1, s11, s1
.LBB390_18:
	v_mov_b32_e32 v0, 0
	s_waitcnt lgkmcnt(0)
	global_store_dword v0, v2, s[0:1]
	s_endpgm
	.section	.rodata,"a",@progbits
	.p2align	6, 0x0
	.amdhsa_kernel _ZL18rocblas_dot_kernelIiLb0ELi512ELi4ELb0EfPKDF16_fEviT5_lT_lS2_lS3_liPT6_PT4_
		.amdhsa_group_segment_fixed_size 256
		.amdhsa_private_segment_fixed_size 0
		.amdhsa_kernarg_size 352
		.amdhsa_user_sgpr_count 6
		.amdhsa_user_sgpr_private_segment_buffer 1
		.amdhsa_user_sgpr_dispatch_ptr 0
		.amdhsa_user_sgpr_queue_ptr 0
		.amdhsa_user_sgpr_kernarg_segment_ptr 1
		.amdhsa_user_sgpr_dispatch_id 0
		.amdhsa_user_sgpr_flat_scratch_init 0
		.amdhsa_user_sgpr_kernarg_preload_length 0
		.amdhsa_user_sgpr_kernarg_preload_offset 0
		.amdhsa_user_sgpr_private_segment_size 0
		.amdhsa_uses_dynamic_stack 0
		.amdhsa_system_sgpr_private_segment_wavefront_offset 0
		.amdhsa_system_sgpr_workgroup_id_x 1
		.amdhsa_system_sgpr_workgroup_id_y 0
		.amdhsa_system_sgpr_workgroup_id_z 1
		.amdhsa_system_sgpr_workgroup_info 0
		.amdhsa_system_vgpr_workitem_id 0
		.amdhsa_next_free_vgpr 11
		.amdhsa_next_free_sgpr 28
		.amdhsa_accum_offset 12
		.amdhsa_reserve_vcc 1
		.amdhsa_reserve_flat_scratch 0
		.amdhsa_float_round_mode_32 0
		.amdhsa_float_round_mode_16_64 0
		.amdhsa_float_denorm_mode_32 3
		.amdhsa_float_denorm_mode_16_64 3
		.amdhsa_dx10_clamp 1
		.amdhsa_ieee_mode 1
		.amdhsa_fp16_overflow 0
		.amdhsa_tg_split 0
		.amdhsa_exception_fp_ieee_invalid_op 0
		.amdhsa_exception_fp_denorm_src 0
		.amdhsa_exception_fp_ieee_div_zero 0
		.amdhsa_exception_fp_ieee_overflow 0
		.amdhsa_exception_fp_ieee_underflow 0
		.amdhsa_exception_fp_ieee_inexact 0
		.amdhsa_exception_int_div_zero 0
	.end_amdhsa_kernel
	.section	.text._ZL18rocblas_dot_kernelIiLb0ELi512ELi4ELb0EfPKDF16_fEviT5_lT_lS2_lS3_liPT6_PT4_,"axG",@progbits,_ZL18rocblas_dot_kernelIiLb0ELi512ELi4ELb0EfPKDF16_fEviT5_lT_lS2_lS3_liPT6_PT4_,comdat
.Lfunc_end390:
	.size	_ZL18rocblas_dot_kernelIiLb0ELi512ELi4ELb0EfPKDF16_fEviT5_lT_lS2_lS3_liPT6_PT4_, .Lfunc_end390-_ZL18rocblas_dot_kernelIiLb0ELi512ELi4ELb0EfPKDF16_fEviT5_lT_lS2_lS3_liPT6_PT4_
                                        ; -- End function
	.section	.AMDGPU.csdata,"",@progbits
; Kernel info:
; codeLenInByte = 996
; NumSgprs: 32
; NumVgprs: 11
; NumAgprs: 0
; TotalNumVgprs: 11
; ScratchSize: 0
; MemoryBound: 0
; FloatMode: 240
; IeeeMode: 1
; LDSByteSize: 256 bytes/workgroup (compile time only)
; SGPRBlocks: 3
; VGPRBlocks: 1
; NumSGPRsForWavesPerEU: 32
; NumVGPRsForWavesPerEU: 11
; AccumOffset: 12
; Occupancy: 8
; WaveLimiterHint : 0
; COMPUTE_PGM_RSRC2:SCRATCH_EN: 0
; COMPUTE_PGM_RSRC2:USER_SGPR: 6
; COMPUTE_PGM_RSRC2:TRAP_HANDLER: 0
; COMPUTE_PGM_RSRC2:TGID_X_EN: 1
; COMPUTE_PGM_RSRC2:TGID_Y_EN: 0
; COMPUTE_PGM_RSRC2:TGID_Z_EN: 1
; COMPUTE_PGM_RSRC2:TIDIG_COMP_CNT: 0
; COMPUTE_PGM_RSRC3_GFX90A:ACCUM_OFFSET: 2
; COMPUTE_PGM_RSRC3_GFX90A:TG_SPLIT: 0
	.section	.text._ZL24rocblas_dot_kernel_magsqIiLb0ELi512ELi4ELb0EfPKDF16_fEviT5_lT_liPT6_PT4_,"axG",@progbits,_ZL24rocblas_dot_kernel_magsqIiLb0ELi512ELi4ELb0EfPKDF16_fEviT5_lT_liPT6_PT4_,comdat
	.globl	_ZL24rocblas_dot_kernel_magsqIiLb0ELi512ELi4ELb0EfPKDF16_fEviT5_lT_liPT6_PT4_ ; -- Begin function _ZL24rocblas_dot_kernel_magsqIiLb0ELi512ELi4ELb0EfPKDF16_fEviT5_lT_liPT6_PT4_
	.p2align	8
	.type	_ZL24rocblas_dot_kernel_magsqIiLb0ELi512ELi4ELb0EfPKDF16_fEviT5_lT_liPT6_PT4_,@function
_ZL24rocblas_dot_kernel_magsqIiLb0ELi512ELi4ELb0EfPKDF16_fEviT5_lT_liPT6_PT4_: ; @_ZL24rocblas_dot_kernel_magsqIiLb0ELi512ELi4ELb0EfPKDF16_fEviT5_lT_liPT6_PT4_
; %bb.0:
	s_mov_b32 s2, s7
	s_load_dword s7, s[4:5], 0x0
	s_load_dwordx4 s[8:11], s[4:5], 0x30
	s_load_dword s16, s[4:5], 0x40
	v_lshl_or_b32 v2, s6, 9, v0
	s_mov_b32 s3, 0
	s_waitcnt lgkmcnt(0)
	v_cmp_gt_i32_e32 vcc, s7, v2
	v_mov_b32_e32 v1, 0
	s_and_saveexec_b64 s[12:13], vcc
	s_cbranch_execz .LBB391_4
; %bb.1:
	s_load_dwordx4 s[20:23], s[4:5], 0x8
	s_load_dword s14, s[4:5], 0x18
	s_load_dwordx2 s[0:1], s[4:5], 0x20
	s_lshl_b32 s17, s16, 9
	v_add_u32_e32 v4, s17, v2
	s_waitcnt lgkmcnt(0)
	v_mad_i64_i32 v[2:3], s[4:5], s14, v2, 0
	s_mul_i32 s1, s1, s2
	s_mul_hi_u32 s4, s0, s2
	s_add_i32 s1, s4, s1
	s_mul_i32 s0, s0, s2
	s_lshl_b64 s[0:1], s[0:1], 1
	s_lshl_b64 s[4:5], s[22:23], 1
	s_add_u32 s4, s20, s4
	s_addc_u32 s5, s21, s5
	s_add_u32 s0, s4, s0
	v_lshlrev_b64 v[2:3], 1, v[2:3]
	s_addc_u32 s1, s5, s1
	v_mov_b32_e32 v1, s1
	v_add_co_u32_e32 v2, vcc, s0, v2
	s_mul_hi_i32 s1, s14, s17
	s_mul_i32 s0, s14, s17
	s_lshl_b64 s[14:15], s[0:1], 1
	v_addc_co_u32_e32 v3, vcc, v1, v3, vcc
	s_mov_b64 s[4:5], 0
	v_mov_b32_e32 v1, 0
	v_mov_b32_e32 v5, s15
	s_mov_b32 s15, s3
.LBB391_2:                              ; =>This Inner Loop Header: Depth=1
	global_load_ushort v6, v[2:3], off
	s_add_i32 s18, s15, 1
	v_add_co_u32_e64 v2, s[0:1], s14, v2
	v_addc_co_u32_e64 v3, s[0:1], v3, v5, s[0:1]
	s_cmp_gt_u32 s15, 2
	v_cmp_le_i32_e32 vcc, s7, v4
	s_cselect_b64 s[0:1], -1, 0
	s_or_b64 s[0:1], s[0:1], vcc
	s_and_b64 s[0:1], exec, s[0:1]
	v_add_u32_e32 v4, s17, v4
	s_mov_b32 s15, s18
	s_or_b64 s[4:5], s[0:1], s[4:5]
	s_waitcnt vmcnt(0)
	v_fma_mix_f32 v1, v6, v6, v1 op_sel_hi:[1,1,0]
	s_andn2_b64 exec, exec, s[4:5]
	s_cbranch_execnz .LBB391_2
; %bb.3:
	s_or_b64 exec, exec, s[4:5]
.LBB391_4:
	s_or_b64 exec, exec, s[12:13]
	v_and_b32_e32 v3, 63, v0
	v_cmp_gt_u32_e32 vcc, 64, v0
	v_lshlrev_b32_e32 v2, 2, v3
	s_and_saveexec_b64 s[0:1], vcc
	s_cbranch_execz .LBB391_6
; %bb.5:
	v_mov_b32_e32 v4, 0
	ds_write_b32 v2, v4
.LBB391_6:
	s_or_b64 exec, exec, s[0:1]
	v_mbcnt_lo_u32_b32 v4, -1, 0
	v_mbcnt_hi_u32_b32 v6, -1, v4
	v_and_b32_e32 v7, 63, v6
	v_cmp_gt_u32_e64 s[0:1], 32, v7
	v_cndmask_b32_e64 v4, 0, 1, s[0:1]
	v_lshlrev_b32_e32 v4, 5, v4
	v_add_lshl_u32 v4, v4, v6, 2
	ds_bpermute_b32 v4, v4, v1
	v_cmp_gt_u32_e64 s[0:1], 48, v7
	v_cndmask_b32_e64 v5, 0, 1, s[0:1]
	v_lshlrev_b32_e32 v5, 4, v5
	v_cmp_gt_u32_e64 s[0:1], 56, v7
	s_waitcnt lgkmcnt(0)
	v_add_f32_e32 v1, v1, v4
	v_add_lshl_u32 v4, v5, v6, 2
	ds_bpermute_b32 v4, v4, v1
	v_cndmask_b32_e64 v5, 0, 1, s[0:1]
	v_lshlrev_b32_e32 v5, 3, v5
	v_cmp_gt_u32_e64 s[0:1], 60, v7
	s_waitcnt lgkmcnt(0)
	v_add_f32_e32 v1, v1, v4
	v_add_lshl_u32 v4, v5, v6, 2
	ds_bpermute_b32 v4, v4, v1
	v_cndmask_b32_e64 v5, 0, 1, s[0:1]
	v_lshlrev_b32_e32 v5, 2, v5
	v_cmp_gt_u32_e64 s[0:1], 62, v7
	v_cndmask_b32_e64 v8, 0, 1, s[0:1]
	s_waitcnt lgkmcnt(0)
	v_add_f32_e32 v1, v1, v4
	v_add_lshl_u32 v4, v5, v6, 2
	ds_bpermute_b32 v5, v4, v1
	v_lshlrev_b32_e32 v8, 1, v8
	v_cmp_ne_u32_e64 s[0:1], 63, v7
	s_barrier
	s_waitcnt lgkmcnt(0)
	v_add_f32_e32 v1, v1, v5
	v_add_lshl_u32 v5, v8, v6, 2
	ds_bpermute_b32 v8, v5, v1
	v_addc_co_u32_e64 v6, s[0:1], 0, v6, s[0:1]
	v_lshlrev_b32_e32 v6, 2, v6
	v_cmp_eq_u32_e64 s[0:1], 0, v3
	s_waitcnt lgkmcnt(0)
	v_add_f32_e32 v1, v1, v8
	ds_bpermute_b32 v7, v6, v1
	s_and_saveexec_b64 s[4:5], s[0:1]
	s_cbranch_execz .LBB391_8
; %bb.7:
	v_lshrrev_b32_e32 v3, 4, v0
	s_waitcnt lgkmcnt(0)
	v_add_f32_e32 v1, v1, v7
	v_and_b32_e32 v3, 28, v3
	ds_write_b32 v3, v1
.LBB391_8:
	s_or_b64 exec, exec, s[4:5]
	v_cmp_gt_u32_e64 s[0:1], 8, v0
	v_mov_b32_e32 v1, 0
	s_waitcnt lgkmcnt(0)
	s_barrier
	s_and_saveexec_b64 s[4:5], s[0:1]
	s_cbranch_execnz .LBB391_12
; %bb.9:
	s_or_b64 exec, exec, s[4:5]
	s_and_saveexec_b64 s[0:1], vcc
	s_cbranch_execnz .LBB391_13
.LBB391_10:
	s_or_b64 exec, exec, s[0:1]
	v_cmp_eq_u32_e32 vcc, 0, v0
	s_and_saveexec_b64 s[0:1], vcc
	s_cbranch_execnz .LBB391_14
.LBB391_11:
	s_endpgm
.LBB391_12:
	ds_read_b32 v1, v2
	s_or_b64 exec, exec, s[4:5]
	s_and_saveexec_b64 s[0:1], vcc
	s_cbranch_execz .LBB391_10
.LBB391_13:
	s_waitcnt lgkmcnt(0)
	ds_bpermute_b32 v2, v4, v1
	s_waitcnt lgkmcnt(0)
	v_add_f32_e32 v1, v1, v2
	ds_bpermute_b32 v2, v5, v1
	s_waitcnt lgkmcnt(0)
	v_add_f32_e32 v1, v1, v2
	;; [unrolled: 3-line block ×3, first 2 shown]
	s_or_b64 exec, exec, s[0:1]
	v_cmp_eq_u32_e32 vcc, 0, v0
	s_and_saveexec_b64 s[0:1], vcc
	s_cbranch_execz .LBB391_11
.LBB391_14:
	s_cmp_lg_u32 s16, 1
	s_cbranch_scc0 .LBB391_16
; %bb.15:
	s_mul_hi_u32 s1, s16, s2
	s_mul_i32 s0, s16, s2
	s_lshl_b64 s[0:1], s[0:1], 2
	s_mov_b32 s7, 0
	s_add_u32 s4, s8, s0
	s_addc_u32 s5, s9, s1
	s_lshl_b64 s[0:1], s[6:7], 2
	s_add_u32 s0, s4, s0
	s_addc_u32 s1, s5, s1
	s_cbranch_execz .LBB391_17
	s_branch .LBB391_18
.LBB391_16:
                                        ; implicit-def: $sgpr0_sgpr1
.LBB391_17:
	s_lshl_b64 s[0:1], s[2:3], 2
	s_add_u32 s0, s10, s0
	s_addc_u32 s1, s11, s1
.LBB391_18:
	v_mov_b32_e32 v0, 0
	s_waitcnt lgkmcnt(0)
	global_store_dword v0, v1, s[0:1]
	s_endpgm
	.section	.rodata,"a",@progbits
	.p2align	6, 0x0
	.amdhsa_kernel _ZL24rocblas_dot_kernel_magsqIiLb0ELi512ELi4ELb0EfPKDF16_fEviT5_lT_liPT6_PT4_
		.amdhsa_group_segment_fixed_size 256
		.amdhsa_private_segment_fixed_size 0
		.amdhsa_kernarg_size 320
		.amdhsa_user_sgpr_count 6
		.amdhsa_user_sgpr_private_segment_buffer 1
		.amdhsa_user_sgpr_dispatch_ptr 0
		.amdhsa_user_sgpr_queue_ptr 0
		.amdhsa_user_sgpr_kernarg_segment_ptr 1
		.amdhsa_user_sgpr_dispatch_id 0
		.amdhsa_user_sgpr_flat_scratch_init 0
		.amdhsa_user_sgpr_kernarg_preload_length 0
		.amdhsa_user_sgpr_kernarg_preload_offset 0
		.amdhsa_user_sgpr_private_segment_size 0
		.amdhsa_uses_dynamic_stack 0
		.amdhsa_system_sgpr_private_segment_wavefront_offset 0
		.amdhsa_system_sgpr_workgroup_id_x 1
		.amdhsa_system_sgpr_workgroup_id_y 0
		.amdhsa_system_sgpr_workgroup_id_z 1
		.amdhsa_system_sgpr_workgroup_info 0
		.amdhsa_system_vgpr_workitem_id 0
		.amdhsa_next_free_vgpr 9
		.amdhsa_next_free_sgpr 24
		.amdhsa_accum_offset 12
		.amdhsa_reserve_vcc 1
		.amdhsa_reserve_flat_scratch 0
		.amdhsa_float_round_mode_32 0
		.amdhsa_float_round_mode_16_64 0
		.amdhsa_float_denorm_mode_32 3
		.amdhsa_float_denorm_mode_16_64 3
		.amdhsa_dx10_clamp 1
		.amdhsa_ieee_mode 1
		.amdhsa_fp16_overflow 0
		.amdhsa_tg_split 0
		.amdhsa_exception_fp_ieee_invalid_op 0
		.amdhsa_exception_fp_denorm_src 0
		.amdhsa_exception_fp_ieee_div_zero 0
		.amdhsa_exception_fp_ieee_overflow 0
		.amdhsa_exception_fp_ieee_underflow 0
		.amdhsa_exception_fp_ieee_inexact 0
		.amdhsa_exception_int_div_zero 0
	.end_amdhsa_kernel
	.section	.text._ZL24rocblas_dot_kernel_magsqIiLb0ELi512ELi4ELb0EfPKDF16_fEviT5_lT_liPT6_PT4_,"axG",@progbits,_ZL24rocblas_dot_kernel_magsqIiLb0ELi512ELi4ELb0EfPKDF16_fEviT5_lT_liPT6_PT4_,comdat
.Lfunc_end391:
	.size	_ZL24rocblas_dot_kernel_magsqIiLb0ELi512ELi4ELb0EfPKDF16_fEviT5_lT_liPT6_PT4_, .Lfunc_end391-_ZL24rocblas_dot_kernel_magsqIiLb0ELi512ELi4ELb0EfPKDF16_fEviT5_lT_liPT6_PT4_
                                        ; -- End function
	.section	.AMDGPU.csdata,"",@progbits
; Kernel info:
; codeLenInByte = 864
; NumSgprs: 28
; NumVgprs: 9
; NumAgprs: 0
; TotalNumVgprs: 9
; ScratchSize: 0
; MemoryBound: 0
; FloatMode: 240
; IeeeMode: 1
; LDSByteSize: 256 bytes/workgroup (compile time only)
; SGPRBlocks: 3
; VGPRBlocks: 1
; NumSGPRsForWavesPerEU: 28
; NumVGPRsForWavesPerEU: 9
; AccumOffset: 12
; Occupancy: 8
; WaveLimiterHint : 0
; COMPUTE_PGM_RSRC2:SCRATCH_EN: 0
; COMPUTE_PGM_RSRC2:USER_SGPR: 6
; COMPUTE_PGM_RSRC2:TRAP_HANDLER: 0
; COMPUTE_PGM_RSRC2:TGID_X_EN: 1
; COMPUTE_PGM_RSRC2:TGID_Y_EN: 0
; COMPUTE_PGM_RSRC2:TGID_Z_EN: 1
; COMPUTE_PGM_RSRC2:TIDIG_COMP_CNT: 0
; COMPUTE_PGM_RSRC3_GFX90A:ACCUM_OFFSET: 2
; COMPUTE_PGM_RSRC3_GFX90A:TG_SPLIT: 0
	.section	.text._ZL30rocblas_reduction_kernel_part2ILi512ELi8E25rocblas_finalize_identityfDF16_EviPT2_PT3_,"axG",@progbits,_ZL30rocblas_reduction_kernel_part2ILi512ELi8E25rocblas_finalize_identityfDF16_EviPT2_PT3_,comdat
	.globl	_ZL30rocblas_reduction_kernel_part2ILi512ELi8E25rocblas_finalize_identityfDF16_EviPT2_PT3_ ; -- Begin function _ZL30rocblas_reduction_kernel_part2ILi512ELi8E25rocblas_finalize_identityfDF16_EviPT2_PT3_
	.p2align	8
	.type	_ZL30rocblas_reduction_kernel_part2ILi512ELi8E25rocblas_finalize_identityfDF16_EviPT2_PT3_,@function
_ZL30rocblas_reduction_kernel_part2ILi512ELi8E25rocblas_finalize_identityfDF16_EviPT2_PT3_: ; @_ZL30rocblas_reduction_kernel_part2ILi512ELi8E25rocblas_finalize_identityfDF16_EviPT2_PT3_
; %bb.0:
	s_load_dword s12, s[4:5], 0x0
	s_load_dwordx4 s[0:3], s[4:5], 0x8
	v_lshlrev_b32_e32 v4, 3, v0
	s_mov_b32 s7, 0
	v_mov_b32_e32 v1, 0
	s_waitcnt lgkmcnt(0)
	s_ashr_i32 s8, s12, 31
	s_mul_i32 s5, s8, s6
	s_lshr_b32 s8, s8, 29
	s_add_i32 s8, s12, s8
	s_mul_hi_u32 s4, s12, s6
	s_and_b32 s13, s8, -8
	s_add_i32 s5, s4, s5
	s_mul_i32 s4, s12, s6
	v_cmp_gt_i32_e32 vcc, s13, v4
	s_and_saveexec_b64 s[8:9], vcc
	s_cbranch_execz .LBB392_4
; %bb.1:
	s_lshl_b64 s[10:11], s[4:5], 2
	s_add_u32 s10, s0, s10
	v_lshlrev_b32_e32 v2, 5, v0
	s_addc_u32 s11, s1, s11
	v_mov_b32_e32 v3, s11
	v_add_co_u32_e32 v2, vcc, s10, v2
	v_addc_co_u32_e32 v3, vcc, 0, v3, vcc
	v_add_co_u32_e32 v2, vcc, 28, v2
	v_mov_b32_e32 v1, 0
	v_addc_co_u32_e32 v3, vcc, 0, v3, vcc
	s_mov_b64 s[10:11], 0
.LBB392_2:                              ; =>This Inner Loop Header: Depth=1
	global_load_dwordx4 v[6:9], v[2:3], off offset:-28
	global_load_dwordx4 v[10:13], v[2:3], off offset:-12
	v_add_co_u32_e32 v2, vcc, 0x4000, v2
	v_add_u32_e32 v4, 0x1000, v4
	v_addc_co_u32_e32 v3, vcc, 0, v3, vcc
	v_cmp_le_i32_e32 vcc, s13, v4
	s_or_b64 s[10:11], vcc, s[10:11]
	s_waitcnt vmcnt(1)
	v_add_f32_e32 v1, v1, v6
	v_add_f32_e32 v1, v1, v7
	;; [unrolled: 1-line block ×4, first 2 shown]
	s_waitcnt vmcnt(0)
	v_add_f32_e32 v1, v1, v10
	v_add_f32_e32 v1, v1, v11
	;; [unrolled: 1-line block ×4, first 2 shown]
	s_andn2_b64 exec, exec, s[10:11]
	s_cbranch_execnz .LBB392_2
; %bb.3:
	s_or_b64 exec, exec, s[10:11]
.LBB392_4:
	s_or_b64 exec, exec, s[8:9]
	s_sub_i32 s8, s12, s13
	v_cmp_gt_u32_e32 vcc, s8, v0
	s_and_saveexec_b64 s[8:9], vcc
	s_cbranch_execz .LBB392_6
; %bb.5:
	s_lshl_b64 s[4:5], s[4:5], 2
	s_add_u32 s0, s0, s4
	v_xad_u32 v2, v0, -1, s12
	v_mov_b32_e32 v3, 0
	s_addc_u32 s1, s1, s5
	v_lshlrev_b64 v[2:3], 2, v[2:3]
	v_mov_b32_e32 v4, s1
	v_add_co_u32_e32 v2, vcc, s0, v2
	v_addc_co_u32_e32 v3, vcc, v4, v3, vcc
	global_load_dword v2, v[2:3], off
	s_waitcnt vmcnt(0)
	v_add_f32_e32 v1, v1, v2
.LBB392_6:
	s_or_b64 exec, exec, s[8:9]
	v_and_b32_e32 v3, 63, v0
	v_cmp_gt_u32_e32 vcc, 64, v0
	v_lshlrev_b32_e32 v2, 2, v3
	s_and_saveexec_b64 s[0:1], vcc
	s_cbranch_execz .LBB392_8
; %bb.7:
	v_mov_b32_e32 v4, 0
	ds_write_b32 v2, v4
.LBB392_8:
	s_or_b64 exec, exec, s[0:1]
	v_mbcnt_lo_u32_b32 v4, -1, 0
	v_mbcnt_hi_u32_b32 v5, -1, v4
	v_and_b32_e32 v6, 63, v5
	v_cmp_gt_u32_e64 s[0:1], 32, v6
	v_cndmask_b32_e64 v4, 0, 1, s[0:1]
	v_lshlrev_b32_e32 v4, 5, v4
	v_add_lshl_u32 v4, v4, v5, 2
	ds_bpermute_b32 v4, v4, v1
	v_cmp_gt_u32_e64 s[0:1], 48, v6
	v_cndmask_b32_e64 v7, 0, 1, s[0:1]
	v_lshlrev_b32_e32 v7, 4, v7
	v_cmp_gt_u32_e64 s[0:1], 56, v6
	s_waitcnt lgkmcnt(0)
	v_add_f32_e32 v1, v1, v4
	v_add_lshl_u32 v4, v7, v5, 2
	ds_bpermute_b32 v4, v4, v1
	v_cndmask_b32_e64 v7, 0, 1, s[0:1]
	v_lshlrev_b32_e32 v7, 3, v7
	v_cmp_gt_u32_e64 s[0:1], 60, v6
	s_waitcnt lgkmcnt(0)
	v_add_f32_e32 v1, v1, v4
	v_add_lshl_u32 v4, v7, v5, 2
	ds_bpermute_b32 v4, v4, v1
	v_cndmask_b32_e64 v7, 0, 1, s[0:1]
	v_lshlrev_b32_e32 v7, 2, v7
	v_cmp_gt_u32_e64 s[0:1], 62, v6
	v_cndmask_b32_e64 v8, 0, 1, s[0:1]
	s_waitcnt lgkmcnt(0)
	v_add_f32_e32 v4, v1, v4
	v_add_lshl_u32 v1, v7, v5, 2
	ds_bpermute_b32 v7, v1, v4
	v_lshlrev_b32_e32 v8, 1, v8
	v_cmp_ne_u32_e64 s[0:1], 63, v6
	s_barrier
	s_waitcnt lgkmcnt(0)
	v_add_f32_e32 v7, v4, v7
	v_add_lshl_u32 v4, v8, v5, 2
	ds_bpermute_b32 v8, v4, v7
	v_addc_co_u32_e64 v5, s[0:1], 0, v5, s[0:1]
	v_lshlrev_b32_e32 v5, 2, v5
	v_cmp_eq_u32_e64 s[0:1], 0, v3
	s_waitcnt lgkmcnt(0)
	v_add_f32_e32 v6, v7, v8
	ds_bpermute_b32 v7, v5, v6
	s_and_saveexec_b64 s[4:5], s[0:1]
	s_cbranch_execz .LBB392_10
; %bb.9:
	s_waitcnt lgkmcnt(0)
	v_add_f32_e32 v3, v6, v7
	v_lshrrev_b32_e32 v6, 4, v0
	v_and_b32_e32 v6, 28, v6
	ds_write_b32 v6, v3
.LBB392_10:
	s_or_b64 exec, exec, s[4:5]
	v_cmp_gt_u32_e64 s[0:1], 8, v0
	v_mov_b32_e32 v3, 0
	s_waitcnt lgkmcnt(0)
	s_barrier
	s_and_saveexec_b64 s[4:5], s[0:1]
	s_cbranch_execnz .LBB392_14
; %bb.11:
	s_or_b64 exec, exec, s[4:5]
	s_and_saveexec_b64 s[0:1], vcc
	s_cbranch_execnz .LBB392_15
.LBB392_12:
	s_or_b64 exec, exec, s[0:1]
	v_cmp_eq_u32_e32 vcc, 0, v0
	s_and_saveexec_b64 s[0:1], vcc
	s_cbranch_execnz .LBB392_16
.LBB392_13:
	s_endpgm
.LBB392_14:
	ds_read_b32 v3, v2
	s_or_b64 exec, exec, s[4:5]
	s_and_saveexec_b64 s[0:1], vcc
	s_cbranch_execz .LBB392_12
.LBB392_15:
	s_waitcnt lgkmcnt(0)
	ds_bpermute_b32 v1, v1, v3
	s_waitcnt lgkmcnt(0)
	v_add_f32_e32 v1, v3, v1
	ds_bpermute_b32 v2, v4, v1
	s_waitcnt lgkmcnt(0)
	v_add_f32_e32 v1, v1, v2
	;; [unrolled: 3-line block ×3, first 2 shown]
	s_or_b64 exec, exec, s[0:1]
	v_cmp_eq_u32_e32 vcc, 0, v0
	s_and_saveexec_b64 s[0:1], vcc
	s_cbranch_execz .LBB392_13
.LBB392_16:
	s_waitcnt lgkmcnt(0)
	v_cvt_f16_f32_e32 v0, v3
	s_lshl_b64 s[0:1], s[6:7], 1
	s_add_u32 s0, s2, s0
	s_addc_u32 s1, s3, s1
	v_mov_b32_e32 v1, 0
	global_store_short v1, v0, s[0:1]
	s_endpgm
	.section	.rodata,"a",@progbits
	.p2align	6, 0x0
	.amdhsa_kernel _ZL30rocblas_reduction_kernel_part2ILi512ELi8E25rocblas_finalize_identityfDF16_EviPT2_PT3_
		.amdhsa_group_segment_fixed_size 256
		.amdhsa_private_segment_fixed_size 0
		.amdhsa_kernarg_size 24
		.amdhsa_user_sgpr_count 6
		.amdhsa_user_sgpr_private_segment_buffer 1
		.amdhsa_user_sgpr_dispatch_ptr 0
		.amdhsa_user_sgpr_queue_ptr 0
		.amdhsa_user_sgpr_kernarg_segment_ptr 1
		.amdhsa_user_sgpr_dispatch_id 0
		.amdhsa_user_sgpr_flat_scratch_init 0
		.amdhsa_user_sgpr_kernarg_preload_length 0
		.amdhsa_user_sgpr_kernarg_preload_offset 0
		.amdhsa_user_sgpr_private_segment_size 0
		.amdhsa_uses_dynamic_stack 0
		.amdhsa_system_sgpr_private_segment_wavefront_offset 0
		.amdhsa_system_sgpr_workgroup_id_x 1
		.amdhsa_system_sgpr_workgroup_id_y 0
		.amdhsa_system_sgpr_workgroup_id_z 0
		.amdhsa_system_sgpr_workgroup_info 0
		.amdhsa_system_vgpr_workitem_id 0
		.amdhsa_next_free_vgpr 14
		.amdhsa_next_free_sgpr 14
		.amdhsa_accum_offset 16
		.amdhsa_reserve_vcc 1
		.amdhsa_reserve_flat_scratch 0
		.amdhsa_float_round_mode_32 0
		.amdhsa_float_round_mode_16_64 0
		.amdhsa_float_denorm_mode_32 3
		.amdhsa_float_denorm_mode_16_64 3
		.amdhsa_dx10_clamp 1
		.amdhsa_ieee_mode 1
		.amdhsa_fp16_overflow 0
		.amdhsa_tg_split 0
		.amdhsa_exception_fp_ieee_invalid_op 0
		.amdhsa_exception_fp_denorm_src 0
		.amdhsa_exception_fp_ieee_div_zero 0
		.amdhsa_exception_fp_ieee_overflow 0
		.amdhsa_exception_fp_ieee_underflow 0
		.amdhsa_exception_fp_ieee_inexact 0
		.amdhsa_exception_int_div_zero 0
	.end_amdhsa_kernel
	.section	.text._ZL30rocblas_reduction_kernel_part2ILi512ELi8E25rocblas_finalize_identityfDF16_EviPT2_PT3_,"axG",@progbits,_ZL30rocblas_reduction_kernel_part2ILi512ELi8E25rocblas_finalize_identityfDF16_EviPT2_PT3_,comdat
.Lfunc_end392:
	.size	_ZL30rocblas_reduction_kernel_part2ILi512ELi8E25rocblas_finalize_identityfDF16_EviPT2_PT3_, .Lfunc_end392-_ZL30rocblas_reduction_kernel_part2ILi512ELi8E25rocblas_finalize_identityfDF16_EviPT2_PT3_
                                        ; -- End function
	.section	.AMDGPU.csdata,"",@progbits
; Kernel info:
; codeLenInByte = 836
; NumSgprs: 18
; NumVgprs: 14
; NumAgprs: 0
; TotalNumVgprs: 14
; ScratchSize: 0
; MemoryBound: 0
; FloatMode: 240
; IeeeMode: 1
; LDSByteSize: 256 bytes/workgroup (compile time only)
; SGPRBlocks: 2
; VGPRBlocks: 1
; NumSGPRsForWavesPerEU: 18
; NumVGPRsForWavesPerEU: 14
; AccumOffset: 16
; Occupancy: 8
; WaveLimiterHint : 0
; COMPUTE_PGM_RSRC2:SCRATCH_EN: 0
; COMPUTE_PGM_RSRC2:USER_SGPR: 6
; COMPUTE_PGM_RSRC2:TRAP_HANDLER: 0
; COMPUTE_PGM_RSRC2:TGID_X_EN: 1
; COMPUTE_PGM_RSRC2:TGID_Y_EN: 0
; COMPUTE_PGM_RSRC2:TGID_Z_EN: 0
; COMPUTE_PGM_RSRC2:TIDIG_COMP_CNT: 0
; COMPUTE_PGM_RSRC3_GFX90A:ACCUM_OFFSET: 3
; COMPUTE_PGM_RSRC3_GFX90A:TG_SPLIT: 0
	.section	.text._ZL28rocblas_dot_batched_4_kernelIlLi32ELi4ELb0EfDF16_PKDF16_EviT5_lT_lS2_lS3_liPT4_,"axG",@progbits,_ZL28rocblas_dot_batched_4_kernelIlLi32ELi4ELb0EfDF16_PKDF16_EviT5_lT_lS2_lS3_liPT4_,comdat
	.globl	_ZL28rocblas_dot_batched_4_kernelIlLi32ELi4ELb0EfDF16_PKDF16_EviT5_lT_lS2_lS3_liPT4_ ; -- Begin function _ZL28rocblas_dot_batched_4_kernelIlLi32ELi4ELb0EfDF16_PKDF16_EviT5_lT_lS2_lS3_liPT4_
	.p2align	8
	.type	_ZL28rocblas_dot_batched_4_kernelIlLi32ELi4ELb0EfDF16_PKDF16_EviT5_lT_lS2_lS3_liPT4_,@function
_ZL28rocblas_dot_batched_4_kernelIlLi32ELi4ELb0EfDF16_PKDF16_EviT5_lT_lS2_lS3_liPT4_: ; @_ZL28rocblas_dot_batched_4_kernelIlLi32ELi4ELb0EfDF16_PKDF16_EviT5_lT_lS2_lS3_liPT4_
; %bb.0:
	s_load_dword s0, s[4:5], 0x48
	v_bfe_u32 v1, v0, 10, 10
	v_lshl_add_u32 v2, s6, 2, v1
	s_waitcnt lgkmcnt(0)
	v_cmp_gt_u32_e32 vcc, s0, v2
	s_and_saveexec_b64 s[0:1], vcc
	s_cbranch_execz .LBB393_7
; %bb.1:
	s_load_dword s16, s[4:5], 0x0
	s_load_dwordx2 s[0:1], s[4:5], 0x50
	v_mov_b32_e32 v3, 0
	v_and_b32_e32 v6, 0x3ff, v0
	v_mov_b32_e32 v7, v3
	s_waitcnt lgkmcnt(0)
	v_cmp_gt_i32_e32 vcc, s16, v6
	s_and_saveexec_b64 s[2:3], vcc
	s_cbranch_execz .LBB393_5
; %bb.2:
	s_load_dwordx4 s[20:23], s[4:5], 0x10
	s_load_dwordx2 s[6:7], s[4:5], 0x8
	s_load_dwordx8 s[8:15], s[4:5], 0x20
	s_load_dwordx2 s[18:19], s[4:5], 0x40
	s_waitcnt lgkmcnt(0)
	v_mad_u64_u32 v[0:1], s[4:5], s22, v6, 0
	v_mov_b32_e32 v4, v1
	v_mad_u64_u32 v[4:5], s[4:5], s23, v6, v[4:5]
	v_mov_b32_e32 v1, v4
	v_mad_u64_u32 v[4:5], s[4:5], s8, v2, 0
	v_mov_b32_e32 v8, v5
	v_mad_u64_u32 v[8:9], s[4:5], s9, v2, v[8:9]
	v_mov_b32_e32 v5, v8
	v_lshlrev_b64 v[0:1], 1, v[0:1]
	v_lshlrev_b64 v[4:5], 1, v[4:5]
	s_lshl_b64 s[4:5], s[20:21], 1
	v_add_co_u32_e32 v0, vcc, v0, v4
	s_add_u32 s4, s6, s4
	v_addc_co_u32_e32 v1, vcc, v1, v5, vcc
	s_addc_u32 s5, s7, s5
	v_mov_b32_e32 v4, s5
	v_add_co_u32_e32 v0, vcc, s4, v0
	v_addc_co_u32_e32 v1, vcc, v4, v1, vcc
	v_mad_u64_u32 v[4:5], s[6:7], s14, v6, 0
	v_mov_b32_e32 v8, v5
	v_mad_u64_u32 v[8:9], s[6:7], s15, v6, v[8:9]
	v_mov_b32_e32 v5, v8
	;; [unrolled: 2-line block ×4, first 2 shown]
	s_lshl_b64 s[4:5], s[22:23], 6
	v_lshlrev_b64 v[4:5], 1, v[4:5]
	v_lshlrev_b64 v[8:9], 1, v[8:9]
	s_lshl_b64 s[6:7], s[12:13], 1
	v_add_co_u32_e32 v4, vcc, v4, v8
	s_add_u32 s6, s10, s6
	v_addc_co_u32_e32 v5, vcc, v5, v9, vcc
	s_addc_u32 s7, s11, s7
	v_mov_b32_e32 v7, s7
	v_add_co_u32_e32 v4, vcc, s6, v4
	s_lshl_b64 s[8:9], s[14:15], 6
	v_addc_co_u32_e32 v5, vcc, v7, v5, vcc
	s_mov_b64 s[6:7], 0
	v_mov_b32_e32 v7, 0
	v_mov_b32_e32 v8, s5
	;; [unrolled: 1-line block ×4, first 2 shown]
.LBB393_3:                              ; =>This Inner Loop Header: Depth=1
	global_load_ushort v11, v[0:1], off
	global_load_ushort v12, v[4:5], off
	v_add_co_u32_e32 v0, vcc, s4, v0
	v_addc_co_u32_e32 v1, vcc, v1, v8, vcc
	v_add_co_u32_e32 v4, vcc, s8, v4
	v_add_u32_e32 v10, 32, v10
	v_addc_co_u32_e32 v5, vcc, v5, v9, vcc
	v_cmp_le_i32_e32 vcc, s16, v10
	s_or_b64 s[6:7], vcc, s[6:7]
	s_waitcnt vmcnt(0)
	v_fma_mix_f32 v7, v11, v12, v7 op_sel_hi:[1,1,0]
	s_andn2_b64 exec, exec, s[6:7]
	s_cbranch_execnz .LBB393_3
; %bb.4:
	s_or_b64 exec, exec, s[6:7]
.LBB393_5:
	s_or_b64 exec, exec, s[2:3]
	v_mbcnt_lo_u32_b32 v0, -1, 0
	v_mbcnt_hi_u32_b32 v0, -1, v0
	v_and_b32_e32 v1, 63, v0
	v_cmp_gt_u32_e32 vcc, 48, v1
	v_cndmask_b32_e64 v4, 0, 1, vcc
	v_lshlrev_b32_e32 v4, 4, v4
	v_add_lshl_u32 v4, v4, v0, 2
	ds_bpermute_b32 v4, v4, v7
	v_cmp_gt_u32_e32 vcc, 56, v1
	v_cndmask_b32_e64 v5, 0, 1, vcc
	v_lshlrev_b32_e32 v5, 3, v5
	v_add_lshl_u32 v5, v5, v0, 2
	s_waitcnt lgkmcnt(0)
	v_add_f32_e32 v4, v7, v4
	ds_bpermute_b32 v5, v5, v4
	v_cmp_gt_u32_e32 vcc, 60, v1
	v_cndmask_b32_e64 v7, 0, 1, vcc
	v_lshlrev_b32_e32 v7, 2, v7
	v_cmp_gt_u32_e32 vcc, 62, v1
	s_waitcnt lgkmcnt(0)
	v_add_f32_e32 v4, v4, v5
	v_add_lshl_u32 v5, v7, v0, 2
	ds_bpermute_b32 v5, v5, v4
	v_cndmask_b32_e64 v7, 0, 1, vcc
	v_lshlrev_b32_e32 v7, 1, v7
	v_cmp_ne_u32_e32 vcc, 63, v1
	v_addc_co_u32_e32 v1, vcc, 0, v0, vcc
	s_waitcnt lgkmcnt(0)
	v_add_f32_e32 v4, v4, v5
	v_add_lshl_u32 v5, v7, v0, 2
	ds_bpermute_b32 v5, v5, v4
	v_lshlrev_b32_e32 v1, 2, v1
	v_cmp_eq_u32_e32 vcc, 0, v6
	s_waitcnt lgkmcnt(0)
	s_barrier
	v_add_f32_e32 v0, v4, v5
	ds_bpermute_b32 v1, v1, v0
	s_waitcnt lgkmcnt(0)
	s_and_b64 exec, exec, vcc
	s_cbranch_execz .LBB393_7
; %bb.6:
	v_add_f32_e32 v0, v0, v1
	v_cvt_f16_f32_e32 v5, v0
	v_lshlrev_b64 v[2:3], 1, v[2:3]
	v_mov_b32_e32 v4, s1
	v_add_co_u32_e32 v0, vcc, s0, v2
	v_addc_co_u32_e32 v1, vcc, v4, v3, vcc
	global_store_short v[0:1], v5, off
.LBB393_7:
	s_endpgm
	.section	.rodata,"a",@progbits
	.p2align	6, 0x0
	.amdhsa_kernel _ZL28rocblas_dot_batched_4_kernelIlLi32ELi4ELb0EfDF16_PKDF16_EviT5_lT_lS2_lS3_liPT4_
		.amdhsa_group_segment_fixed_size 0
		.amdhsa_private_segment_fixed_size 0
		.amdhsa_kernarg_size 88
		.amdhsa_user_sgpr_count 6
		.amdhsa_user_sgpr_private_segment_buffer 1
		.amdhsa_user_sgpr_dispatch_ptr 0
		.amdhsa_user_sgpr_queue_ptr 0
		.amdhsa_user_sgpr_kernarg_segment_ptr 1
		.amdhsa_user_sgpr_dispatch_id 0
		.amdhsa_user_sgpr_flat_scratch_init 0
		.amdhsa_user_sgpr_kernarg_preload_length 0
		.amdhsa_user_sgpr_kernarg_preload_offset 0
		.amdhsa_user_sgpr_private_segment_size 0
		.amdhsa_uses_dynamic_stack 0
		.amdhsa_system_sgpr_private_segment_wavefront_offset 0
		.amdhsa_system_sgpr_workgroup_id_x 1
		.amdhsa_system_sgpr_workgroup_id_y 0
		.amdhsa_system_sgpr_workgroup_id_z 0
		.amdhsa_system_sgpr_workgroup_info 0
		.amdhsa_system_vgpr_workitem_id 1
		.amdhsa_next_free_vgpr 13
		.amdhsa_next_free_sgpr 24
		.amdhsa_accum_offset 16
		.amdhsa_reserve_vcc 1
		.amdhsa_reserve_flat_scratch 0
		.amdhsa_float_round_mode_32 0
		.amdhsa_float_round_mode_16_64 0
		.amdhsa_float_denorm_mode_32 3
		.amdhsa_float_denorm_mode_16_64 3
		.amdhsa_dx10_clamp 1
		.amdhsa_ieee_mode 1
		.amdhsa_fp16_overflow 0
		.amdhsa_tg_split 0
		.amdhsa_exception_fp_ieee_invalid_op 0
		.amdhsa_exception_fp_denorm_src 0
		.amdhsa_exception_fp_ieee_div_zero 0
		.amdhsa_exception_fp_ieee_overflow 0
		.amdhsa_exception_fp_ieee_underflow 0
		.amdhsa_exception_fp_ieee_inexact 0
		.amdhsa_exception_int_div_zero 0
	.end_amdhsa_kernel
	.section	.text._ZL28rocblas_dot_batched_4_kernelIlLi32ELi4ELb0EfDF16_PKDF16_EviT5_lT_lS2_lS3_liPT4_,"axG",@progbits,_ZL28rocblas_dot_batched_4_kernelIlLi32ELi4ELb0EfDF16_PKDF16_EviT5_lT_lS2_lS3_liPT4_,comdat
.Lfunc_end393:
	.size	_ZL28rocblas_dot_batched_4_kernelIlLi32ELi4ELb0EfDF16_PKDF16_EviT5_lT_lS2_lS3_liPT4_, .Lfunc_end393-_ZL28rocblas_dot_batched_4_kernelIlLi32ELi4ELb0EfDF16_PKDF16_EviT5_lT_lS2_lS3_liPT4_
                                        ; -- End function
	.section	.AMDGPU.csdata,"",@progbits
; Kernel info:
; codeLenInByte = 676
; NumSgprs: 28
; NumVgprs: 13
; NumAgprs: 0
; TotalNumVgprs: 13
; ScratchSize: 0
; MemoryBound: 0
; FloatMode: 240
; IeeeMode: 1
; LDSByteSize: 0 bytes/workgroup (compile time only)
; SGPRBlocks: 3
; VGPRBlocks: 1
; NumSGPRsForWavesPerEU: 28
; NumVGPRsForWavesPerEU: 13
; AccumOffset: 16
; Occupancy: 8
; WaveLimiterHint : 0
; COMPUTE_PGM_RSRC2:SCRATCH_EN: 0
; COMPUTE_PGM_RSRC2:USER_SGPR: 6
; COMPUTE_PGM_RSRC2:TRAP_HANDLER: 0
; COMPUTE_PGM_RSRC2:TGID_X_EN: 1
; COMPUTE_PGM_RSRC2:TGID_Y_EN: 0
; COMPUTE_PGM_RSRC2:TGID_Z_EN: 0
; COMPUTE_PGM_RSRC2:TIDIG_COMP_CNT: 1
; COMPUTE_PGM_RSRC3_GFX90A:ACCUM_OFFSET: 3
; COMPUTE_PGM_RSRC3_GFX90A:TG_SPLIT: 0
	.section	.text._ZL28rocblas_dot_batched_4_kernelIlLi64ELi4ELb0EfDF16_PKDF16_EviT5_lT_lS2_lS3_liPT4_,"axG",@progbits,_ZL28rocblas_dot_batched_4_kernelIlLi64ELi4ELb0EfDF16_PKDF16_EviT5_lT_lS2_lS3_liPT4_,comdat
	.globl	_ZL28rocblas_dot_batched_4_kernelIlLi64ELi4ELb0EfDF16_PKDF16_EviT5_lT_lS2_lS3_liPT4_ ; -- Begin function _ZL28rocblas_dot_batched_4_kernelIlLi64ELi4ELb0EfDF16_PKDF16_EviT5_lT_lS2_lS3_liPT4_
	.p2align	8
	.type	_ZL28rocblas_dot_batched_4_kernelIlLi64ELi4ELb0EfDF16_PKDF16_EviT5_lT_lS2_lS3_liPT4_,@function
_ZL28rocblas_dot_batched_4_kernelIlLi64ELi4ELb0EfDF16_PKDF16_EviT5_lT_lS2_lS3_liPT4_: ; @_ZL28rocblas_dot_batched_4_kernelIlLi64ELi4ELb0EfDF16_PKDF16_EviT5_lT_lS2_lS3_liPT4_
; %bb.0:
	s_load_dword s0, s[4:5], 0x48
	v_bfe_u32 v1, v0, 10, 10
	v_lshl_add_u32 v2, s6, 2, v1
	s_waitcnt lgkmcnt(0)
	v_cmp_gt_u32_e32 vcc, s0, v2
	s_and_saveexec_b64 s[0:1], vcc
	s_cbranch_execz .LBB394_7
; %bb.1:
	s_load_dword s16, s[4:5], 0x0
	s_load_dwordx2 s[0:1], s[4:5], 0x50
	v_mov_b32_e32 v3, 0
	v_and_b32_e32 v6, 0x3ff, v0
	v_mov_b32_e32 v7, v3
	s_waitcnt lgkmcnt(0)
	v_cmp_gt_i32_e32 vcc, s16, v6
	s_and_saveexec_b64 s[2:3], vcc
	s_cbranch_execz .LBB394_5
; %bb.2:
	s_load_dwordx4 s[20:23], s[4:5], 0x10
	s_load_dwordx2 s[6:7], s[4:5], 0x8
	s_load_dwordx8 s[8:15], s[4:5], 0x20
	s_load_dwordx2 s[18:19], s[4:5], 0x40
	s_waitcnt lgkmcnt(0)
	v_mad_u64_u32 v[0:1], s[4:5], s22, v6, 0
	v_mov_b32_e32 v4, v1
	v_mad_u64_u32 v[4:5], s[4:5], s23, v6, v[4:5]
	v_mov_b32_e32 v1, v4
	;; [unrolled: 2-line block ×4, first 2 shown]
	v_lshlrev_b64 v[0:1], 1, v[0:1]
	v_lshlrev_b64 v[4:5], 1, v[4:5]
	s_lshl_b64 s[4:5], s[20:21], 1
	v_add_co_u32_e32 v0, vcc, v0, v4
	s_add_u32 s4, s6, s4
	v_addc_co_u32_e32 v1, vcc, v1, v5, vcc
	s_addc_u32 s5, s7, s5
	v_mov_b32_e32 v4, s5
	v_add_co_u32_e32 v0, vcc, s4, v0
	v_addc_co_u32_e32 v1, vcc, v4, v1, vcc
	v_mad_u64_u32 v[4:5], s[6:7], s14, v6, 0
	v_mov_b32_e32 v8, v5
	v_mad_u64_u32 v[8:9], s[6:7], s15, v6, v[8:9]
	v_mov_b32_e32 v5, v8
	;; [unrolled: 2-line block ×4, first 2 shown]
	s_lshl_b64 s[4:5], s[22:23], 7
	v_lshlrev_b64 v[4:5], 1, v[4:5]
	v_lshlrev_b64 v[8:9], 1, v[8:9]
	s_lshl_b64 s[6:7], s[12:13], 1
	v_add_co_u32_e32 v4, vcc, v4, v8
	s_add_u32 s6, s10, s6
	v_addc_co_u32_e32 v5, vcc, v5, v9, vcc
	s_addc_u32 s7, s11, s7
	v_mov_b32_e32 v7, s7
	v_add_co_u32_e32 v4, vcc, s6, v4
	s_lshl_b64 s[8:9], s[14:15], 7
	v_addc_co_u32_e32 v5, vcc, v7, v5, vcc
	s_mov_b64 s[6:7], 0
	v_mov_b32_e32 v7, 0
	v_mov_b32_e32 v8, s5
	;; [unrolled: 1-line block ×4, first 2 shown]
.LBB394_3:                              ; =>This Inner Loop Header: Depth=1
	global_load_ushort v11, v[0:1], off
	global_load_ushort v12, v[4:5], off
	v_add_co_u32_e32 v0, vcc, s4, v0
	v_addc_co_u32_e32 v1, vcc, v1, v8, vcc
	v_add_co_u32_e32 v4, vcc, s8, v4
	v_add_u32_e32 v10, 64, v10
	v_addc_co_u32_e32 v5, vcc, v5, v9, vcc
	v_cmp_le_i32_e32 vcc, s16, v10
	s_or_b64 s[6:7], vcc, s[6:7]
	s_waitcnt vmcnt(0)
	v_fma_mix_f32 v7, v11, v12, v7 op_sel_hi:[1,1,0]
	s_andn2_b64 exec, exec, s[6:7]
	s_cbranch_execnz .LBB394_3
; %bb.4:
	s_or_b64 exec, exec, s[6:7]
.LBB394_5:
	s_or_b64 exec, exec, s[2:3]
	v_mbcnt_lo_u32_b32 v0, -1, 0
	v_mbcnt_hi_u32_b32 v0, -1, v0
	v_and_b32_e32 v1, 63, v0
	v_cmp_gt_u32_e32 vcc, 32, v1
	v_cndmask_b32_e64 v4, 0, 1, vcc
	v_lshlrev_b32_e32 v4, 5, v4
	v_add_lshl_u32 v4, v4, v0, 2
	ds_bpermute_b32 v4, v4, v7
	v_cmp_gt_u32_e32 vcc, 48, v1
	v_cndmask_b32_e64 v5, 0, 1, vcc
	v_lshlrev_b32_e32 v5, 4, v5
	v_add_lshl_u32 v5, v5, v0, 2
	s_waitcnt lgkmcnt(0)
	v_add_f32_e32 v4, v7, v4
	ds_bpermute_b32 v5, v5, v4
	v_cmp_gt_u32_e32 vcc, 56, v1
	v_cndmask_b32_e64 v7, 0, 1, vcc
	v_lshlrev_b32_e32 v7, 3, v7
	v_cmp_gt_u32_e32 vcc, 60, v1
	s_waitcnt lgkmcnt(0)
	v_add_f32_e32 v4, v4, v5
	v_add_lshl_u32 v5, v7, v0, 2
	ds_bpermute_b32 v5, v5, v4
	v_cndmask_b32_e64 v7, 0, 1, vcc
	v_lshlrev_b32_e32 v7, 2, v7
	v_cmp_gt_u32_e32 vcc, 62, v1
	s_waitcnt lgkmcnt(0)
	v_add_f32_e32 v4, v4, v5
	v_add_lshl_u32 v5, v7, v0, 2
	ds_bpermute_b32 v5, v5, v4
	v_cndmask_b32_e64 v7, 0, 1, vcc
	v_lshlrev_b32_e32 v7, 1, v7
	v_cmp_ne_u32_e32 vcc, 63, v1
	v_addc_co_u32_e32 v1, vcc, 0, v0, vcc
	s_waitcnt lgkmcnt(0)
	v_add_f32_e32 v4, v4, v5
	v_add_lshl_u32 v5, v7, v0, 2
	ds_bpermute_b32 v5, v5, v4
	v_lshlrev_b32_e32 v1, 2, v1
	v_cmp_eq_u32_e32 vcc, 0, v6
	s_barrier
	s_waitcnt lgkmcnt(0)
	v_add_f32_e32 v0, v4, v5
	ds_bpermute_b32 v1, v1, v0
	s_and_b64 exec, exec, vcc
	s_cbranch_execz .LBB394_7
; %bb.6:
	s_waitcnt lgkmcnt(0)
	v_add_f32_e32 v0, v0, v1
	v_cvt_f16_f32_e32 v5, v0
	v_lshlrev_b64 v[2:3], 1, v[2:3]
	v_mov_b32_e32 v4, s1
	v_add_co_u32_e32 v0, vcc, s0, v2
	v_addc_co_u32_e32 v1, vcc, v4, v3, vcc
	global_store_short v[0:1], v5, off
.LBB394_7:
	s_endpgm
	.section	.rodata,"a",@progbits
	.p2align	6, 0x0
	.amdhsa_kernel _ZL28rocblas_dot_batched_4_kernelIlLi64ELi4ELb0EfDF16_PKDF16_EviT5_lT_lS2_lS3_liPT4_
		.amdhsa_group_segment_fixed_size 0
		.amdhsa_private_segment_fixed_size 0
		.amdhsa_kernarg_size 88
		.amdhsa_user_sgpr_count 6
		.amdhsa_user_sgpr_private_segment_buffer 1
		.amdhsa_user_sgpr_dispatch_ptr 0
		.amdhsa_user_sgpr_queue_ptr 0
		.amdhsa_user_sgpr_kernarg_segment_ptr 1
		.amdhsa_user_sgpr_dispatch_id 0
		.amdhsa_user_sgpr_flat_scratch_init 0
		.amdhsa_user_sgpr_kernarg_preload_length 0
		.amdhsa_user_sgpr_kernarg_preload_offset 0
		.amdhsa_user_sgpr_private_segment_size 0
		.amdhsa_uses_dynamic_stack 0
		.amdhsa_system_sgpr_private_segment_wavefront_offset 0
		.amdhsa_system_sgpr_workgroup_id_x 1
		.amdhsa_system_sgpr_workgroup_id_y 0
		.amdhsa_system_sgpr_workgroup_id_z 0
		.amdhsa_system_sgpr_workgroup_info 0
		.amdhsa_system_vgpr_workitem_id 1
		.amdhsa_next_free_vgpr 13
		.amdhsa_next_free_sgpr 24
		.amdhsa_accum_offset 16
		.amdhsa_reserve_vcc 1
		.amdhsa_reserve_flat_scratch 0
		.amdhsa_float_round_mode_32 0
		.amdhsa_float_round_mode_16_64 0
		.amdhsa_float_denorm_mode_32 3
		.amdhsa_float_denorm_mode_16_64 3
		.amdhsa_dx10_clamp 1
		.amdhsa_ieee_mode 1
		.amdhsa_fp16_overflow 0
		.amdhsa_tg_split 0
		.amdhsa_exception_fp_ieee_invalid_op 0
		.amdhsa_exception_fp_denorm_src 0
		.amdhsa_exception_fp_ieee_div_zero 0
		.amdhsa_exception_fp_ieee_overflow 0
		.amdhsa_exception_fp_ieee_underflow 0
		.amdhsa_exception_fp_ieee_inexact 0
		.amdhsa_exception_int_div_zero 0
	.end_amdhsa_kernel
	.section	.text._ZL28rocblas_dot_batched_4_kernelIlLi64ELi4ELb0EfDF16_PKDF16_EviT5_lT_lS2_lS3_liPT4_,"axG",@progbits,_ZL28rocblas_dot_batched_4_kernelIlLi64ELi4ELb0EfDF16_PKDF16_EviT5_lT_lS2_lS3_liPT4_,comdat
.Lfunc_end394:
	.size	_ZL28rocblas_dot_batched_4_kernelIlLi64ELi4ELb0EfDF16_PKDF16_EviT5_lT_lS2_lS3_liPT4_, .Lfunc_end394-_ZL28rocblas_dot_batched_4_kernelIlLi64ELi4ELb0EfDF16_PKDF16_EviT5_lT_lS2_lS3_liPT4_
                                        ; -- End function
	.section	.AMDGPU.csdata,"",@progbits
; Kernel info:
; codeLenInByte = 716
; NumSgprs: 28
; NumVgprs: 13
; NumAgprs: 0
; TotalNumVgprs: 13
; ScratchSize: 0
; MemoryBound: 0
; FloatMode: 240
; IeeeMode: 1
; LDSByteSize: 0 bytes/workgroup (compile time only)
; SGPRBlocks: 3
; VGPRBlocks: 1
; NumSGPRsForWavesPerEU: 28
; NumVGPRsForWavesPerEU: 13
; AccumOffset: 16
; Occupancy: 8
; WaveLimiterHint : 0
; COMPUTE_PGM_RSRC2:SCRATCH_EN: 0
; COMPUTE_PGM_RSRC2:USER_SGPR: 6
; COMPUTE_PGM_RSRC2:TRAP_HANDLER: 0
; COMPUTE_PGM_RSRC2:TGID_X_EN: 1
; COMPUTE_PGM_RSRC2:TGID_Y_EN: 0
; COMPUTE_PGM_RSRC2:TGID_Z_EN: 0
; COMPUTE_PGM_RSRC2:TIDIG_COMP_CNT: 1
; COMPUTE_PGM_RSRC3_GFX90A:ACCUM_OFFSET: 3
; COMPUTE_PGM_RSRC3_GFX90A:TG_SPLIT: 0
	.section	.text._ZL18rocblas_dot_kernelIlLb1ELi1024ELi32ELb0EDF16_PKDF16_fEviT5_lT_lS2_lS3_liPT6_PT4_,"axG",@progbits,_ZL18rocblas_dot_kernelIlLb1ELi1024ELi32ELb0EDF16_PKDF16_fEviT5_lT_lS2_lS3_liPT6_PT4_,comdat
	.globl	_ZL18rocblas_dot_kernelIlLb1ELi1024ELi32ELb0EDF16_PKDF16_fEviT5_lT_lS2_lS3_liPT6_PT4_ ; -- Begin function _ZL18rocblas_dot_kernelIlLb1ELi1024ELi32ELb0EDF16_PKDF16_fEviT5_lT_lS2_lS3_liPT6_PT4_
	.p2align	8
	.type	_ZL18rocblas_dot_kernelIlLb1ELi1024ELi32ELb0EDF16_PKDF16_fEviT5_lT_lS2_lS3_liPT6_PT4_,@function
_ZL18rocblas_dot_kernelIlLb1ELi1024ELi32ELb0EDF16_PKDF16_fEviT5_lT_lS2_lS3_liPT6_PT4_: ; @_ZL18rocblas_dot_kernelIlLb1ELi1024ELi32ELb0EDF16_PKDF16_fEviT5_lT_lS2_lS3_liPT6_PT4_
; %bb.0:
	s_mov_b32 s2, s7
	s_load_dword s18, s[4:5], 0x0
	s_load_dwordx2 s[6:7], s[4:5], 0x58
	s_mov_b32 s3, 0
	v_mov_b32_e32 v6, 0
	s_waitcnt lgkmcnt(0)
	v_cmp_gt_i32_e32 vcc, s18, v0
	s_and_saveexec_b64 s[16:17], vcc
	s_cbranch_execz .LBB395_4
; %bb.1:
	s_load_dword s19, s[4:5], 0x60
	s_load_dwordx2 s[0:1], s[4:5], 0x40
	s_load_dwordx8 s[8:15], s[4:5], 0x20
	s_load_dwordx2 s[24:25], s[4:5], 0x8
	s_load_dwordx4 s[20:23], s[4:5], 0x10
	s_waitcnt lgkmcnt(0)
	s_lshl_b32 s19, s19, 10
	s_mul_i32 s1, s1, s2
	s_mul_i32 s4, s9, s2
	s_mul_hi_u32 s5, s8, s2
	s_add_i32 s5, s5, s4
	s_mul_i32 s4, s8, s2
	v_mad_u64_u32 v[2:3], s[8:9], s22, v0, 0
	v_mov_b32_e32 v4, v3
	v_mad_u64_u32 v[4:5], s[8:9], s23, v0, v[4:5]
	s_lshl_b64 s[4:5], s[4:5], 1
	s_lshl_b64 s[8:9], s[20:21], 1
	s_add_u32 s8, s24, s8
	s_addc_u32 s9, s25, s9
	v_mov_b32_e32 v3, v4
	s_add_u32 s4, s8, s4
	v_lshlrev_b64 v[2:3], 1, v[2:3]
	s_addc_u32 s5, s9, s5
	v_mov_b32_e32 v4, s5
	v_add_co_u32_e32 v2, vcc, s4, v2
	s_ashr_i32 s20, s19, 31
	s_mul_hi_u32 s8, s0, s2
	v_addc_co_u32_e32 v3, vcc, v4, v3, vcc
	s_mul_i32 s4, s22, s20
	s_mul_hi_u32 s5, s22, s19
	s_add_i32 s1, s8, s1
	v_mad_u64_u32 v[4:5], s[8:9], s14, v0, 0
	s_add_i32 s4, s5, s4
	s_mul_i32 s5, s23, s19
	v_mov_b32_e32 v6, v5
	s_add_i32 s5, s4, s5
	s_mul_i32 s4, s22, s19
	s_mul_i32 s0, s0, s2
	v_mad_u64_u32 v[6:7], s[8:9], s15, v0, v[6:7]
	s_lshl_b64 s[4:5], s[4:5], 1
	s_lshl_b64 s[0:1], s[0:1], 1
	;; [unrolled: 1-line block ×3, first 2 shown]
	s_add_u32 s8, s10, s8
	s_addc_u32 s9, s11, s9
	v_mov_b32_e32 v5, v6
	s_add_u32 s0, s8, s0
	v_lshlrev_b64 v[4:5], 1, v[4:5]
	s_addc_u32 s1, s9, s1
	v_mov_b32_e32 v6, s1
	v_add_co_u32_e32 v4, vcc, s0, v4
	s_mul_i32 s0, s14, s20
	s_mul_hi_u32 s1, s14, s19
	s_add_i32 s0, s1, s0
	s_mul_i32 s1, s15, s19
	s_add_i32 s1, s0, s1
	s_mul_i32 s0, s14, s19
	s_lshl_b64 s[10:11], s[0:1], 1
	v_or_b32_e32 v1, s19, v0
	v_addc_co_u32_e32 v5, vcc, v6, v5, vcc
	s_mov_b64 s[8:9], 0
	v_mov_b32_e32 v6, 0
	v_mov_b32_e32 v7, s5
	;; [unrolled: 1-line block ×3, first 2 shown]
	s_mov_b32 s5, s3
.LBB395_2:                              ; =>This Inner Loop Header: Depth=1
	global_load_ushort v9, v[4:5], off
	global_load_ushort v10, v[2:3], off
	v_add_co_u32_e64 v2, s[0:1], s4, v2
	v_addc_co_u32_e64 v3, s[0:1], v3, v7, s[0:1]
	s_add_i32 s11, s5, 1
	v_add_co_u32_e64 v4, s[0:1], s10, v4
	v_addc_co_u32_e64 v5, s[0:1], v5, v8, s[0:1]
	s_cmp_gt_u32 s5, 30
	v_cmp_le_i32_e32 vcc, s18, v1
	s_cselect_b64 s[0:1], -1, 0
	s_or_b64 s[0:1], s[0:1], vcc
	s_and_b64 s[0:1], exec, s[0:1]
	v_add_u32_e32 v1, s19, v1
	s_mov_b32 s5, s11
	s_or_b64 s[8:9], s[0:1], s[8:9]
	s_waitcnt vmcnt(0)
	v_fma_mix_f32 v6, v9, v10, v6 op_sel_hi:[1,1,0]
	s_andn2_b64 exec, exec, s[8:9]
	s_cbranch_execnz .LBB395_2
; %bb.3:
	s_or_b64 exec, exec, s[8:9]
.LBB395_4:
	s_or_b64 exec, exec, s[16:17]
	v_and_b32_e32 v2, 63, v0
	v_cmp_gt_u32_e32 vcc, 64, v0
	v_lshlrev_b32_e32 v1, 2, v2
	s_and_saveexec_b64 s[0:1], vcc
	s_cbranch_execz .LBB395_6
; %bb.5:
	v_mov_b32_e32 v3, 0
	ds_write_b32 v1, v3
.LBB395_6:
	s_or_b64 exec, exec, s[0:1]
	v_mbcnt_lo_u32_b32 v3, -1, 0
	v_mbcnt_hi_u32_b32 v7, -1, v3
	v_and_b32_e32 v8, 63, v7
	v_cmp_gt_u32_e64 s[0:1], 32, v8
	v_cndmask_b32_e64 v3, 0, 1, s[0:1]
	v_lshlrev_b32_e32 v3, 5, v3
	v_add_lshl_u32 v3, v3, v7, 2
	ds_bpermute_b32 v3, v3, v6
	v_cmp_gt_u32_e64 s[0:1], 48, v8
	v_cndmask_b32_e64 v4, 0, 1, s[0:1]
	v_lshlrev_b32_e32 v4, 4, v4
	v_add_lshl_u32 v4, v4, v7, 2
	s_waitcnt lgkmcnt(0)
	v_add_f32_e32 v3, v6, v3
	ds_bpermute_b32 v4, v4, v3
	v_cmp_gt_u32_e64 s[0:1], 56, v8
	v_cndmask_b32_e64 v5, 0, 1, s[0:1]
	v_lshlrev_b32_e32 v5, 3, v5
	v_cmp_gt_u32_e64 s[0:1], 60, v8
	s_waitcnt lgkmcnt(0)
	v_add_f32_e32 v4, v3, v4
	v_add_lshl_u32 v3, v5, v7, 2
	ds_bpermute_b32 v5, v3, v4
	v_cndmask_b32_e64 v6, 0, 1, s[0:1]
	v_lshlrev_b32_e32 v6, 2, v6
	v_cmp_gt_u32_e64 s[0:1], 62, v8
	v_cndmask_b32_e64 v9, 0, 1, s[0:1]
	s_waitcnt lgkmcnt(0)
	v_add_f32_e32 v5, v4, v5
	v_add_lshl_u32 v4, v6, v7, 2
	ds_bpermute_b32 v6, v4, v5
	v_lshlrev_b32_e32 v9, 1, v9
	v_cmp_ne_u32_e64 s[0:1], 63, v8
	v_addc_co_u32_e64 v8, s[0:1], 0, v7, s[0:1]
	s_waitcnt lgkmcnt(0)
	v_add_f32_e32 v6, v5, v6
	v_add_lshl_u32 v5, v9, v7, 2
	ds_bpermute_b32 v9, v5, v6
	v_cmp_eq_u32_e64 s[0:1], 0, v2
	s_waitcnt lgkmcnt(0)
	s_barrier
	v_add_f32_e32 v7, v6, v9
	v_lshlrev_b32_e32 v6, 2, v8
	ds_bpermute_b32 v8, v6, v7
	s_and_saveexec_b64 s[4:5], s[0:1]
	s_cbranch_execz .LBB395_8
; %bb.7:
	s_waitcnt lgkmcnt(0)
	v_add_f32_e32 v2, v7, v8
	v_lshrrev_b32_e32 v7, 4, v0
	v_and_b32_e32 v7, 60, v7
	ds_write_b32 v7, v2
.LBB395_8:
	s_or_b64 exec, exec, s[4:5]
	v_cmp_gt_u32_e64 s[0:1], 16, v0
	v_mov_b32_e32 v2, 0
	s_waitcnt lgkmcnt(0)
	s_barrier
	s_and_saveexec_b64 s[4:5], s[0:1]
	s_cbranch_execnz .LBB395_12
; %bb.9:
	s_or_b64 exec, exec, s[4:5]
	s_and_saveexec_b64 s[0:1], vcc
	s_cbranch_execnz .LBB395_13
.LBB395_10:
	s_or_b64 exec, exec, s[0:1]
	v_cmp_eq_u32_e32 vcc, 0, v0
	s_and_saveexec_b64 s[0:1], vcc
	s_cbranch_execnz .LBB395_14
.LBB395_11:
	s_endpgm
.LBB395_12:
	ds_read_b32 v2, v1
	s_or_b64 exec, exec, s[4:5]
	s_and_saveexec_b64 s[0:1], vcc
	s_cbranch_execz .LBB395_10
.LBB395_13:
	s_waitcnt lgkmcnt(0)
	ds_bpermute_b32 v1, v3, v2
	s_waitcnt lgkmcnt(0)
	v_add_f32_e32 v1, v2, v1
	ds_bpermute_b32 v2, v4, v1
	s_waitcnt lgkmcnt(0)
	v_add_f32_e32 v1, v1, v2
	;; [unrolled: 3-line block ×4, first 2 shown]
	s_or_b64 exec, exec, s[0:1]
	v_cmp_eq_u32_e32 vcc, 0, v0
	s_and_saveexec_b64 s[0:1], vcc
	s_cbranch_execz .LBB395_11
.LBB395_14:
	s_waitcnt lgkmcnt(0)
	v_cvt_f16_f32_e32 v0, v2
	s_lshl_b64 s[0:1], s[2:3], 1
	s_add_u32 s0, s6, s0
	s_addc_u32 s1, s7, s1
	v_mov_b32_e32 v1, 0
	global_store_short v1, v0, s[0:1]
	s_endpgm
	.section	.rodata,"a",@progbits
	.p2align	6, 0x0
	.amdhsa_kernel _ZL18rocblas_dot_kernelIlLb1ELi1024ELi32ELb0EDF16_PKDF16_fEviT5_lT_lS2_lS3_liPT6_PT4_
		.amdhsa_group_segment_fixed_size 256
		.amdhsa_private_segment_fixed_size 0
		.amdhsa_kernarg_size 352
		.amdhsa_user_sgpr_count 6
		.amdhsa_user_sgpr_private_segment_buffer 1
		.amdhsa_user_sgpr_dispatch_ptr 0
		.amdhsa_user_sgpr_queue_ptr 0
		.amdhsa_user_sgpr_kernarg_segment_ptr 1
		.amdhsa_user_sgpr_dispatch_id 0
		.amdhsa_user_sgpr_flat_scratch_init 0
		.amdhsa_user_sgpr_kernarg_preload_length 0
		.amdhsa_user_sgpr_kernarg_preload_offset 0
		.amdhsa_user_sgpr_private_segment_size 0
		.amdhsa_uses_dynamic_stack 0
		.amdhsa_system_sgpr_private_segment_wavefront_offset 0
		.amdhsa_system_sgpr_workgroup_id_x 1
		.amdhsa_system_sgpr_workgroup_id_y 0
		.amdhsa_system_sgpr_workgroup_id_z 1
		.amdhsa_system_sgpr_workgroup_info 0
		.amdhsa_system_vgpr_workitem_id 0
		.amdhsa_next_free_vgpr 11
		.amdhsa_next_free_sgpr 26
		.amdhsa_accum_offset 12
		.amdhsa_reserve_vcc 1
		.amdhsa_reserve_flat_scratch 0
		.amdhsa_float_round_mode_32 0
		.amdhsa_float_round_mode_16_64 0
		.amdhsa_float_denorm_mode_32 3
		.amdhsa_float_denorm_mode_16_64 3
		.amdhsa_dx10_clamp 1
		.amdhsa_ieee_mode 1
		.amdhsa_fp16_overflow 0
		.amdhsa_tg_split 0
		.amdhsa_exception_fp_ieee_invalid_op 0
		.amdhsa_exception_fp_denorm_src 0
		.amdhsa_exception_fp_ieee_div_zero 0
		.amdhsa_exception_fp_ieee_overflow 0
		.amdhsa_exception_fp_ieee_underflow 0
		.amdhsa_exception_fp_ieee_inexact 0
		.amdhsa_exception_int_div_zero 0
	.end_amdhsa_kernel
	.section	.text._ZL18rocblas_dot_kernelIlLb1ELi1024ELi32ELb0EDF16_PKDF16_fEviT5_lT_lS2_lS3_liPT6_PT4_,"axG",@progbits,_ZL18rocblas_dot_kernelIlLb1ELi1024ELi32ELb0EDF16_PKDF16_fEviT5_lT_lS2_lS3_liPT6_PT4_,comdat
.Lfunc_end395:
	.size	_ZL18rocblas_dot_kernelIlLb1ELi1024ELi32ELb0EDF16_PKDF16_fEviT5_lT_lS2_lS3_liPT6_PT4_, .Lfunc_end395-_ZL18rocblas_dot_kernelIlLb1ELi1024ELi32ELb0EDF16_PKDF16_fEviT5_lT_lS2_lS3_liPT6_PT4_
                                        ; -- End function
	.section	.AMDGPU.csdata,"",@progbits
; Kernel info:
; codeLenInByte = 1008
; NumSgprs: 30
; NumVgprs: 11
; NumAgprs: 0
; TotalNumVgprs: 11
; ScratchSize: 0
; MemoryBound: 0
; FloatMode: 240
; IeeeMode: 1
; LDSByteSize: 256 bytes/workgroup (compile time only)
; SGPRBlocks: 3
; VGPRBlocks: 1
; NumSGPRsForWavesPerEU: 30
; NumVGPRsForWavesPerEU: 11
; AccumOffset: 12
; Occupancy: 8
; WaveLimiterHint : 0
; COMPUTE_PGM_RSRC2:SCRATCH_EN: 0
; COMPUTE_PGM_RSRC2:USER_SGPR: 6
; COMPUTE_PGM_RSRC2:TRAP_HANDLER: 0
; COMPUTE_PGM_RSRC2:TGID_X_EN: 1
; COMPUTE_PGM_RSRC2:TGID_Y_EN: 0
; COMPUTE_PGM_RSRC2:TGID_Z_EN: 1
; COMPUTE_PGM_RSRC2:TIDIG_COMP_CNT: 0
; COMPUTE_PGM_RSRC3_GFX90A:ACCUM_OFFSET: 2
; COMPUTE_PGM_RSRC3_GFX90A:TG_SPLIT: 0
	.section	.text._ZL24rocblas_dot_kernel_magsqIlLb1ELi1024ELi32ELb0EDF16_PKDF16_fEviT5_lT_liPT6_PT4_,"axG",@progbits,_ZL24rocblas_dot_kernel_magsqIlLb1ELi1024ELi32ELb0EDF16_PKDF16_fEviT5_lT_liPT6_PT4_,comdat
	.globl	_ZL24rocblas_dot_kernel_magsqIlLb1ELi1024ELi32ELb0EDF16_PKDF16_fEviT5_lT_liPT6_PT4_ ; -- Begin function _ZL24rocblas_dot_kernel_magsqIlLb1ELi1024ELi32ELb0EDF16_PKDF16_fEviT5_lT_liPT6_PT4_
	.p2align	8
	.type	_ZL24rocblas_dot_kernel_magsqIlLb1ELi1024ELi32ELb0EDF16_PKDF16_fEviT5_lT_liPT6_PT4_,@function
_ZL24rocblas_dot_kernel_magsqIlLb1ELi1024ELi32ELb0EDF16_PKDF16_fEviT5_lT_liPT6_PT4_: ; @_ZL24rocblas_dot_kernel_magsqIlLb1ELi1024ELi32ELb0EDF16_PKDF16_fEviT5_lT_liPT6_PT4_
; %bb.0:
	s_mov_b32 s2, s7
	s_load_dword s12, s[4:5], 0x0
	s_load_dwordx2 s[6:7], s[4:5], 0x38
	s_mov_b32 s3, 0
	v_mov_b32_e32 v1, 0
	s_waitcnt lgkmcnt(0)
	v_cmp_gt_i32_e32 vcc, s12, v0
	s_and_saveexec_b64 s[8:9], vcc
	s_cbranch_execz .LBB396_4
; %bb.1:
	s_load_dword s13, s[4:5], 0x40
	s_load_dwordx2 s[0:1], s[4:5], 0x20
	s_load_dwordx2 s[10:11], s[4:5], 0x8
	s_load_dwordx4 s[16:19], s[4:5], 0x10
	s_waitcnt lgkmcnt(0)
	s_lshl_b32 s13, s13, 10
	s_mul_i32 s1, s1, s2
	s_mul_hi_u32 s4, s0, s2
	s_add_i32 s1, s4, s1
	v_mad_u64_u32 v[2:3], s[4:5], s18, v0, 0
	v_mov_b32_e32 v6, v3
	s_mul_i32 s0, s0, s2
	v_mad_u64_u32 v[6:7], s[4:5], s19, v0, v[6:7]
	s_lshl_b64 s[0:1], s[0:1], 1
	s_lshl_b64 s[4:5], s[16:17], 1
	s_add_u32 s4, s10, s4
	v_mov_b32_e32 v3, v6
	s_addc_u32 s5, s11, s5
	v_lshlrev_b64 v[2:3], 1, v[2:3]
	s_add_u32 s0, s4, s0
	s_addc_u32 s1, s5, s1
	v_add_co_u32_e32 v2, vcc, s0, v2
	s_ashr_i32 s0, s13, 31
	v_mov_b32_e32 v1, s1
	s_mul_i32 s0, s18, s0
	s_mul_hi_u32 s1, s18, s13
	s_add_i32 s0, s1, s0
	s_mul_i32 s1, s19, s13
	s_add_i32 s1, s0, s1
	s_mul_i32 s0, s18, s13
	s_lshl_b64 s[10:11], s[0:1], 1
	v_or_b32_e32 v4, s13, v0
	v_addc_co_u32_e32 v3, vcc, v1, v3, vcc
	s_mov_b64 s[4:5], 0
	v_mov_b32_e32 v1, 0
	v_mov_b32_e32 v5, s11
	s_mov_b32 s11, s3
.LBB396_2:                              ; =>This Inner Loop Header: Depth=1
	global_load_ushort v6, v[2:3], off
	s_add_i32 s14, s11, 1
	v_add_co_u32_e64 v2, s[0:1], s10, v2
	v_addc_co_u32_e64 v3, s[0:1], v3, v5, s[0:1]
	s_cmp_gt_u32 s11, 30
	v_cmp_le_i32_e32 vcc, s12, v4
	s_cselect_b64 s[0:1], -1, 0
	s_or_b64 s[0:1], s[0:1], vcc
	s_and_b64 s[0:1], exec, s[0:1]
	v_add_u32_e32 v4, s13, v4
	s_mov_b32 s11, s14
	s_or_b64 s[4:5], s[0:1], s[4:5]
	s_waitcnt vmcnt(0)
	v_fma_mix_f32 v1, v6, v6, v1 op_sel_hi:[1,1,0]
	s_andn2_b64 exec, exec, s[4:5]
	s_cbranch_execnz .LBB396_2
; %bb.3:
	s_or_b64 exec, exec, s[4:5]
.LBB396_4:
	s_or_b64 exec, exec, s[8:9]
	v_and_b32_e32 v3, 63, v0
	v_cmp_gt_u32_e32 vcc, 64, v0
	v_lshlrev_b32_e32 v2, 2, v3
	s_and_saveexec_b64 s[0:1], vcc
	s_cbranch_execz .LBB396_6
; %bb.5:
	v_mov_b32_e32 v4, 0
	ds_write_b32 v2, v4
.LBB396_6:
	s_or_b64 exec, exec, s[0:1]
	v_mbcnt_lo_u32_b32 v4, -1, 0
	v_mbcnt_hi_u32_b32 v6, -1, v4
	v_and_b32_e32 v7, 63, v6
	v_cmp_gt_u32_e64 s[0:1], 32, v7
	v_cndmask_b32_e64 v4, 0, 1, s[0:1]
	v_lshlrev_b32_e32 v4, 5, v4
	v_add_lshl_u32 v4, v4, v6, 2
	ds_bpermute_b32 v4, v4, v1
	v_cmp_gt_u32_e64 s[0:1], 48, v7
	v_cndmask_b32_e64 v5, 0, 1, s[0:1]
	v_lshlrev_b32_e32 v5, 4, v5
	v_cmp_gt_u32_e64 s[0:1], 56, v7
	s_waitcnt lgkmcnt(0)
	v_add_f32_e32 v1, v1, v4
	v_add_lshl_u32 v4, v5, v6, 2
	ds_bpermute_b32 v4, v4, v1
	v_cndmask_b32_e64 v5, 0, 1, s[0:1]
	v_lshlrev_b32_e32 v5, 3, v5
	v_cmp_gt_u32_e64 s[0:1], 60, v7
	v_cndmask_b32_e64 v8, 0, 1, s[0:1]
	s_waitcnt lgkmcnt(0)
	v_add_f32_e32 v4, v1, v4
	v_add_lshl_u32 v1, v5, v6, 2
	ds_bpermute_b32 v5, v1, v4
	v_lshlrev_b32_e32 v8, 2, v8
	v_cmp_gt_u32_e64 s[0:1], 62, v7
	v_cndmask_b32_e64 v9, 0, 1, s[0:1]
	v_lshlrev_b32_e32 v9, 1, v9
	s_waitcnt lgkmcnt(0)
	v_add_f32_e32 v5, v4, v5
	v_add_lshl_u32 v4, v8, v6, 2
	ds_bpermute_b32 v8, v4, v5
	v_cmp_ne_u32_e64 s[0:1], 63, v7
	s_waitcnt lgkmcnt(0)
	s_barrier
	v_add_f32_e32 v8, v5, v8
	v_add_lshl_u32 v5, v9, v6, 2
	ds_bpermute_b32 v9, v5, v8
	v_addc_co_u32_e64 v6, s[0:1], 0, v6, s[0:1]
	v_lshlrev_b32_e32 v6, 2, v6
	v_cmp_eq_u32_e64 s[0:1], 0, v3
	s_waitcnt lgkmcnt(0)
	v_add_f32_e32 v7, v8, v9
	ds_bpermute_b32 v8, v6, v7
	s_and_saveexec_b64 s[4:5], s[0:1]
	s_cbranch_execz .LBB396_8
; %bb.7:
	s_waitcnt lgkmcnt(0)
	v_add_f32_e32 v3, v7, v8
	v_lshrrev_b32_e32 v7, 4, v0
	v_and_b32_e32 v7, 60, v7
	ds_write_b32 v7, v3
.LBB396_8:
	s_or_b64 exec, exec, s[4:5]
	v_cmp_gt_u32_e64 s[0:1], 16, v0
	v_mov_b32_e32 v3, 0
	s_waitcnt lgkmcnt(0)
	s_barrier
	s_and_saveexec_b64 s[4:5], s[0:1]
	s_cbranch_execnz .LBB396_12
; %bb.9:
	s_or_b64 exec, exec, s[4:5]
	s_and_saveexec_b64 s[0:1], vcc
	s_cbranch_execnz .LBB396_13
.LBB396_10:
	s_or_b64 exec, exec, s[0:1]
	v_cmp_eq_u32_e32 vcc, 0, v0
	s_and_saveexec_b64 s[0:1], vcc
	s_cbranch_execnz .LBB396_14
.LBB396_11:
	s_endpgm
.LBB396_12:
	ds_read_b32 v3, v2
	s_or_b64 exec, exec, s[4:5]
	s_and_saveexec_b64 s[0:1], vcc
	s_cbranch_execz .LBB396_10
.LBB396_13:
	s_waitcnt lgkmcnt(0)
	ds_bpermute_b32 v1, v1, v3
	s_waitcnt lgkmcnt(0)
	v_add_f32_e32 v1, v3, v1
	ds_bpermute_b32 v2, v4, v1
	s_waitcnt lgkmcnt(0)
	v_add_f32_e32 v1, v1, v2
	;; [unrolled: 3-line block ×4, first 2 shown]
	s_or_b64 exec, exec, s[0:1]
	v_cmp_eq_u32_e32 vcc, 0, v0
	s_and_saveexec_b64 s[0:1], vcc
	s_cbranch_execz .LBB396_11
.LBB396_14:
	s_waitcnt lgkmcnt(0)
	v_cvt_f16_f32_e32 v0, v3
	s_lshl_b64 s[0:1], s[2:3], 1
	s_add_u32 s0, s6, s0
	s_addc_u32 s1, s7, s1
	v_mov_b32_e32 v1, 0
	global_store_short v1, v0, s[0:1]
	s_endpgm
	.section	.rodata,"a",@progbits
	.p2align	6, 0x0
	.amdhsa_kernel _ZL24rocblas_dot_kernel_magsqIlLb1ELi1024ELi32ELb0EDF16_PKDF16_fEviT5_lT_liPT6_PT4_
		.amdhsa_group_segment_fixed_size 256
		.amdhsa_private_segment_fixed_size 0
		.amdhsa_kernarg_size 320
		.amdhsa_user_sgpr_count 6
		.amdhsa_user_sgpr_private_segment_buffer 1
		.amdhsa_user_sgpr_dispatch_ptr 0
		.amdhsa_user_sgpr_queue_ptr 0
		.amdhsa_user_sgpr_kernarg_segment_ptr 1
		.amdhsa_user_sgpr_dispatch_id 0
		.amdhsa_user_sgpr_flat_scratch_init 0
		.amdhsa_user_sgpr_kernarg_preload_length 0
		.amdhsa_user_sgpr_kernarg_preload_offset 0
		.amdhsa_user_sgpr_private_segment_size 0
		.amdhsa_uses_dynamic_stack 0
		.amdhsa_system_sgpr_private_segment_wavefront_offset 0
		.amdhsa_system_sgpr_workgroup_id_x 1
		.amdhsa_system_sgpr_workgroup_id_y 0
		.amdhsa_system_sgpr_workgroup_id_z 1
		.amdhsa_system_sgpr_workgroup_info 0
		.amdhsa_system_vgpr_workitem_id 0
		.amdhsa_next_free_vgpr 10
		.amdhsa_next_free_sgpr 20
		.amdhsa_accum_offset 12
		.amdhsa_reserve_vcc 1
		.amdhsa_reserve_flat_scratch 0
		.amdhsa_float_round_mode_32 0
		.amdhsa_float_round_mode_16_64 0
		.amdhsa_float_denorm_mode_32 3
		.amdhsa_float_denorm_mode_16_64 3
		.amdhsa_dx10_clamp 1
		.amdhsa_ieee_mode 1
		.amdhsa_fp16_overflow 0
		.amdhsa_tg_split 0
		.amdhsa_exception_fp_ieee_invalid_op 0
		.amdhsa_exception_fp_denorm_src 0
		.amdhsa_exception_fp_ieee_div_zero 0
		.amdhsa_exception_fp_ieee_overflow 0
		.amdhsa_exception_fp_ieee_underflow 0
		.amdhsa_exception_fp_ieee_inexact 0
		.amdhsa_exception_int_div_zero 0
	.end_amdhsa_kernel
	.section	.text._ZL24rocblas_dot_kernel_magsqIlLb1ELi1024ELi32ELb0EDF16_PKDF16_fEviT5_lT_liPT6_PT4_,"axG",@progbits,_ZL24rocblas_dot_kernel_magsqIlLb1ELi1024ELi32ELb0EDF16_PKDF16_fEviT5_lT_liPT6_PT4_,comdat
.Lfunc_end396:
	.size	_ZL24rocblas_dot_kernel_magsqIlLb1ELi1024ELi32ELb0EDF16_PKDF16_fEviT5_lT_liPT6_PT4_, .Lfunc_end396-_ZL24rocblas_dot_kernel_magsqIlLb1ELi1024ELi32ELb0EDF16_PKDF16_fEviT5_lT_liPT6_PT4_
                                        ; -- End function
	.section	.AMDGPU.csdata,"",@progbits
; Kernel info:
; codeLenInByte = 860
; NumSgprs: 24
; NumVgprs: 10
; NumAgprs: 0
; TotalNumVgprs: 10
; ScratchSize: 0
; MemoryBound: 0
; FloatMode: 240
; IeeeMode: 1
; LDSByteSize: 256 bytes/workgroup (compile time only)
; SGPRBlocks: 2
; VGPRBlocks: 1
; NumSGPRsForWavesPerEU: 24
; NumVGPRsForWavesPerEU: 10
; AccumOffset: 12
; Occupancy: 8
; WaveLimiterHint : 0
; COMPUTE_PGM_RSRC2:SCRATCH_EN: 0
; COMPUTE_PGM_RSRC2:USER_SGPR: 6
; COMPUTE_PGM_RSRC2:TRAP_HANDLER: 0
; COMPUTE_PGM_RSRC2:TGID_X_EN: 1
; COMPUTE_PGM_RSRC2:TGID_Y_EN: 0
; COMPUTE_PGM_RSRC2:TGID_Z_EN: 1
; COMPUTE_PGM_RSRC2:TIDIG_COMP_CNT: 0
; COMPUTE_PGM_RSRC3_GFX90A:ACCUM_OFFSET: 2
; COMPUTE_PGM_RSRC3_GFX90A:TG_SPLIT: 0
	.section	.text._ZL38rocblas_dot_kernel_gfx942_float_doubleIlLi1024EDF16_PKDF16_fEviT2_lT_lS2_lS3_lPT3_PT1_,"axG",@progbits,_ZL38rocblas_dot_kernel_gfx942_float_doubleIlLi1024EDF16_PKDF16_fEviT2_lT_lS2_lS3_lPT3_PT1_,comdat
	.globl	_ZL38rocblas_dot_kernel_gfx942_float_doubleIlLi1024EDF16_PKDF16_fEviT2_lT_lS2_lS3_lPT3_PT1_ ; -- Begin function _ZL38rocblas_dot_kernel_gfx942_float_doubleIlLi1024EDF16_PKDF16_fEviT2_lT_lS2_lS3_lPT3_PT1_
	.p2align	8
	.type	_ZL38rocblas_dot_kernel_gfx942_float_doubleIlLi1024EDF16_PKDF16_fEviT2_lT_lS2_lS3_lPT3_PT1_,@function
_ZL38rocblas_dot_kernel_gfx942_float_doubleIlLi1024EDF16_PKDF16_fEviT2_lT_lS2_lS3_lPT3_PT1_: ; @_ZL38rocblas_dot_kernel_gfx942_float_doubleIlLi1024EDF16_PKDF16_fEviT2_lT_lS2_lS3_lPT3_PT1_
; %bb.0:
	s_endpgm
	.section	.rodata,"a",@progbits
	.p2align	6, 0x0
	.amdhsa_kernel _ZL38rocblas_dot_kernel_gfx942_float_doubleIlLi1024EDF16_PKDF16_fEviT2_lT_lS2_lS3_lPT3_PT1_
		.amdhsa_group_segment_fixed_size 0
		.amdhsa_private_segment_fixed_size 0
		.amdhsa_kernarg_size 88
		.amdhsa_user_sgpr_count 6
		.amdhsa_user_sgpr_private_segment_buffer 1
		.amdhsa_user_sgpr_dispatch_ptr 0
		.amdhsa_user_sgpr_queue_ptr 0
		.amdhsa_user_sgpr_kernarg_segment_ptr 1
		.amdhsa_user_sgpr_dispatch_id 0
		.amdhsa_user_sgpr_flat_scratch_init 0
		.amdhsa_user_sgpr_kernarg_preload_length 0
		.amdhsa_user_sgpr_kernarg_preload_offset 0
		.amdhsa_user_sgpr_private_segment_size 0
		.amdhsa_uses_dynamic_stack 0
		.amdhsa_system_sgpr_private_segment_wavefront_offset 0
		.amdhsa_system_sgpr_workgroup_id_x 1
		.amdhsa_system_sgpr_workgroup_id_y 0
		.amdhsa_system_sgpr_workgroup_id_z 0
		.amdhsa_system_sgpr_workgroup_info 0
		.amdhsa_system_vgpr_workitem_id 0
		.amdhsa_next_free_vgpr 1
		.amdhsa_next_free_sgpr 0
		.amdhsa_accum_offset 4
		.amdhsa_reserve_vcc 0
		.amdhsa_reserve_flat_scratch 0
		.amdhsa_float_round_mode_32 0
		.amdhsa_float_round_mode_16_64 0
		.amdhsa_float_denorm_mode_32 3
		.amdhsa_float_denorm_mode_16_64 3
		.amdhsa_dx10_clamp 1
		.amdhsa_ieee_mode 1
		.amdhsa_fp16_overflow 0
		.amdhsa_tg_split 0
		.amdhsa_exception_fp_ieee_invalid_op 0
		.amdhsa_exception_fp_denorm_src 0
		.amdhsa_exception_fp_ieee_div_zero 0
		.amdhsa_exception_fp_ieee_overflow 0
		.amdhsa_exception_fp_ieee_underflow 0
		.amdhsa_exception_fp_ieee_inexact 0
		.amdhsa_exception_int_div_zero 0
	.end_amdhsa_kernel
	.section	.text._ZL38rocblas_dot_kernel_gfx942_float_doubleIlLi1024EDF16_PKDF16_fEviT2_lT_lS2_lS3_lPT3_PT1_,"axG",@progbits,_ZL38rocblas_dot_kernel_gfx942_float_doubleIlLi1024EDF16_PKDF16_fEviT2_lT_lS2_lS3_lPT3_PT1_,comdat
.Lfunc_end397:
	.size	_ZL38rocblas_dot_kernel_gfx942_float_doubleIlLi1024EDF16_PKDF16_fEviT2_lT_lS2_lS3_lPT3_PT1_, .Lfunc_end397-_ZL38rocblas_dot_kernel_gfx942_float_doubleIlLi1024EDF16_PKDF16_fEviT2_lT_lS2_lS3_lPT3_PT1_
                                        ; -- End function
	.section	.AMDGPU.csdata,"",@progbits
; Kernel info:
; codeLenInByte = 4
; NumSgprs: 4
; NumVgprs: 0
; NumAgprs: 0
; TotalNumVgprs: 0
; ScratchSize: 0
; MemoryBound: 0
; FloatMode: 240
; IeeeMode: 1
; LDSByteSize: 0 bytes/workgroup (compile time only)
; SGPRBlocks: 0
; VGPRBlocks: 0
; NumSGPRsForWavesPerEU: 4
; NumVGPRsForWavesPerEU: 1
; AccumOffset: 4
; Occupancy: 8
; WaveLimiterHint : 0
; COMPUTE_PGM_RSRC2:SCRATCH_EN: 0
; COMPUTE_PGM_RSRC2:USER_SGPR: 6
; COMPUTE_PGM_RSRC2:TRAP_HANDLER: 0
; COMPUTE_PGM_RSRC2:TGID_X_EN: 1
; COMPUTE_PGM_RSRC2:TGID_Y_EN: 0
; COMPUTE_PGM_RSRC2:TGID_Z_EN: 0
; COMPUTE_PGM_RSRC2:TIDIG_COMP_CNT: 0
; COMPUTE_PGM_RSRC3_GFX90A:ACCUM_OFFSET: 0
; COMPUTE_PGM_RSRC3_GFX90A:TG_SPLIT: 0
	.section	.text._ZL18rocblas_dot_kernelIlLb0ELi512ELi8ELb0EDF16_PKDF16_fEviT5_lT_lS2_lS3_liPT6_PT4_,"axG",@progbits,_ZL18rocblas_dot_kernelIlLb0ELi512ELi8ELb0EDF16_PKDF16_fEviT5_lT_lS2_lS3_liPT6_PT4_,comdat
	.globl	_ZL18rocblas_dot_kernelIlLb0ELi512ELi8ELb0EDF16_PKDF16_fEviT5_lT_lS2_lS3_liPT6_PT4_ ; -- Begin function _ZL18rocblas_dot_kernelIlLb0ELi512ELi8ELb0EDF16_PKDF16_fEviT5_lT_lS2_lS3_liPT6_PT4_
	.p2align	8
	.type	_ZL18rocblas_dot_kernelIlLb0ELi512ELi8ELb0EDF16_PKDF16_fEviT5_lT_lS2_lS3_liPT6_PT4_,@function
_ZL18rocblas_dot_kernelIlLb0ELi512ELi8ELb0EDF16_PKDF16_fEviT5_lT_lS2_lS3_liPT6_PT4_: ; @_ZL18rocblas_dot_kernelIlLb0ELi512ELi8ELb0EDF16_PKDF16_fEviT5_lT_lS2_lS3_liPT6_PT4_
; %bb.0:
	s_mov_b32 s2, s7
	s_load_dword s22, s[4:5], 0x60
	s_load_dword s7, s[4:5], 0x0
	s_load_dwordx4 s[16:19], s[4:5], 0x50
	v_lshl_or_b32 v4, s6, 9, v0
	s_mov_b32 s3, 0
	v_mov_b32_e32 v6, 0
	s_waitcnt lgkmcnt(0)
	v_cmp_gt_i32_e32 vcc, s7, v4
	s_and_saveexec_b64 s[20:21], vcc
	s_cbranch_execz .LBB398_4
; %bb.1:
	s_load_dwordx8 s[8:15], s[4:5], 0x20
	s_load_dwordx2 s[0:1], s[4:5], 0x8
	s_load_dwordx4 s[24:27], s[4:5], 0x10
	s_load_dwordx2 s[28:29], s[4:5], 0x40
	s_lshl_b32 s23, s22, 9
	v_ashrrev_i32_e32 v5, 31, v4
	v_add_u32_e32 v1, s23, v4
	s_waitcnt lgkmcnt(0)
	v_mad_u64_u32 v[2:3], s[4:5], s26, v4, 0
	s_mul_i32 s4, s9, s2
	s_mul_hi_u32 s5, s8, s2
	s_add_i32 s5, s5, s4
	s_mul_i32 s4, s8, s2
	s_lshl_b64 s[4:5], s[4:5], 1
	s_lshl_b64 s[8:9], s[24:25], 1
	s_add_u32 s0, s0, s8
	v_mul_lo_u32 v6, s27, v4
	v_mul_lo_u32 v7, s26, v5
	s_addc_u32 s1, s1, s9
	v_add3_u32 v3, v3, v7, v6
	s_add_u32 s0, s0, s4
	v_lshlrev_b64 v[2:3], 1, v[2:3]
	s_addc_u32 s1, s1, s5
	s_ashr_i32 s24, s23, 31
	v_mov_b32_e32 v6, s1
	v_add_co_u32_e32 v2, vcc, s0, v2
	s_mul_i32 s0, s26, s24
	s_mul_hi_u32 s1, s26, s23
	s_add_i32 s0, s1, s0
	s_mul_i32 s1, s27, s23
	s_add_i32 s1, s0, s1
	s_mul_i32 s0, s26, s23
	v_addc_co_u32_e32 v3, vcc, v6, v3, vcc
	s_lshl_b64 s[4:5], s[0:1], 1
	v_mul_lo_u32 v6, s15, v4
	v_mul_lo_u32 v7, s14, v5
	v_mad_u64_u32 v[4:5], s[0:1], s14, v4, 0
	s_mul_i32 s0, s29, s2
	s_mul_hi_u32 s1, s28, s2
	s_add_i32 s1, s1, s0
	s_mul_i32 s0, s28, s2
	s_lshl_b64 s[0:1], s[0:1], 1
	s_lshl_b64 s[8:9], s[12:13], 1
	s_add_u32 s8, s10, s8
	s_addc_u32 s9, s11, s9
	v_add3_u32 v5, v5, v7, v6
	s_add_u32 s0, s8, s0
	v_lshlrev_b64 v[4:5], 1, v[4:5]
	s_addc_u32 s1, s9, s1
	v_mov_b32_e32 v6, s1
	v_add_co_u32_e32 v4, vcc, s0, v4
	s_mul_i32 s0, s14, s24
	s_mul_hi_u32 s1, s14, s23
	s_add_i32 s0, s1, s0
	s_mul_i32 s1, s15, s23
	s_add_i32 s1, s0, s1
	s_mul_i32 s0, s14, s23
	s_lshl_b64 s[10:11], s[0:1], 1
	v_addc_co_u32_e32 v5, vcc, v6, v5, vcc
	s_mov_b64 s[8:9], 0
	v_mov_b32_e32 v6, 0
	v_mov_b32_e32 v7, s5
	;; [unrolled: 1-line block ×3, first 2 shown]
	s_mov_b32 s5, s3
.LBB398_2:                              ; =>This Inner Loop Header: Depth=1
	global_load_ushort v9, v[4:5], off
	global_load_ushort v10, v[2:3], off
	v_add_co_u32_e64 v2, s[0:1], s4, v2
	v_addc_co_u32_e64 v3, s[0:1], v3, v7, s[0:1]
	s_add_i32 s11, s5, 1
	v_add_co_u32_e64 v4, s[0:1], s10, v4
	v_addc_co_u32_e64 v5, s[0:1], v5, v8, s[0:1]
	s_cmp_gt_u32 s5, 6
	v_cmp_le_i32_e32 vcc, s7, v1
	s_cselect_b64 s[0:1], -1, 0
	s_or_b64 s[0:1], s[0:1], vcc
	s_and_b64 s[0:1], exec, s[0:1]
	v_add_u32_e32 v1, s23, v1
	s_mov_b32 s5, s11
	s_or_b64 s[8:9], s[0:1], s[8:9]
	s_waitcnt vmcnt(0)
	v_fma_mix_f32 v6, v9, v10, v6 op_sel_hi:[1,1,0]
	s_andn2_b64 exec, exec, s[8:9]
	s_cbranch_execnz .LBB398_2
; %bb.3:
	s_or_b64 exec, exec, s[8:9]
.LBB398_4:
	s_or_b64 exec, exec, s[20:21]
	v_and_b32_e32 v2, 63, v0
	v_cmp_gt_u32_e32 vcc, 64, v0
	v_lshlrev_b32_e32 v1, 2, v2
	s_and_saveexec_b64 s[0:1], vcc
	s_cbranch_execz .LBB398_6
; %bb.5:
	v_mov_b32_e32 v3, 0
	ds_write_b32 v1, v3
.LBB398_6:
	s_or_b64 exec, exec, s[0:1]
	v_mbcnt_lo_u32_b32 v3, -1, 0
	v_mbcnt_hi_u32_b32 v5, -1, v3
	v_and_b32_e32 v7, 63, v5
	v_cmp_gt_u32_e64 s[0:1], 32, v7
	v_cndmask_b32_e64 v3, 0, 1, s[0:1]
	v_lshlrev_b32_e32 v3, 5, v3
	v_add_lshl_u32 v3, v3, v5, 2
	ds_bpermute_b32 v3, v3, v6
	v_cmp_gt_u32_e64 s[0:1], 48, v7
	v_cndmask_b32_e64 v4, 0, 1, s[0:1]
	v_lshlrev_b32_e32 v4, 4, v4
	v_add_lshl_u32 v4, v4, v5, 2
	s_waitcnt lgkmcnt(0)
	v_add_f32_e32 v3, v6, v3
	ds_bpermute_b32 v4, v4, v3
	v_cmp_gt_u32_e64 s[0:1], 56, v7
	v_cndmask_b32_e64 v6, 0, 1, s[0:1]
	v_lshlrev_b32_e32 v6, 3, v6
	v_cmp_gt_u32_e64 s[0:1], 60, v7
	s_waitcnt lgkmcnt(0)
	v_add_f32_e32 v3, v3, v4
	v_add_lshl_u32 v4, v6, v5, 2
	ds_bpermute_b32 v4, v4, v3
	v_cndmask_b32_e64 v6, 0, 1, s[0:1]
	v_lshlrev_b32_e32 v6, 2, v6
	v_cmp_gt_u32_e64 s[0:1], 62, v7
	v_cndmask_b32_e64 v8, 0, 1, s[0:1]
	s_waitcnt lgkmcnt(0)
	v_add_f32_e32 v4, v3, v4
	v_add_lshl_u32 v3, v6, v5, 2
	ds_bpermute_b32 v6, v3, v4
	v_lshlrev_b32_e32 v8, 1, v8
	v_cmp_ne_u32_e64 s[0:1], 63, v7
	s_waitcnt lgkmcnt(0)
	s_barrier
	v_add_f32_e32 v6, v4, v6
	v_add_lshl_u32 v4, v8, v5, 2
	ds_bpermute_b32 v8, v4, v6
	v_addc_co_u32_e64 v5, s[0:1], 0, v5, s[0:1]
	v_lshlrev_b32_e32 v5, 2, v5
	v_cmp_eq_u32_e64 s[0:1], 0, v2
	s_waitcnt lgkmcnt(0)
	v_add_f32_e32 v6, v6, v8
	ds_bpermute_b32 v7, v5, v6
	s_waitcnt lgkmcnt(0)
	s_and_saveexec_b64 s[4:5], s[0:1]
	s_cbranch_execz .LBB398_8
; %bb.7:
	v_add_f32_e32 v2, v6, v7
	v_lshrrev_b32_e32 v6, 4, v0
	v_and_b32_e32 v6, 28, v6
	ds_write_b32 v6, v2
.LBB398_8:
	s_or_b64 exec, exec, s[4:5]
	v_cmp_gt_u32_e64 s[0:1], 8, v0
	v_mov_b32_e32 v2, 0
	s_waitcnt lgkmcnt(0)
	s_barrier
	s_and_saveexec_b64 s[4:5], s[0:1]
	s_cbranch_execnz .LBB398_12
; %bb.9:
	s_or_b64 exec, exec, s[4:5]
	s_and_saveexec_b64 s[0:1], vcc
	s_cbranch_execnz .LBB398_13
.LBB398_10:
	s_or_b64 exec, exec, s[0:1]
	v_cmp_eq_u32_e32 vcc, 0, v0
	s_and_saveexec_b64 s[0:1], vcc
	s_cbranch_execnz .LBB398_14
.LBB398_11:
	s_endpgm
.LBB398_12:
	ds_read_b32 v2, v1
	s_or_b64 exec, exec, s[4:5]
	s_and_saveexec_b64 s[0:1], vcc
	s_cbranch_execz .LBB398_10
.LBB398_13:
	s_waitcnt lgkmcnt(0)
	ds_bpermute_b32 v1, v3, v2
	s_waitcnt lgkmcnt(0)
	v_add_f32_e32 v1, v2, v1
	ds_bpermute_b32 v2, v4, v1
	s_waitcnt lgkmcnt(0)
	v_add_f32_e32 v1, v1, v2
	;; [unrolled: 3-line block ×3, first 2 shown]
	s_or_b64 exec, exec, s[0:1]
	v_cmp_eq_u32_e32 vcc, 0, v0
	s_and_saveexec_b64 s[0:1], vcc
	s_cbranch_execz .LBB398_11
.LBB398_14:
	s_cmp_lg_u32 s22, 1
	s_mov_b64 s[0:1], -1
	s_cbranch_scc0 .LBB398_16
; %bb.15:
	s_mul_hi_u32 s1, s22, s2
	s_mul_i32 s0, s22, s2
	s_lshl_b64 s[0:1], s[0:1], 2
	s_mov_b32 s7, 0
	s_add_u32 s4, s16, s0
	s_addc_u32 s5, s17, s1
	s_lshl_b64 s[0:1], s[6:7], 2
	s_add_u32 s0, s4, s0
	s_addc_u32 s1, s5, s1
	v_mov_b32_e32 v0, 0
	s_waitcnt lgkmcnt(0)
	global_store_dword v0, v2, s[0:1]
	s_mov_b64 s[0:1], 0
.LBB398_16:
	s_andn2_b64 vcc, exec, s[0:1]
	s_cbranch_vccnz .LBB398_11
; %bb.17:
	s_waitcnt lgkmcnt(0)
	v_cvt_f16_f32_e32 v0, v2
	s_lshl_b64 s[0:1], s[2:3], 1
	s_add_u32 s0, s18, s0
	s_addc_u32 s1, s19, s1
	v_mov_b32_e32 v1, 0
	global_store_short v1, v0, s[0:1]
	s_endpgm
	.section	.rodata,"a",@progbits
	.p2align	6, 0x0
	.amdhsa_kernel _ZL18rocblas_dot_kernelIlLb0ELi512ELi8ELb0EDF16_PKDF16_fEviT5_lT_lS2_lS3_liPT6_PT4_
		.amdhsa_group_segment_fixed_size 256
		.amdhsa_private_segment_fixed_size 0
		.amdhsa_kernarg_size 352
		.amdhsa_user_sgpr_count 6
		.amdhsa_user_sgpr_private_segment_buffer 1
		.amdhsa_user_sgpr_dispatch_ptr 0
		.amdhsa_user_sgpr_queue_ptr 0
		.amdhsa_user_sgpr_kernarg_segment_ptr 1
		.amdhsa_user_sgpr_dispatch_id 0
		.amdhsa_user_sgpr_flat_scratch_init 0
		.amdhsa_user_sgpr_kernarg_preload_length 0
		.amdhsa_user_sgpr_kernarg_preload_offset 0
		.amdhsa_user_sgpr_private_segment_size 0
		.amdhsa_uses_dynamic_stack 0
		.amdhsa_system_sgpr_private_segment_wavefront_offset 0
		.amdhsa_system_sgpr_workgroup_id_x 1
		.amdhsa_system_sgpr_workgroup_id_y 0
		.amdhsa_system_sgpr_workgroup_id_z 1
		.amdhsa_system_sgpr_workgroup_info 0
		.amdhsa_system_vgpr_workitem_id 0
		.amdhsa_next_free_vgpr 11
		.amdhsa_next_free_sgpr 30
		.amdhsa_accum_offset 12
		.amdhsa_reserve_vcc 1
		.amdhsa_reserve_flat_scratch 0
		.amdhsa_float_round_mode_32 0
		.amdhsa_float_round_mode_16_64 0
		.amdhsa_float_denorm_mode_32 3
		.amdhsa_float_denorm_mode_16_64 3
		.amdhsa_dx10_clamp 1
		.amdhsa_ieee_mode 1
		.amdhsa_fp16_overflow 0
		.amdhsa_tg_split 0
		.amdhsa_exception_fp_ieee_invalid_op 0
		.amdhsa_exception_fp_denorm_src 0
		.amdhsa_exception_fp_ieee_div_zero 0
		.amdhsa_exception_fp_ieee_overflow 0
		.amdhsa_exception_fp_ieee_underflow 0
		.amdhsa_exception_fp_ieee_inexact 0
		.amdhsa_exception_int_div_zero 0
	.end_amdhsa_kernel
	.section	.text._ZL18rocblas_dot_kernelIlLb0ELi512ELi8ELb0EDF16_PKDF16_fEviT5_lT_lS2_lS3_liPT6_PT4_,"axG",@progbits,_ZL18rocblas_dot_kernelIlLb0ELi512ELi8ELb0EDF16_PKDF16_fEviT5_lT_lS2_lS3_liPT6_PT4_,comdat
.Lfunc_end398:
	.size	_ZL18rocblas_dot_kernelIlLb0ELi512ELi8ELb0EDF16_PKDF16_fEviT5_lT_lS2_lS3_liPT6_PT4_, .Lfunc_end398-_ZL18rocblas_dot_kernelIlLb0ELi512ELi8ELb0EDF16_PKDF16_fEviT5_lT_lS2_lS3_liPT6_PT4_
                                        ; -- End function
	.section	.AMDGPU.csdata,"",@progbits
; Kernel info:
; codeLenInByte = 1096
; NumSgprs: 34
; NumVgprs: 11
; NumAgprs: 0
; TotalNumVgprs: 11
; ScratchSize: 0
; MemoryBound: 0
; FloatMode: 240
; IeeeMode: 1
; LDSByteSize: 256 bytes/workgroup (compile time only)
; SGPRBlocks: 4
; VGPRBlocks: 1
; NumSGPRsForWavesPerEU: 34
; NumVGPRsForWavesPerEU: 11
; AccumOffset: 12
; Occupancy: 8
; WaveLimiterHint : 0
; COMPUTE_PGM_RSRC2:SCRATCH_EN: 0
; COMPUTE_PGM_RSRC2:USER_SGPR: 6
; COMPUTE_PGM_RSRC2:TRAP_HANDLER: 0
; COMPUTE_PGM_RSRC2:TGID_X_EN: 1
; COMPUTE_PGM_RSRC2:TGID_Y_EN: 0
; COMPUTE_PGM_RSRC2:TGID_Z_EN: 1
; COMPUTE_PGM_RSRC2:TIDIG_COMP_CNT: 0
; COMPUTE_PGM_RSRC3_GFX90A:ACCUM_OFFSET: 2
; COMPUTE_PGM_RSRC3_GFX90A:TG_SPLIT: 0
	.section	.text._ZL24rocblas_dot_kernel_magsqIlLb0ELi512ELi8ELb0EDF16_PKDF16_fEviT5_lT_liPT6_PT4_,"axG",@progbits,_ZL24rocblas_dot_kernel_magsqIlLb0ELi512ELi8ELb0EDF16_PKDF16_fEviT5_lT_liPT6_PT4_,comdat
	.globl	_ZL24rocblas_dot_kernel_magsqIlLb0ELi512ELi8ELb0EDF16_PKDF16_fEviT5_lT_liPT6_PT4_ ; -- Begin function _ZL24rocblas_dot_kernel_magsqIlLb0ELi512ELi8ELb0EDF16_PKDF16_fEviT5_lT_liPT6_PT4_
	.p2align	8
	.type	_ZL24rocblas_dot_kernel_magsqIlLb0ELi512ELi8ELb0EDF16_PKDF16_fEviT5_lT_liPT6_PT4_,@function
_ZL24rocblas_dot_kernel_magsqIlLb0ELi512ELi8ELb0EDF16_PKDF16_fEviT5_lT_liPT6_PT4_: ; @_ZL24rocblas_dot_kernel_magsqIlLb0ELi512ELi8ELb0EDF16_PKDF16_fEviT5_lT_liPT6_PT4_
; %bb.0:
	s_mov_b32 s2, s7
	s_load_dword s7, s[4:5], 0x0
	s_load_dwordx4 s[8:11], s[4:5], 0x30
	s_load_dword s16, s[4:5], 0x40
	v_lshl_or_b32 v2, s6, 9, v0
	s_mov_b32 s3, 0
	s_waitcnt lgkmcnt(0)
	v_cmp_gt_i32_e32 vcc, s7, v2
	v_mov_b32_e32 v1, 0
	s_and_saveexec_b64 s[12:13], vcc
	s_cbranch_execz .LBB399_4
; %bb.1:
	s_load_dwordx2 s[0:1], s[4:5], 0x8
	s_load_dwordx4 s[20:23], s[4:5], 0x10
	s_load_dwordx2 s[14:15], s[4:5], 0x20
	s_lshl_b32 s17, s16, 9
	v_add_u32_e32 v4, s17, v2
	v_ashrrev_i32_e32 v1, 31, v2
	s_waitcnt lgkmcnt(0)
	v_mul_lo_u32 v5, s23, v2
	v_mad_u64_u32 v[2:3], s[4:5], s22, v2, 0
	s_mul_i32 s4, s15, s2
	s_mul_hi_u32 s5, s14, s2
	s_add_i32 s5, s5, s4
	s_mul_i32 s4, s14, s2
	s_lshl_b64 s[4:5], s[4:5], 1
	s_lshl_b64 s[14:15], s[20:21], 1
	v_mul_lo_u32 v1, s22, v1
	s_add_u32 s0, s0, s14
	v_add3_u32 v3, v3, v1, v5
	s_addc_u32 s1, s1, s15
	v_lshlrev_b64 v[2:3], 1, v[2:3]
	s_add_u32 s0, s0, s4
	s_addc_u32 s1, s1, s5
	v_add_co_u32_e32 v2, vcc, s0, v2
	s_ashr_i32 s0, s17, 31
	v_mov_b32_e32 v1, s1
	s_mul_i32 s0, s22, s0
	s_mul_hi_u32 s1, s22, s17
	s_add_i32 s0, s1, s0
	s_mul_i32 s1, s23, s17
	s_add_i32 s1, s0, s1
	s_mul_i32 s0, s22, s17
	s_lshl_b64 s[14:15], s[0:1], 1
	v_addc_co_u32_e32 v3, vcc, v1, v3, vcc
	s_mov_b64 s[4:5], 0
	v_mov_b32_e32 v1, 0
	v_mov_b32_e32 v5, s15
	s_mov_b32 s15, s3
.LBB399_2:                              ; =>This Inner Loop Header: Depth=1
	global_load_ushort v6, v[2:3], off
	s_add_i32 s18, s15, 1
	v_add_co_u32_e64 v2, s[0:1], s14, v2
	v_addc_co_u32_e64 v3, s[0:1], v3, v5, s[0:1]
	s_cmp_gt_u32 s15, 6
	v_cmp_le_i32_e32 vcc, s7, v4
	s_cselect_b64 s[0:1], -1, 0
	s_or_b64 s[0:1], s[0:1], vcc
	s_and_b64 s[0:1], exec, s[0:1]
	v_add_u32_e32 v4, s17, v4
	s_mov_b32 s15, s18
	s_or_b64 s[4:5], s[0:1], s[4:5]
	s_waitcnt vmcnt(0)
	v_fma_mix_f32 v1, v6, v6, v1 op_sel_hi:[1,1,0]
	s_andn2_b64 exec, exec, s[4:5]
	s_cbranch_execnz .LBB399_2
; %bb.3:
	s_or_b64 exec, exec, s[4:5]
.LBB399_4:
	s_or_b64 exec, exec, s[12:13]
	v_and_b32_e32 v3, 63, v0
	v_cmp_gt_u32_e32 vcc, 64, v0
	v_lshlrev_b32_e32 v2, 2, v3
	s_and_saveexec_b64 s[0:1], vcc
	s_cbranch_execz .LBB399_6
; %bb.5:
	v_mov_b32_e32 v4, 0
	ds_write_b32 v2, v4
.LBB399_6:
	s_or_b64 exec, exec, s[0:1]
	v_mbcnt_lo_u32_b32 v4, -1, 0
	v_mbcnt_hi_u32_b32 v6, -1, v4
	v_and_b32_e32 v7, 63, v6
	v_cmp_gt_u32_e64 s[0:1], 32, v7
	v_cndmask_b32_e64 v4, 0, 1, s[0:1]
	v_lshlrev_b32_e32 v4, 5, v4
	v_add_lshl_u32 v4, v4, v6, 2
	ds_bpermute_b32 v4, v4, v1
	v_cmp_gt_u32_e64 s[0:1], 48, v7
	v_cndmask_b32_e64 v5, 0, 1, s[0:1]
	v_lshlrev_b32_e32 v5, 4, v5
	v_cmp_gt_u32_e64 s[0:1], 56, v7
	s_waitcnt lgkmcnt(0)
	v_add_f32_e32 v1, v1, v4
	v_add_lshl_u32 v4, v5, v6, 2
	ds_bpermute_b32 v4, v4, v1
	v_cndmask_b32_e64 v5, 0, 1, s[0:1]
	v_lshlrev_b32_e32 v5, 3, v5
	v_cmp_gt_u32_e64 s[0:1], 60, v7
	s_waitcnt lgkmcnt(0)
	v_add_f32_e32 v1, v1, v4
	v_add_lshl_u32 v4, v5, v6, 2
	ds_bpermute_b32 v4, v4, v1
	v_cndmask_b32_e64 v5, 0, 1, s[0:1]
	v_lshlrev_b32_e32 v5, 2, v5
	v_cmp_gt_u32_e64 s[0:1], 62, v7
	v_cndmask_b32_e64 v8, 0, 1, s[0:1]
	s_waitcnt lgkmcnt(0)
	v_add_f32_e32 v1, v1, v4
	v_add_lshl_u32 v4, v5, v6, 2
	ds_bpermute_b32 v5, v4, v1
	v_lshlrev_b32_e32 v8, 1, v8
	v_cmp_ne_u32_e64 s[0:1], 63, v7
	s_barrier
	s_waitcnt lgkmcnt(0)
	v_add_f32_e32 v1, v1, v5
	v_add_lshl_u32 v5, v8, v6, 2
	ds_bpermute_b32 v8, v5, v1
	v_addc_co_u32_e64 v6, s[0:1], 0, v6, s[0:1]
	v_lshlrev_b32_e32 v6, 2, v6
	v_cmp_eq_u32_e64 s[0:1], 0, v3
	s_waitcnt lgkmcnt(0)
	v_add_f32_e32 v1, v1, v8
	ds_bpermute_b32 v7, v6, v1
	s_and_saveexec_b64 s[4:5], s[0:1]
	s_cbranch_execz .LBB399_8
; %bb.7:
	v_lshrrev_b32_e32 v3, 4, v0
	s_waitcnt lgkmcnt(0)
	v_add_f32_e32 v1, v1, v7
	v_and_b32_e32 v3, 28, v3
	ds_write_b32 v3, v1
.LBB399_8:
	s_or_b64 exec, exec, s[4:5]
	v_cmp_gt_u32_e64 s[0:1], 8, v0
	v_mov_b32_e32 v1, 0
	s_waitcnt lgkmcnt(0)
	s_barrier
	s_and_saveexec_b64 s[4:5], s[0:1]
	s_cbranch_execnz .LBB399_12
; %bb.9:
	s_or_b64 exec, exec, s[4:5]
	s_and_saveexec_b64 s[0:1], vcc
	s_cbranch_execnz .LBB399_13
.LBB399_10:
	s_or_b64 exec, exec, s[0:1]
	v_cmp_eq_u32_e32 vcc, 0, v0
	s_and_saveexec_b64 s[0:1], vcc
	s_cbranch_execnz .LBB399_14
.LBB399_11:
	s_endpgm
.LBB399_12:
	ds_read_b32 v1, v2
	s_or_b64 exec, exec, s[4:5]
	s_and_saveexec_b64 s[0:1], vcc
	s_cbranch_execz .LBB399_10
.LBB399_13:
	s_waitcnt lgkmcnt(0)
	ds_bpermute_b32 v2, v4, v1
	s_waitcnt lgkmcnt(0)
	v_add_f32_e32 v1, v1, v2
	ds_bpermute_b32 v2, v5, v1
	s_waitcnt lgkmcnt(0)
	v_add_f32_e32 v1, v1, v2
	;; [unrolled: 3-line block ×3, first 2 shown]
	s_or_b64 exec, exec, s[0:1]
	v_cmp_eq_u32_e32 vcc, 0, v0
	s_and_saveexec_b64 s[0:1], vcc
	s_cbranch_execz .LBB399_11
.LBB399_14:
	s_cmp_lg_u32 s16, 1
	s_mov_b64 s[0:1], -1
	s_cbranch_scc0 .LBB399_16
; %bb.15:
	s_mul_hi_u32 s1, s16, s2
	s_mul_i32 s0, s16, s2
	s_lshl_b64 s[0:1], s[0:1], 2
	s_mov_b32 s7, 0
	s_add_u32 s4, s8, s0
	s_addc_u32 s5, s9, s1
	s_lshl_b64 s[0:1], s[6:7], 2
	s_add_u32 s0, s4, s0
	s_addc_u32 s1, s5, s1
	v_mov_b32_e32 v0, 0
	s_waitcnt lgkmcnt(0)
	global_store_dword v0, v1, s[0:1]
	s_mov_b64 s[0:1], 0
.LBB399_16:
	s_andn2_b64 vcc, exec, s[0:1]
	s_cbranch_vccnz .LBB399_11
; %bb.17:
	s_waitcnt lgkmcnt(0)
	v_cvt_f16_f32_e32 v0, v1
	s_lshl_b64 s[0:1], s[2:3], 1
	s_add_u32 s0, s10, s0
	s_addc_u32 s1, s11, s1
	v_mov_b32_e32 v1, 0
	global_store_short v1, v0, s[0:1]
	s_endpgm
	.section	.rodata,"a",@progbits
	.p2align	6, 0x0
	.amdhsa_kernel _ZL24rocblas_dot_kernel_magsqIlLb0ELi512ELi8ELb0EDF16_PKDF16_fEviT5_lT_liPT6_PT4_
		.amdhsa_group_segment_fixed_size 256
		.amdhsa_private_segment_fixed_size 0
		.amdhsa_kernarg_size 320
		.amdhsa_user_sgpr_count 6
		.amdhsa_user_sgpr_private_segment_buffer 1
		.amdhsa_user_sgpr_dispatch_ptr 0
		.amdhsa_user_sgpr_queue_ptr 0
		.amdhsa_user_sgpr_kernarg_segment_ptr 1
		.amdhsa_user_sgpr_dispatch_id 0
		.amdhsa_user_sgpr_flat_scratch_init 0
		.amdhsa_user_sgpr_kernarg_preload_length 0
		.amdhsa_user_sgpr_kernarg_preload_offset 0
		.amdhsa_user_sgpr_private_segment_size 0
		.amdhsa_uses_dynamic_stack 0
		.amdhsa_system_sgpr_private_segment_wavefront_offset 0
		.amdhsa_system_sgpr_workgroup_id_x 1
		.amdhsa_system_sgpr_workgroup_id_y 0
		.amdhsa_system_sgpr_workgroup_id_z 1
		.amdhsa_system_sgpr_workgroup_info 0
		.amdhsa_system_vgpr_workitem_id 0
		.amdhsa_next_free_vgpr 9
		.amdhsa_next_free_sgpr 24
		.amdhsa_accum_offset 12
		.amdhsa_reserve_vcc 1
		.amdhsa_reserve_flat_scratch 0
		.amdhsa_float_round_mode_32 0
		.amdhsa_float_round_mode_16_64 0
		.amdhsa_float_denorm_mode_32 3
		.amdhsa_float_denorm_mode_16_64 3
		.amdhsa_dx10_clamp 1
		.amdhsa_ieee_mode 1
		.amdhsa_fp16_overflow 0
		.amdhsa_tg_split 0
		.amdhsa_exception_fp_ieee_invalid_op 0
		.amdhsa_exception_fp_denorm_src 0
		.amdhsa_exception_fp_ieee_div_zero 0
		.amdhsa_exception_fp_ieee_overflow 0
		.amdhsa_exception_fp_ieee_underflow 0
		.amdhsa_exception_fp_ieee_inexact 0
		.amdhsa_exception_int_div_zero 0
	.end_amdhsa_kernel
	.section	.text._ZL24rocblas_dot_kernel_magsqIlLb0ELi512ELi8ELb0EDF16_PKDF16_fEviT5_lT_liPT6_PT4_,"axG",@progbits,_ZL24rocblas_dot_kernel_magsqIlLb0ELi512ELi8ELb0EDF16_PKDF16_fEviT5_lT_liPT6_PT4_,comdat
.Lfunc_end399:
	.size	_ZL24rocblas_dot_kernel_magsqIlLb0ELi512ELi8ELb0EDF16_PKDF16_fEviT5_lT_liPT6_PT4_, .Lfunc_end399-_ZL24rocblas_dot_kernel_magsqIlLb0ELi512ELi8ELb0EDF16_PKDF16_fEviT5_lT_liPT6_PT4_
                                        ; -- End function
	.section	.AMDGPU.csdata,"",@progbits
; Kernel info:
; codeLenInByte = 940
; NumSgprs: 28
; NumVgprs: 9
; NumAgprs: 0
; TotalNumVgprs: 9
; ScratchSize: 0
; MemoryBound: 0
; FloatMode: 240
; IeeeMode: 1
; LDSByteSize: 256 bytes/workgroup (compile time only)
; SGPRBlocks: 3
; VGPRBlocks: 1
; NumSGPRsForWavesPerEU: 28
; NumVGPRsForWavesPerEU: 9
; AccumOffset: 12
; Occupancy: 8
; WaveLimiterHint : 0
; COMPUTE_PGM_RSRC2:SCRATCH_EN: 0
; COMPUTE_PGM_RSRC2:USER_SGPR: 6
; COMPUTE_PGM_RSRC2:TRAP_HANDLER: 0
; COMPUTE_PGM_RSRC2:TGID_X_EN: 1
; COMPUTE_PGM_RSRC2:TGID_Y_EN: 0
; COMPUTE_PGM_RSRC2:TGID_Z_EN: 1
; COMPUTE_PGM_RSRC2:TIDIG_COMP_CNT: 0
; COMPUTE_PGM_RSRC3_GFX90A:ACCUM_OFFSET: 2
; COMPUTE_PGM_RSRC3_GFX90A:TG_SPLIT: 0
	.section	.text._ZL28rocblas_dot_batched_4_kernelIiLi32ELi4ELb0EfDF16_PKPKDF16_EviT5_lT_lS4_lS5_liPT4_,"axG",@progbits,_ZL28rocblas_dot_batched_4_kernelIiLi32ELi4ELb0EfDF16_PKPKDF16_EviT5_lT_lS4_lS5_liPT4_,comdat
	.globl	_ZL28rocblas_dot_batched_4_kernelIiLi32ELi4ELb0EfDF16_PKPKDF16_EviT5_lT_lS4_lS5_liPT4_ ; -- Begin function _ZL28rocblas_dot_batched_4_kernelIiLi32ELi4ELb0EfDF16_PKPKDF16_EviT5_lT_lS4_lS5_liPT4_
	.p2align	8
	.type	_ZL28rocblas_dot_batched_4_kernelIiLi32ELi4ELb0EfDF16_PKPKDF16_EviT5_lT_lS4_lS5_liPT4_,@function
_ZL28rocblas_dot_batched_4_kernelIiLi32ELi4ELb0EfDF16_PKPKDF16_EviT5_lT_lS4_lS5_liPT4_: ; @_ZL28rocblas_dot_batched_4_kernelIiLi32ELi4ELb0EfDF16_PKPKDF16_EviT5_lT_lS4_lS5_liPT4_
; %bb.0:
	s_load_dword s0, s[4:5], 0x48
	v_bfe_u32 v1, v0, 10, 10
	v_lshl_add_u32 v2, s6, 2, v1
	s_waitcnt lgkmcnt(0)
	v_cmp_gt_u32_e32 vcc, s0, v2
	s_and_saveexec_b64 s[0:1], vcc
	s_cbranch_execz .LBB400_7
; %bb.1:
	s_load_dword s14, s[4:5], 0x0
	s_load_dwordx2 s[6:7], s[4:5], 0x50
	v_mov_b32_e32 v3, 0
	v_and_b32_e32 v6, 0x3ff, v0
	v_mov_b32_e32 v7, v3
	s_waitcnt lgkmcnt(0)
	v_cmp_gt_i32_e32 vcc, s14, v6
	s_and_saveexec_b64 s[12:13], vcc
	s_cbranch_execz .LBB400_5
; %bb.2:
	s_load_dwordx4 s[0:3], s[4:5], 0x8
	s_load_dwordx4 s[8:11], s[4:5], 0x28
	v_lshlrev_b64 v[0:1], 3, v[2:3]
	s_load_dword s16, s[4:5], 0x18
	s_waitcnt lgkmcnt(0)
	v_mov_b32_e32 v5, s1
	v_add_co_u32_e32 v4, vcc, s0, v0
	v_addc_co_u32_e32 v5, vcc, v5, v1, vcc
	global_load_dwordx2 v[4:5], v[4:5], off
	v_mov_b32_e32 v7, s9
	v_add_co_u32_e32 v0, vcc, s8, v0
	v_addc_co_u32_e32 v1, vcc, v7, v1, vcc
	global_load_dwordx2 v[10:11], v[0:1], off
	s_load_dword s4, s[4:5], 0x38
	v_mad_i64_i32 v[0:1], s[8:9], s16, v6, 0
	s_lshl_b64 s[8:9], s[2:3], 1
	v_lshlrev_b64 v[0:1], 1, v[0:1]
	s_waitcnt lgkmcnt(0)
	v_mad_i64_i32 v[8:9], s[2:3], s4, v6, 0
	v_mov_b32_e32 v12, s9
	v_add_co_u32_e32 v0, vcc, s8, v0
	s_lshl_b64 s[10:11], s[10:11], 1
	v_lshlrev_b64 v[8:9], 1, v[8:9]
	v_addc_co_u32_e32 v1, vcc, v1, v12, vcc
	v_mov_b32_e32 v13, s11
	v_add_co_u32_e32 v12, vcc, s10, v8
	v_addc_co_u32_e32 v13, vcc, v9, v13, vcc
	s_ashr_i32 s17, s16, 31
	s_ashr_i32 s5, s4, 31
	s_lshl_b64 s[2:3], s[16:17], 6
	s_lshl_b64 s[4:5], s[4:5], 6
	s_mov_b64 s[0:1], 0
	v_mov_b32_e32 v7, 0
	v_mov_b32_e32 v8, s3
	;; [unrolled: 1-line block ×3, first 2 shown]
	s_waitcnt vmcnt(1)
	v_add_co_u32_e32 v0, vcc, v4, v0
	v_addc_co_u32_e32 v1, vcc, v5, v1, vcc
	s_waitcnt vmcnt(0)
	v_add_co_u32_e32 v4, vcc, v10, v12
	v_addc_co_u32_e32 v5, vcc, v11, v13, vcc
	v_mov_b32_e32 v10, v6
.LBB400_3:                              ; =>This Inner Loop Header: Depth=1
	global_load_ushort v11, v[0:1], off
	global_load_ushort v12, v[4:5], off
	v_add_co_u32_e32 v0, vcc, s2, v0
	v_addc_co_u32_e32 v1, vcc, v1, v8, vcc
	v_add_co_u32_e32 v4, vcc, s4, v4
	v_add_u32_e32 v10, 32, v10
	v_addc_co_u32_e32 v5, vcc, v5, v9, vcc
	v_cmp_le_i32_e32 vcc, s14, v10
	s_or_b64 s[0:1], vcc, s[0:1]
	s_waitcnt vmcnt(0)
	v_fma_mix_f32 v7, v11, v12, v7 op_sel_hi:[1,1,0]
	s_andn2_b64 exec, exec, s[0:1]
	s_cbranch_execnz .LBB400_3
; %bb.4:
	s_or_b64 exec, exec, s[0:1]
.LBB400_5:
	s_or_b64 exec, exec, s[12:13]
	v_mbcnt_lo_u32_b32 v0, -1, 0
	v_mbcnt_hi_u32_b32 v0, -1, v0
	v_and_b32_e32 v1, 63, v0
	v_cmp_gt_u32_e32 vcc, 48, v1
	v_cndmask_b32_e64 v4, 0, 1, vcc
	v_lshlrev_b32_e32 v4, 4, v4
	v_add_lshl_u32 v4, v4, v0, 2
	ds_bpermute_b32 v4, v4, v7
	v_cmp_gt_u32_e32 vcc, 56, v1
	v_cndmask_b32_e64 v5, 0, 1, vcc
	v_lshlrev_b32_e32 v5, 3, v5
	v_add_lshl_u32 v5, v5, v0, 2
	s_waitcnt lgkmcnt(0)
	v_add_f32_e32 v4, v7, v4
	ds_bpermute_b32 v5, v5, v4
	v_cmp_gt_u32_e32 vcc, 60, v1
	v_cndmask_b32_e64 v7, 0, 1, vcc
	v_lshlrev_b32_e32 v7, 2, v7
	v_cmp_gt_u32_e32 vcc, 62, v1
	s_waitcnt lgkmcnt(0)
	v_add_f32_e32 v4, v4, v5
	v_add_lshl_u32 v5, v7, v0, 2
	ds_bpermute_b32 v5, v5, v4
	v_cndmask_b32_e64 v7, 0, 1, vcc
	v_lshlrev_b32_e32 v7, 1, v7
	v_cmp_ne_u32_e32 vcc, 63, v1
	v_addc_co_u32_e32 v1, vcc, 0, v0, vcc
	s_waitcnt lgkmcnt(0)
	v_add_f32_e32 v4, v4, v5
	v_add_lshl_u32 v5, v7, v0, 2
	ds_bpermute_b32 v5, v5, v4
	v_lshlrev_b32_e32 v1, 2, v1
	v_cmp_eq_u32_e32 vcc, 0, v6
	s_waitcnt lgkmcnt(0)
	s_barrier
	v_add_f32_e32 v0, v4, v5
	ds_bpermute_b32 v1, v1, v0
	s_waitcnt lgkmcnt(0)
	s_and_b64 exec, exec, vcc
	s_cbranch_execz .LBB400_7
; %bb.6:
	v_add_f32_e32 v0, v0, v1
	v_cvt_f16_f32_e32 v5, v0
	v_lshlrev_b64 v[2:3], 1, v[2:3]
	v_mov_b32_e32 v4, s7
	v_add_co_u32_e32 v0, vcc, s6, v2
	v_addc_co_u32_e32 v1, vcc, v4, v3, vcc
	global_store_short v[0:1], v5, off
.LBB400_7:
	s_endpgm
	.section	.rodata,"a",@progbits
	.p2align	6, 0x0
	.amdhsa_kernel _ZL28rocblas_dot_batched_4_kernelIiLi32ELi4ELb0EfDF16_PKPKDF16_EviT5_lT_lS4_lS5_liPT4_
		.amdhsa_group_segment_fixed_size 0
		.amdhsa_private_segment_fixed_size 0
		.amdhsa_kernarg_size 88
		.amdhsa_user_sgpr_count 6
		.amdhsa_user_sgpr_private_segment_buffer 1
		.amdhsa_user_sgpr_dispatch_ptr 0
		.amdhsa_user_sgpr_queue_ptr 0
		.amdhsa_user_sgpr_kernarg_segment_ptr 1
		.amdhsa_user_sgpr_dispatch_id 0
		.amdhsa_user_sgpr_flat_scratch_init 0
		.amdhsa_user_sgpr_kernarg_preload_length 0
		.amdhsa_user_sgpr_kernarg_preload_offset 0
		.amdhsa_user_sgpr_private_segment_size 0
		.amdhsa_uses_dynamic_stack 0
		.amdhsa_system_sgpr_private_segment_wavefront_offset 0
		.amdhsa_system_sgpr_workgroup_id_x 1
		.amdhsa_system_sgpr_workgroup_id_y 0
		.amdhsa_system_sgpr_workgroup_id_z 0
		.amdhsa_system_sgpr_workgroup_info 0
		.amdhsa_system_vgpr_workitem_id 1
		.amdhsa_next_free_vgpr 14
		.amdhsa_next_free_sgpr 18
		.amdhsa_accum_offset 16
		.amdhsa_reserve_vcc 1
		.amdhsa_reserve_flat_scratch 0
		.amdhsa_float_round_mode_32 0
		.amdhsa_float_round_mode_16_64 0
		.amdhsa_float_denorm_mode_32 3
		.amdhsa_float_denorm_mode_16_64 3
		.amdhsa_dx10_clamp 1
		.amdhsa_ieee_mode 1
		.amdhsa_fp16_overflow 0
		.amdhsa_tg_split 0
		.amdhsa_exception_fp_ieee_invalid_op 0
		.amdhsa_exception_fp_denorm_src 0
		.amdhsa_exception_fp_ieee_div_zero 0
		.amdhsa_exception_fp_ieee_overflow 0
		.amdhsa_exception_fp_ieee_underflow 0
		.amdhsa_exception_fp_ieee_inexact 0
		.amdhsa_exception_int_div_zero 0
	.end_amdhsa_kernel
	.section	.text._ZL28rocblas_dot_batched_4_kernelIiLi32ELi4ELb0EfDF16_PKPKDF16_EviT5_lT_lS4_lS5_liPT4_,"axG",@progbits,_ZL28rocblas_dot_batched_4_kernelIiLi32ELi4ELb0EfDF16_PKPKDF16_EviT5_lT_lS4_lS5_liPT4_,comdat
.Lfunc_end400:
	.size	_ZL28rocblas_dot_batched_4_kernelIiLi32ELi4ELb0EfDF16_PKPKDF16_EviT5_lT_lS4_lS5_liPT4_, .Lfunc_end400-_ZL28rocblas_dot_batched_4_kernelIiLi32ELi4ELb0EfDF16_PKPKDF16_EviT5_lT_lS4_lS5_liPT4_
                                        ; -- End function
	.section	.AMDGPU.csdata,"",@progbits
; Kernel info:
; codeLenInByte = 632
; NumSgprs: 22
; NumVgprs: 14
; NumAgprs: 0
; TotalNumVgprs: 14
; ScratchSize: 0
; MemoryBound: 0
; FloatMode: 240
; IeeeMode: 1
; LDSByteSize: 0 bytes/workgroup (compile time only)
; SGPRBlocks: 2
; VGPRBlocks: 1
; NumSGPRsForWavesPerEU: 22
; NumVGPRsForWavesPerEU: 14
; AccumOffset: 16
; Occupancy: 8
; WaveLimiterHint : 0
; COMPUTE_PGM_RSRC2:SCRATCH_EN: 0
; COMPUTE_PGM_RSRC2:USER_SGPR: 6
; COMPUTE_PGM_RSRC2:TRAP_HANDLER: 0
; COMPUTE_PGM_RSRC2:TGID_X_EN: 1
; COMPUTE_PGM_RSRC2:TGID_Y_EN: 0
; COMPUTE_PGM_RSRC2:TGID_Z_EN: 0
; COMPUTE_PGM_RSRC2:TIDIG_COMP_CNT: 1
; COMPUTE_PGM_RSRC3_GFX90A:ACCUM_OFFSET: 3
; COMPUTE_PGM_RSRC3_GFX90A:TG_SPLIT: 0
	.section	.text._ZL28rocblas_dot_batched_4_kernelIiLi64ELi4ELb0EfDF16_PKPKDF16_EviT5_lT_lS4_lS5_liPT4_,"axG",@progbits,_ZL28rocblas_dot_batched_4_kernelIiLi64ELi4ELb0EfDF16_PKPKDF16_EviT5_lT_lS4_lS5_liPT4_,comdat
	.globl	_ZL28rocblas_dot_batched_4_kernelIiLi64ELi4ELb0EfDF16_PKPKDF16_EviT5_lT_lS4_lS5_liPT4_ ; -- Begin function _ZL28rocblas_dot_batched_4_kernelIiLi64ELi4ELb0EfDF16_PKPKDF16_EviT5_lT_lS4_lS5_liPT4_
	.p2align	8
	.type	_ZL28rocblas_dot_batched_4_kernelIiLi64ELi4ELb0EfDF16_PKPKDF16_EviT5_lT_lS4_lS5_liPT4_,@function
_ZL28rocblas_dot_batched_4_kernelIiLi64ELi4ELb0EfDF16_PKPKDF16_EviT5_lT_lS4_lS5_liPT4_: ; @_ZL28rocblas_dot_batched_4_kernelIiLi64ELi4ELb0EfDF16_PKPKDF16_EviT5_lT_lS4_lS5_liPT4_
; %bb.0:
	s_load_dword s0, s[4:5], 0x48
	v_bfe_u32 v1, v0, 10, 10
	v_lshl_add_u32 v2, s6, 2, v1
	s_waitcnt lgkmcnt(0)
	v_cmp_gt_u32_e32 vcc, s0, v2
	s_and_saveexec_b64 s[0:1], vcc
	s_cbranch_execz .LBB401_7
; %bb.1:
	s_load_dword s14, s[4:5], 0x0
	s_load_dwordx2 s[6:7], s[4:5], 0x50
	v_mov_b32_e32 v3, 0
	v_and_b32_e32 v6, 0x3ff, v0
	v_mov_b32_e32 v7, v3
	s_waitcnt lgkmcnt(0)
	v_cmp_gt_i32_e32 vcc, s14, v6
	s_and_saveexec_b64 s[12:13], vcc
	s_cbranch_execz .LBB401_5
; %bb.2:
	s_load_dwordx4 s[0:3], s[4:5], 0x8
	s_load_dwordx4 s[8:11], s[4:5], 0x28
	v_lshlrev_b64 v[0:1], 3, v[2:3]
	s_load_dword s16, s[4:5], 0x18
	s_waitcnt lgkmcnt(0)
	v_mov_b32_e32 v5, s1
	v_add_co_u32_e32 v4, vcc, s0, v0
	v_addc_co_u32_e32 v5, vcc, v5, v1, vcc
	global_load_dwordx2 v[4:5], v[4:5], off
	v_mov_b32_e32 v7, s9
	v_add_co_u32_e32 v0, vcc, s8, v0
	v_addc_co_u32_e32 v1, vcc, v7, v1, vcc
	global_load_dwordx2 v[10:11], v[0:1], off
	s_load_dword s4, s[4:5], 0x38
	v_mad_i64_i32 v[0:1], s[8:9], s16, v6, 0
	s_lshl_b64 s[8:9], s[2:3], 1
	v_lshlrev_b64 v[0:1], 1, v[0:1]
	s_waitcnt lgkmcnt(0)
	v_mad_i64_i32 v[8:9], s[2:3], s4, v6, 0
	v_mov_b32_e32 v12, s9
	v_add_co_u32_e32 v0, vcc, s8, v0
	s_lshl_b64 s[10:11], s[10:11], 1
	v_lshlrev_b64 v[8:9], 1, v[8:9]
	v_addc_co_u32_e32 v1, vcc, v1, v12, vcc
	v_mov_b32_e32 v13, s11
	v_add_co_u32_e32 v12, vcc, s10, v8
	v_addc_co_u32_e32 v13, vcc, v9, v13, vcc
	s_ashr_i32 s17, s16, 31
	s_ashr_i32 s5, s4, 31
	s_lshl_b64 s[2:3], s[16:17], 7
	s_lshl_b64 s[4:5], s[4:5], 7
	s_mov_b64 s[0:1], 0
	v_mov_b32_e32 v7, 0
	v_mov_b32_e32 v8, s3
	;; [unrolled: 1-line block ×3, first 2 shown]
	s_waitcnt vmcnt(1)
	v_add_co_u32_e32 v0, vcc, v4, v0
	v_addc_co_u32_e32 v1, vcc, v5, v1, vcc
	s_waitcnt vmcnt(0)
	v_add_co_u32_e32 v4, vcc, v10, v12
	v_addc_co_u32_e32 v5, vcc, v11, v13, vcc
	v_mov_b32_e32 v10, v6
.LBB401_3:                              ; =>This Inner Loop Header: Depth=1
	global_load_ushort v11, v[0:1], off
	global_load_ushort v12, v[4:5], off
	v_add_co_u32_e32 v0, vcc, s2, v0
	v_addc_co_u32_e32 v1, vcc, v1, v8, vcc
	v_add_co_u32_e32 v4, vcc, s4, v4
	v_add_u32_e32 v10, 64, v10
	v_addc_co_u32_e32 v5, vcc, v5, v9, vcc
	v_cmp_le_i32_e32 vcc, s14, v10
	s_or_b64 s[0:1], vcc, s[0:1]
	s_waitcnt vmcnt(0)
	v_fma_mix_f32 v7, v11, v12, v7 op_sel_hi:[1,1,0]
	s_andn2_b64 exec, exec, s[0:1]
	s_cbranch_execnz .LBB401_3
; %bb.4:
	s_or_b64 exec, exec, s[0:1]
.LBB401_5:
	s_or_b64 exec, exec, s[12:13]
	v_mbcnt_lo_u32_b32 v0, -1, 0
	v_mbcnt_hi_u32_b32 v0, -1, v0
	v_and_b32_e32 v1, 63, v0
	v_cmp_gt_u32_e32 vcc, 32, v1
	v_cndmask_b32_e64 v4, 0, 1, vcc
	v_lshlrev_b32_e32 v4, 5, v4
	v_add_lshl_u32 v4, v4, v0, 2
	ds_bpermute_b32 v4, v4, v7
	v_cmp_gt_u32_e32 vcc, 48, v1
	v_cndmask_b32_e64 v5, 0, 1, vcc
	v_lshlrev_b32_e32 v5, 4, v5
	v_add_lshl_u32 v5, v5, v0, 2
	s_waitcnt lgkmcnt(0)
	v_add_f32_e32 v4, v7, v4
	ds_bpermute_b32 v5, v5, v4
	v_cmp_gt_u32_e32 vcc, 56, v1
	v_cndmask_b32_e64 v7, 0, 1, vcc
	v_lshlrev_b32_e32 v7, 3, v7
	v_cmp_gt_u32_e32 vcc, 60, v1
	s_waitcnt lgkmcnt(0)
	v_add_f32_e32 v4, v4, v5
	v_add_lshl_u32 v5, v7, v0, 2
	ds_bpermute_b32 v5, v5, v4
	v_cndmask_b32_e64 v7, 0, 1, vcc
	v_lshlrev_b32_e32 v7, 2, v7
	v_cmp_gt_u32_e32 vcc, 62, v1
	s_waitcnt lgkmcnt(0)
	v_add_f32_e32 v4, v4, v5
	v_add_lshl_u32 v5, v7, v0, 2
	ds_bpermute_b32 v5, v5, v4
	v_cndmask_b32_e64 v7, 0, 1, vcc
	v_lshlrev_b32_e32 v7, 1, v7
	v_cmp_ne_u32_e32 vcc, 63, v1
	v_addc_co_u32_e32 v1, vcc, 0, v0, vcc
	s_waitcnt lgkmcnt(0)
	v_add_f32_e32 v4, v4, v5
	v_add_lshl_u32 v5, v7, v0, 2
	ds_bpermute_b32 v5, v5, v4
	v_lshlrev_b32_e32 v1, 2, v1
	v_cmp_eq_u32_e32 vcc, 0, v6
	s_barrier
	s_waitcnt lgkmcnt(0)
	v_add_f32_e32 v0, v4, v5
	ds_bpermute_b32 v1, v1, v0
	s_and_b64 exec, exec, vcc
	s_cbranch_execz .LBB401_7
; %bb.6:
	s_waitcnt lgkmcnt(0)
	v_add_f32_e32 v0, v0, v1
	v_cvt_f16_f32_e32 v5, v0
	v_lshlrev_b64 v[2:3], 1, v[2:3]
	v_mov_b32_e32 v4, s7
	v_add_co_u32_e32 v0, vcc, s6, v2
	v_addc_co_u32_e32 v1, vcc, v4, v3, vcc
	global_store_short v[0:1], v5, off
.LBB401_7:
	s_endpgm
	.section	.rodata,"a",@progbits
	.p2align	6, 0x0
	.amdhsa_kernel _ZL28rocblas_dot_batched_4_kernelIiLi64ELi4ELb0EfDF16_PKPKDF16_EviT5_lT_lS4_lS5_liPT4_
		.amdhsa_group_segment_fixed_size 0
		.amdhsa_private_segment_fixed_size 0
		.amdhsa_kernarg_size 88
		.amdhsa_user_sgpr_count 6
		.amdhsa_user_sgpr_private_segment_buffer 1
		.amdhsa_user_sgpr_dispatch_ptr 0
		.amdhsa_user_sgpr_queue_ptr 0
		.amdhsa_user_sgpr_kernarg_segment_ptr 1
		.amdhsa_user_sgpr_dispatch_id 0
		.amdhsa_user_sgpr_flat_scratch_init 0
		.amdhsa_user_sgpr_kernarg_preload_length 0
		.amdhsa_user_sgpr_kernarg_preload_offset 0
		.amdhsa_user_sgpr_private_segment_size 0
		.amdhsa_uses_dynamic_stack 0
		.amdhsa_system_sgpr_private_segment_wavefront_offset 0
		.amdhsa_system_sgpr_workgroup_id_x 1
		.amdhsa_system_sgpr_workgroup_id_y 0
		.amdhsa_system_sgpr_workgroup_id_z 0
		.amdhsa_system_sgpr_workgroup_info 0
		.amdhsa_system_vgpr_workitem_id 1
		.amdhsa_next_free_vgpr 14
		.amdhsa_next_free_sgpr 18
		.amdhsa_accum_offset 16
		.amdhsa_reserve_vcc 1
		.amdhsa_reserve_flat_scratch 0
		.amdhsa_float_round_mode_32 0
		.amdhsa_float_round_mode_16_64 0
		.amdhsa_float_denorm_mode_32 3
		.amdhsa_float_denorm_mode_16_64 3
		.amdhsa_dx10_clamp 1
		.amdhsa_ieee_mode 1
		.amdhsa_fp16_overflow 0
		.amdhsa_tg_split 0
		.amdhsa_exception_fp_ieee_invalid_op 0
		.amdhsa_exception_fp_denorm_src 0
		.amdhsa_exception_fp_ieee_div_zero 0
		.amdhsa_exception_fp_ieee_overflow 0
		.amdhsa_exception_fp_ieee_underflow 0
		.amdhsa_exception_fp_ieee_inexact 0
		.amdhsa_exception_int_div_zero 0
	.end_amdhsa_kernel
	.section	.text._ZL28rocblas_dot_batched_4_kernelIiLi64ELi4ELb0EfDF16_PKPKDF16_EviT5_lT_lS4_lS5_liPT4_,"axG",@progbits,_ZL28rocblas_dot_batched_4_kernelIiLi64ELi4ELb0EfDF16_PKPKDF16_EviT5_lT_lS4_lS5_liPT4_,comdat
.Lfunc_end401:
	.size	_ZL28rocblas_dot_batched_4_kernelIiLi64ELi4ELb0EfDF16_PKPKDF16_EviT5_lT_lS4_lS5_liPT4_, .Lfunc_end401-_ZL28rocblas_dot_batched_4_kernelIiLi64ELi4ELb0EfDF16_PKPKDF16_EviT5_lT_lS4_lS5_liPT4_
                                        ; -- End function
	.section	.AMDGPU.csdata,"",@progbits
; Kernel info:
; codeLenInByte = 672
; NumSgprs: 22
; NumVgprs: 14
; NumAgprs: 0
; TotalNumVgprs: 14
; ScratchSize: 0
; MemoryBound: 0
; FloatMode: 240
; IeeeMode: 1
; LDSByteSize: 0 bytes/workgroup (compile time only)
; SGPRBlocks: 2
; VGPRBlocks: 1
; NumSGPRsForWavesPerEU: 22
; NumVGPRsForWavesPerEU: 14
; AccumOffset: 16
; Occupancy: 8
; WaveLimiterHint : 0
; COMPUTE_PGM_RSRC2:SCRATCH_EN: 0
; COMPUTE_PGM_RSRC2:USER_SGPR: 6
; COMPUTE_PGM_RSRC2:TRAP_HANDLER: 0
; COMPUTE_PGM_RSRC2:TGID_X_EN: 1
; COMPUTE_PGM_RSRC2:TGID_Y_EN: 0
; COMPUTE_PGM_RSRC2:TGID_Z_EN: 0
; COMPUTE_PGM_RSRC2:TIDIG_COMP_CNT: 1
; COMPUTE_PGM_RSRC3_GFX90A:ACCUM_OFFSET: 3
; COMPUTE_PGM_RSRC3_GFX90A:TG_SPLIT: 0
	.section	.text._ZL26rocblas_dot_kernel_inc1by2ILb1ELi1024ELi32ELb0EDF16_PKPKDF16_fEviT4_llS4_lliPT5_PT3_,"axG",@progbits,_ZL26rocblas_dot_kernel_inc1by2ILb1ELi1024ELi32ELb0EDF16_PKPKDF16_fEviT4_llS4_lliPT5_PT3_,comdat
	.globl	_ZL26rocblas_dot_kernel_inc1by2ILb1ELi1024ELi32ELb0EDF16_PKPKDF16_fEviT4_llS4_lliPT5_PT3_ ; -- Begin function _ZL26rocblas_dot_kernel_inc1by2ILb1ELi1024ELi32ELb0EDF16_PKPKDF16_fEviT4_llS4_lliPT5_PT3_
	.p2align	8
	.type	_ZL26rocblas_dot_kernel_inc1by2ILb1ELi1024ELi32ELb0EDF16_PKPKDF16_fEviT4_llS4_lliPT5_PT3_,@function
_ZL26rocblas_dot_kernel_inc1by2ILb1ELi1024ELi32ELb0EDF16_PKPKDF16_fEviT4_llS4_lliPT5_PT3_: ; @_ZL26rocblas_dot_kernel_inc1by2ILb1ELi1024ELi32ELb0EDF16_PKPKDF16_fEviT4_llS4_lliPT5_PT3_
; %bb.0:
	s_load_dword s20, s[4:5], 0x0
	s_load_dwordx4 s[0:3], s[4:5], 0x8
	s_load_dwordx2 s[12:13], s[4:5], 0x48
	s_load_dwordx4 s[8:11], s[4:5], 0x20
	s_mov_b32 s6, s7
	s_mov_b32 s7, 0
	s_lshl_b64 s[14:15], s[6:7], 3
	s_waitcnt lgkmcnt(0)
	s_add_u32 s0, s0, s14
	s_addc_u32 s1, s1, s15
	s_load_dwordx2 s[4:5], s[0:1], 0x0
	s_add_u32 s0, s8, s14
	s_addc_u32 s1, s9, s15
	s_load_dwordx2 s[14:15], s[0:1], 0x0
	v_lshlrev_b32_e32 v6, 1, v0
	s_add_i32 s8, s20, -1
	v_cmp_gt_i32_e32 vcc, s8, v6
	v_mov_b32_e32 v1, 0
	s_and_saveexec_b64 s[16:17], vcc
	s_cbranch_execz .LBB402_4
; %bb.1:
	s_lshl_b64 s[0:1], s[10:11], 1
	s_waitcnt lgkmcnt(0)
	s_add_u32 s0, s14, s0
	v_lshlrev_b32_e32 v4, 2, v0
	s_addc_u32 s1, s15, s1
	v_mov_b32_e32 v3, s1
	v_add_co_u32_e32 v2, vcc, s0, v4
	s_lshl_b64 s[0:1], s[2:3], 1
	s_add_u32 s0, s4, s0
	v_addc_co_u32_e32 v3, vcc, 0, v3, vcc
	s_addc_u32 s1, s5, s1
	v_mov_b32_e32 v5, s1
	v_add_co_u32_e32 v4, vcc, s0, v4
	v_mov_b32_e32 v1, 0
	v_addc_co_u32_e32 v5, vcc, 0, v5, vcc
	s_mov_b64 s[18:19], 0
	s_mov_b32 s9, s7
.LBB402_2:                              ; =>This Inner Loop Header: Depth=1
	global_load_dword v7, v[2:3], off
	global_load_dword v10, v[4:5], off
	s_add_i32 s21, s9, 1
	v_add_u32_e32 v6, 0x800, v6
	s_cmp_gt_u32 s9, 30
	v_add_co_u32_e32 v2, vcc, 0x1000, v2
	v_cmp_le_i32_e64 s[0:1], s8, v6
	s_cselect_b64 s[22:23], -1, 0
	v_addc_co_u32_e32 v3, vcc, 0, v3, vcc
	s_or_b64 s[0:1], s[22:23], s[0:1]
	v_add_co_u32_e32 v4, vcc, 0x1000, v4
	s_and_b64 s[0:1], exec, s[0:1]
	s_mov_b32 s9, s21
	v_addc_co_u32_e32 v5, vcc, 0, v5, vcc
	s_or_b64 s[18:19], s[0:1], s[18:19]
	s_waitcnt vmcnt(1)
	v_cvt_f32_f16_sdwa v9, v7 dst_sel:DWORD dst_unused:UNUSED_PAD src0_sel:WORD_1
	v_cvt_f32_f16_e32 v8, v7
	s_waitcnt vmcnt(0)
	v_cvt_f32_f16_sdwa v11, v10 dst_sel:DWORD dst_unused:UNUSED_PAD src0_sel:WORD_1
	v_cvt_f32_f16_e32 v10, v10
	v_pk_mul_f32 v[8:9], v[8:9], v[10:11]
	v_add_f32_e32 v1, v1, v8
	v_add_f32_e32 v1, v1, v9
	s_andn2_b64 exec, exec, s[18:19]
	s_cbranch_execnz .LBB402_2
; %bb.3:
	s_or_b64 exec, exec, s[18:19]
.LBB402_4:
	s_or_b64 exec, exec, s[16:17]
	s_bitcmp1_b32 s20, 0
	s_cselect_b64 s[0:1], -1, 0
	v_cmp_eq_u32_e32 vcc, s8, v6
	s_and_b64 s[16:17], s[0:1], vcc
	s_and_saveexec_b64 s[0:1], s[16:17]
	s_cbranch_execz .LBB402_6
; %bb.5:
	s_lshl_b64 s[2:3], s[2:3], 1
	s_waitcnt lgkmcnt(0)
	s_add_u32 s16, s4, s2
	s_addc_u32 s17, s5, s3
	s_lshl_b64 s[2:3], s[10:11], 1
	s_add_u32 s4, s14, s2
	s_mov_b32 s9, 0
	s_addc_u32 s5, s15, s3
	s_lshl_b64 s[2:3], s[8:9], 1
	s_add_u32 s4, s4, s2
	s_addc_u32 s5, s5, s3
	v_mov_b32_e32 v2, 0
	s_add_u32 s2, s16, s2
	s_addc_u32 s3, s17, s3
	global_load_ushort v3, v2, s[4:5]
	global_load_ushort v4, v2, s[2:3]
	s_waitcnt vmcnt(0)
	v_fma_mix_f32 v1, v3, v4, v1 op_sel_hi:[1,1,0]
.LBB402_6:
	s_or_b64 exec, exec, s[0:1]
	v_and_b32_e32 v3, 63, v0
	v_cmp_gt_u32_e32 vcc, 64, v0
	v_lshlrev_b32_e32 v2, 2, v3
	s_and_saveexec_b64 s[0:1], vcc
	s_cbranch_execz .LBB402_8
; %bb.7:
	v_mov_b32_e32 v4, 0
	ds_write_b32 v2, v4
.LBB402_8:
	s_or_b64 exec, exec, s[0:1]
	v_mbcnt_lo_u32_b32 v4, -1, 0
	v_mbcnt_hi_u32_b32 v6, -1, v4
	v_and_b32_e32 v7, 63, v6
	v_cmp_gt_u32_e64 s[0:1], 32, v7
	v_cndmask_b32_e64 v4, 0, 1, s[0:1]
	v_lshlrev_b32_e32 v4, 5, v4
	v_add_lshl_u32 v4, v4, v6, 2
	ds_bpermute_b32 v4, v4, v1
	v_cmp_gt_u32_e64 s[0:1], 48, v7
	v_cndmask_b32_e64 v5, 0, 1, s[0:1]
	v_lshlrev_b32_e32 v5, 4, v5
	v_cmp_gt_u32_e64 s[0:1], 56, v7
	s_waitcnt lgkmcnt(0)
	v_add_f32_e32 v1, v1, v4
	v_add_lshl_u32 v4, v5, v6, 2
	ds_bpermute_b32 v4, v4, v1
	v_cndmask_b32_e64 v5, 0, 1, s[0:1]
	v_lshlrev_b32_e32 v5, 3, v5
	v_cmp_gt_u32_e64 s[0:1], 60, v7
	v_cndmask_b32_e64 v8, 0, 1, s[0:1]
	s_waitcnt lgkmcnt(0)
	v_add_f32_e32 v4, v1, v4
	v_add_lshl_u32 v1, v5, v6, 2
	ds_bpermute_b32 v5, v1, v4
	v_lshlrev_b32_e32 v8, 2, v8
	v_cmp_gt_u32_e64 s[0:1], 62, v7
	v_cndmask_b32_e64 v9, 0, 1, s[0:1]
	v_lshlrev_b32_e32 v9, 1, v9
	s_waitcnt lgkmcnt(0)
	v_add_f32_e32 v5, v4, v5
	v_add_lshl_u32 v4, v8, v6, 2
	ds_bpermute_b32 v8, v4, v5
	v_cmp_ne_u32_e64 s[0:1], 63, v7
	s_waitcnt lgkmcnt(0)
	s_barrier
	v_add_f32_e32 v8, v5, v8
	v_add_lshl_u32 v5, v9, v6, 2
	ds_bpermute_b32 v9, v5, v8
	v_addc_co_u32_e64 v6, s[0:1], 0, v6, s[0:1]
	v_lshlrev_b32_e32 v6, 2, v6
	v_cmp_eq_u32_e64 s[0:1], 0, v3
	s_waitcnt lgkmcnt(0)
	v_add_f32_e32 v7, v8, v9
	ds_bpermute_b32 v8, v6, v7
	s_and_saveexec_b64 s[2:3], s[0:1]
	s_cbranch_execz .LBB402_10
; %bb.9:
	s_waitcnt lgkmcnt(0)
	v_add_f32_e32 v3, v7, v8
	v_lshrrev_b32_e32 v7, 4, v0
	v_and_b32_e32 v7, 60, v7
	ds_write_b32 v7, v3
.LBB402_10:
	s_or_b64 exec, exec, s[2:3]
	v_cmp_gt_u32_e64 s[0:1], 16, v0
	v_mov_b32_e32 v3, 0
	s_waitcnt lgkmcnt(0)
	s_barrier
	s_and_saveexec_b64 s[2:3], s[0:1]
	s_cbranch_execnz .LBB402_14
; %bb.11:
	s_or_b64 exec, exec, s[2:3]
	s_and_saveexec_b64 s[0:1], vcc
	s_cbranch_execnz .LBB402_15
.LBB402_12:
	s_or_b64 exec, exec, s[0:1]
	v_cmp_eq_u32_e32 vcc, 0, v0
	s_and_saveexec_b64 s[0:1], vcc
	s_cbranch_execnz .LBB402_16
.LBB402_13:
	s_endpgm
.LBB402_14:
	ds_read_b32 v3, v2
	s_or_b64 exec, exec, s[2:3]
	s_and_saveexec_b64 s[0:1], vcc
	s_cbranch_execz .LBB402_12
.LBB402_15:
	s_waitcnt lgkmcnt(0)
	ds_bpermute_b32 v1, v1, v3
	s_waitcnt lgkmcnt(0)
	v_add_f32_e32 v1, v3, v1
	ds_bpermute_b32 v2, v4, v1
	s_waitcnt lgkmcnt(0)
	v_add_f32_e32 v1, v1, v2
	;; [unrolled: 3-line block ×4, first 2 shown]
	s_or_b64 exec, exec, s[0:1]
	v_cmp_eq_u32_e32 vcc, 0, v0
	s_and_saveexec_b64 s[0:1], vcc
	s_cbranch_execz .LBB402_13
.LBB402_16:
	s_waitcnt lgkmcnt(0)
	v_cvt_f16_f32_e32 v0, v3
	s_lshl_b64 s[0:1], s[6:7], 1
	s_add_u32 s0, s12, s0
	s_addc_u32 s1, s13, s1
	v_mov_b32_e32 v1, 0
	global_store_short v1, v0, s[0:1]
	s_endpgm
	.section	.rodata,"a",@progbits
	.p2align	6, 0x0
	.amdhsa_kernel _ZL26rocblas_dot_kernel_inc1by2ILb1ELi1024ELi32ELb0EDF16_PKPKDF16_fEviT4_llS4_lliPT5_PT3_
		.amdhsa_group_segment_fixed_size 256
		.amdhsa_private_segment_fixed_size 0
		.amdhsa_kernarg_size 80
		.amdhsa_user_sgpr_count 6
		.amdhsa_user_sgpr_private_segment_buffer 1
		.amdhsa_user_sgpr_dispatch_ptr 0
		.amdhsa_user_sgpr_queue_ptr 0
		.amdhsa_user_sgpr_kernarg_segment_ptr 1
		.amdhsa_user_sgpr_dispatch_id 0
		.amdhsa_user_sgpr_flat_scratch_init 0
		.amdhsa_user_sgpr_kernarg_preload_length 0
		.amdhsa_user_sgpr_kernarg_preload_offset 0
		.amdhsa_user_sgpr_private_segment_size 0
		.amdhsa_uses_dynamic_stack 0
		.amdhsa_system_sgpr_private_segment_wavefront_offset 0
		.amdhsa_system_sgpr_workgroup_id_x 1
		.amdhsa_system_sgpr_workgroup_id_y 0
		.amdhsa_system_sgpr_workgroup_id_z 1
		.amdhsa_system_sgpr_workgroup_info 0
		.amdhsa_system_vgpr_workitem_id 0
		.amdhsa_next_free_vgpr 12
		.amdhsa_next_free_sgpr 24
		.amdhsa_accum_offset 12
		.amdhsa_reserve_vcc 1
		.amdhsa_reserve_flat_scratch 0
		.amdhsa_float_round_mode_32 0
		.amdhsa_float_round_mode_16_64 0
		.amdhsa_float_denorm_mode_32 3
		.amdhsa_float_denorm_mode_16_64 3
		.amdhsa_dx10_clamp 1
		.amdhsa_ieee_mode 1
		.amdhsa_fp16_overflow 0
		.amdhsa_tg_split 0
		.amdhsa_exception_fp_ieee_invalid_op 0
		.amdhsa_exception_fp_denorm_src 0
		.amdhsa_exception_fp_ieee_div_zero 0
		.amdhsa_exception_fp_ieee_overflow 0
		.amdhsa_exception_fp_ieee_underflow 0
		.amdhsa_exception_fp_ieee_inexact 0
		.amdhsa_exception_int_div_zero 0
	.end_amdhsa_kernel
	.section	.text._ZL26rocblas_dot_kernel_inc1by2ILb1ELi1024ELi32ELb0EDF16_PKPKDF16_fEviT4_llS4_lliPT5_PT3_,"axG",@progbits,_ZL26rocblas_dot_kernel_inc1by2ILb1ELi1024ELi32ELb0EDF16_PKPKDF16_fEviT4_llS4_lliPT5_PT3_,comdat
.Lfunc_end402:
	.size	_ZL26rocblas_dot_kernel_inc1by2ILb1ELi1024ELi32ELb0EDF16_PKPKDF16_fEviT4_llS4_lliPT5_PT3_, .Lfunc_end402-_ZL26rocblas_dot_kernel_inc1by2ILb1ELi1024ELi32ELb0EDF16_PKPKDF16_fEviT4_llS4_lliPT5_PT3_
                                        ; -- End function
	.section	.AMDGPU.csdata,"",@progbits
; Kernel info:
; codeLenInByte = 984
; NumSgprs: 28
; NumVgprs: 12
; NumAgprs: 0
; TotalNumVgprs: 12
; ScratchSize: 0
; MemoryBound: 0
; FloatMode: 240
; IeeeMode: 1
; LDSByteSize: 256 bytes/workgroup (compile time only)
; SGPRBlocks: 3
; VGPRBlocks: 1
; NumSGPRsForWavesPerEU: 28
; NumVGPRsForWavesPerEU: 12
; AccumOffset: 12
; Occupancy: 8
; WaveLimiterHint : 1
; COMPUTE_PGM_RSRC2:SCRATCH_EN: 0
; COMPUTE_PGM_RSRC2:USER_SGPR: 6
; COMPUTE_PGM_RSRC2:TRAP_HANDLER: 0
; COMPUTE_PGM_RSRC2:TGID_X_EN: 1
; COMPUTE_PGM_RSRC2:TGID_Y_EN: 0
; COMPUTE_PGM_RSRC2:TGID_Z_EN: 1
; COMPUTE_PGM_RSRC2:TIDIG_COMP_CNT: 0
; COMPUTE_PGM_RSRC3_GFX90A:ACCUM_OFFSET: 2
; COMPUTE_PGM_RSRC3_GFX90A:TG_SPLIT: 0
	.section	.text._ZL18rocblas_dot_kernelIiLb1ELi1024ELi32ELb0EDF16_PKPKDF16_fEviT5_lT_lS4_lS5_liPT6_PT4_,"axG",@progbits,_ZL18rocblas_dot_kernelIiLb1ELi1024ELi32ELb0EDF16_PKPKDF16_fEviT5_lT_lS4_lS5_liPT6_PT4_,comdat
	.globl	_ZL18rocblas_dot_kernelIiLb1ELi1024ELi32ELb0EDF16_PKPKDF16_fEviT5_lT_lS4_lS5_liPT6_PT4_ ; -- Begin function _ZL18rocblas_dot_kernelIiLb1ELi1024ELi32ELb0EDF16_PKPKDF16_fEviT5_lT_lS4_lS5_liPT6_PT4_
	.p2align	8
	.type	_ZL18rocblas_dot_kernelIiLb1ELi1024ELi32ELb0EDF16_PKPKDF16_fEviT5_lT_lS4_lS5_liPT6_PT4_,@function
_ZL18rocblas_dot_kernelIiLb1ELi1024ELi32ELb0EDF16_PKPKDF16_fEviT5_lT_lS4_lS5_liPT6_PT4_: ; @_ZL18rocblas_dot_kernelIiLb1ELi1024ELi32ELb0EDF16_PKPKDF16_fEviT5_lT_lS4_lS5_liPT6_PT4_
; %bb.0:
	s_mov_b32 s2, s7
	s_load_dword s14, s[4:5], 0x0
	s_load_dwordx2 s[6:7], s[4:5], 0x58
	s_mov_b32 s3, 0
	v_mov_b32_e32 v1, 0
	s_waitcnt lgkmcnt(0)
	v_cmp_gt_i32_e32 vcc, s14, v0
	s_and_saveexec_b64 s[8:9], vcc
	s_cbranch_execz .LBB403_4
; %bb.1:
	s_load_dwordx4 s[16:19], s[4:5], 0x8
	s_load_dword s24, s[4:5], 0x18
	s_load_dwordx4 s[20:23], s[4:5], 0x28
	s_lshl_b64 s[0:1], s[2:3], 3
	s_waitcnt lgkmcnt(0)
	s_add_u32 s10, s16, s0
	s_addc_u32 s11, s17, s1
	s_load_dword s16, s[4:5], 0x38
	s_load_dword s15, s[4:5], 0x60
	s_load_dwordx2 s[12:13], s[10:11], 0x0
	s_add_u32 s0, s20, s0
	s_addc_u32 s1, s21, s1
	v_mad_i64_i32 v[2:3], s[4:5], s24, v0, 0
	s_load_dwordx2 s[0:1], s[0:1], 0x0
	s_waitcnt lgkmcnt(0)
	s_lshl_b32 s15, s15, 10
	s_lshl_b64 s[4:5], s[18:19], 1
	s_add_u32 s4, s12, s4
	v_lshlrev_b64 v[2:3], 1, v[2:3]
	s_addc_u32 s5, s13, s5
	v_mov_b32_e32 v1, s5
	v_add_co_u32_e32 v2, vcc, s4, v2
	s_mul_hi_i32 s5, s24, s15
	s_mul_i32 s4, s24, s15
	v_mad_i64_i32 v[4:5], s[10:11], s16, v0, 0
	s_lshl_b64 s[4:5], s[4:5], 1
	s_lshl_b64 s[10:11], s[22:23], 1
	s_add_u32 s0, s0, s10
	v_addc_co_u32_e32 v3, vcc, v1, v3, vcc
	v_lshlrev_b64 v[4:5], 1, v[4:5]
	s_addc_u32 s1, s1, s11
	v_mov_b32_e32 v1, s1
	v_add_co_u32_e32 v4, vcc, s0, v4
	s_mul_hi_i32 s1, s16, s15
	s_mul_i32 s0, s16, s15
	s_lshl_b64 s[12:13], s[0:1], 1
	v_or_b32_e32 v6, s15, v0
	v_addc_co_u32_e32 v5, vcc, v1, v5, vcc
	s_mov_b64 s[10:11], 0
	v_mov_b32_e32 v1, 0
	v_mov_b32_e32 v7, s5
	;; [unrolled: 1-line block ×3, first 2 shown]
	s_mov_b32 s5, s3
.LBB403_2:                              ; =>This Inner Loop Header: Depth=1
	global_load_ushort v9, v[4:5], off
	global_load_ushort v10, v[2:3], off
	v_add_co_u32_e64 v2, s[0:1], s4, v2
	v_addc_co_u32_e64 v3, s[0:1], v3, v7, s[0:1]
	s_add_i32 s13, s5, 1
	v_add_co_u32_e64 v4, s[0:1], s12, v4
	v_addc_co_u32_e64 v5, s[0:1], v5, v8, s[0:1]
	s_cmp_gt_u32 s5, 30
	v_cmp_le_i32_e32 vcc, s14, v6
	s_cselect_b64 s[0:1], -1, 0
	s_or_b64 s[0:1], s[0:1], vcc
	s_and_b64 s[0:1], exec, s[0:1]
	v_add_u32_e32 v6, s15, v6
	s_mov_b32 s5, s13
	s_or_b64 s[10:11], s[0:1], s[10:11]
	s_waitcnt vmcnt(0)
	v_fma_mix_f32 v1, v9, v10, v1 op_sel_hi:[1,1,0]
	s_andn2_b64 exec, exec, s[10:11]
	s_cbranch_execnz .LBB403_2
; %bb.3:
	s_or_b64 exec, exec, s[10:11]
.LBB403_4:
	s_or_b64 exec, exec, s[8:9]
	v_and_b32_e32 v3, 63, v0
	v_cmp_gt_u32_e32 vcc, 64, v0
	v_lshlrev_b32_e32 v2, 2, v3
	s_and_saveexec_b64 s[0:1], vcc
	s_cbranch_execz .LBB403_6
; %bb.5:
	v_mov_b32_e32 v4, 0
	ds_write_b32 v2, v4
.LBB403_6:
	s_or_b64 exec, exec, s[0:1]
	v_mbcnt_lo_u32_b32 v4, -1, 0
	v_mbcnt_hi_u32_b32 v6, -1, v4
	v_and_b32_e32 v7, 63, v6
	v_cmp_gt_u32_e64 s[0:1], 32, v7
	v_cndmask_b32_e64 v4, 0, 1, s[0:1]
	v_lshlrev_b32_e32 v4, 5, v4
	v_add_lshl_u32 v4, v4, v6, 2
	ds_bpermute_b32 v4, v4, v1
	v_cmp_gt_u32_e64 s[0:1], 48, v7
	v_cndmask_b32_e64 v5, 0, 1, s[0:1]
	v_lshlrev_b32_e32 v5, 4, v5
	v_cmp_gt_u32_e64 s[0:1], 56, v7
	s_waitcnt lgkmcnt(0)
	v_add_f32_e32 v1, v1, v4
	v_add_lshl_u32 v4, v5, v6, 2
	ds_bpermute_b32 v4, v4, v1
	v_cndmask_b32_e64 v5, 0, 1, s[0:1]
	v_lshlrev_b32_e32 v5, 3, v5
	v_cmp_gt_u32_e64 s[0:1], 60, v7
	v_cndmask_b32_e64 v8, 0, 1, s[0:1]
	s_waitcnt lgkmcnt(0)
	v_add_f32_e32 v4, v1, v4
	v_add_lshl_u32 v1, v5, v6, 2
	ds_bpermute_b32 v5, v1, v4
	v_lshlrev_b32_e32 v8, 2, v8
	v_cmp_gt_u32_e64 s[0:1], 62, v7
	v_cndmask_b32_e64 v9, 0, 1, s[0:1]
	v_lshlrev_b32_e32 v9, 1, v9
	s_waitcnt lgkmcnt(0)
	v_add_f32_e32 v5, v4, v5
	v_add_lshl_u32 v4, v8, v6, 2
	ds_bpermute_b32 v8, v4, v5
	v_cmp_ne_u32_e64 s[0:1], 63, v7
	s_waitcnt lgkmcnt(0)
	s_barrier
	v_add_f32_e32 v8, v5, v8
	v_add_lshl_u32 v5, v9, v6, 2
	ds_bpermute_b32 v9, v5, v8
	v_addc_co_u32_e64 v6, s[0:1], 0, v6, s[0:1]
	v_lshlrev_b32_e32 v6, 2, v6
	v_cmp_eq_u32_e64 s[0:1], 0, v3
	s_waitcnt lgkmcnt(0)
	v_add_f32_e32 v7, v8, v9
	ds_bpermute_b32 v8, v6, v7
	s_and_saveexec_b64 s[4:5], s[0:1]
	s_cbranch_execz .LBB403_8
; %bb.7:
	s_waitcnt lgkmcnt(0)
	v_add_f32_e32 v3, v7, v8
	v_lshrrev_b32_e32 v7, 4, v0
	v_and_b32_e32 v7, 60, v7
	ds_write_b32 v7, v3
.LBB403_8:
	s_or_b64 exec, exec, s[4:5]
	v_cmp_gt_u32_e64 s[0:1], 16, v0
	v_mov_b32_e32 v3, 0
	s_waitcnt lgkmcnt(0)
	s_barrier
	s_and_saveexec_b64 s[4:5], s[0:1]
	s_cbranch_execnz .LBB403_12
; %bb.9:
	s_or_b64 exec, exec, s[4:5]
	s_and_saveexec_b64 s[0:1], vcc
	s_cbranch_execnz .LBB403_13
.LBB403_10:
	s_or_b64 exec, exec, s[0:1]
	v_cmp_eq_u32_e32 vcc, 0, v0
	s_and_saveexec_b64 s[0:1], vcc
	s_cbranch_execnz .LBB403_14
.LBB403_11:
	s_endpgm
.LBB403_12:
	ds_read_b32 v3, v2
	s_or_b64 exec, exec, s[4:5]
	s_and_saveexec_b64 s[0:1], vcc
	s_cbranch_execz .LBB403_10
.LBB403_13:
	s_waitcnt lgkmcnt(0)
	ds_bpermute_b32 v1, v1, v3
	s_waitcnt lgkmcnt(0)
	v_add_f32_e32 v1, v3, v1
	ds_bpermute_b32 v2, v4, v1
	s_waitcnt lgkmcnt(0)
	v_add_f32_e32 v1, v1, v2
	;; [unrolled: 3-line block ×4, first 2 shown]
	s_or_b64 exec, exec, s[0:1]
	v_cmp_eq_u32_e32 vcc, 0, v0
	s_and_saveexec_b64 s[0:1], vcc
	s_cbranch_execz .LBB403_11
.LBB403_14:
	s_waitcnt lgkmcnt(0)
	v_cvt_f16_f32_e32 v0, v3
	s_lshl_b64 s[0:1], s[2:3], 1
	s_add_u32 s0, s6, s0
	s_addc_u32 s1, s7, s1
	v_mov_b32_e32 v1, 0
	global_store_short v1, v0, s[0:1]
	s_endpgm
	.section	.rodata,"a",@progbits
	.p2align	6, 0x0
	.amdhsa_kernel _ZL18rocblas_dot_kernelIiLb1ELi1024ELi32ELb0EDF16_PKPKDF16_fEviT5_lT_lS4_lS5_liPT6_PT4_
		.amdhsa_group_segment_fixed_size 256
		.amdhsa_private_segment_fixed_size 0
		.amdhsa_kernarg_size 352
		.amdhsa_user_sgpr_count 6
		.amdhsa_user_sgpr_private_segment_buffer 1
		.amdhsa_user_sgpr_dispatch_ptr 0
		.amdhsa_user_sgpr_queue_ptr 0
		.amdhsa_user_sgpr_kernarg_segment_ptr 1
		.amdhsa_user_sgpr_dispatch_id 0
		.amdhsa_user_sgpr_flat_scratch_init 0
		.amdhsa_user_sgpr_kernarg_preload_length 0
		.amdhsa_user_sgpr_kernarg_preload_offset 0
		.amdhsa_user_sgpr_private_segment_size 0
		.amdhsa_uses_dynamic_stack 0
		.amdhsa_system_sgpr_private_segment_wavefront_offset 0
		.amdhsa_system_sgpr_workgroup_id_x 1
		.amdhsa_system_sgpr_workgroup_id_y 0
		.amdhsa_system_sgpr_workgroup_id_z 1
		.amdhsa_system_sgpr_workgroup_info 0
		.amdhsa_system_vgpr_workitem_id 0
		.amdhsa_next_free_vgpr 11
		.amdhsa_next_free_sgpr 25
		.amdhsa_accum_offset 12
		.amdhsa_reserve_vcc 1
		.amdhsa_reserve_flat_scratch 0
		.amdhsa_float_round_mode_32 0
		.amdhsa_float_round_mode_16_64 0
		.amdhsa_float_denorm_mode_32 3
		.amdhsa_float_denorm_mode_16_64 3
		.amdhsa_dx10_clamp 1
		.amdhsa_ieee_mode 1
		.amdhsa_fp16_overflow 0
		.amdhsa_tg_split 0
		.amdhsa_exception_fp_ieee_invalid_op 0
		.amdhsa_exception_fp_denorm_src 0
		.amdhsa_exception_fp_ieee_div_zero 0
		.amdhsa_exception_fp_ieee_overflow 0
		.amdhsa_exception_fp_ieee_underflow 0
		.amdhsa_exception_fp_ieee_inexact 0
		.amdhsa_exception_int_div_zero 0
	.end_amdhsa_kernel
	.section	.text._ZL18rocblas_dot_kernelIiLb1ELi1024ELi32ELb0EDF16_PKPKDF16_fEviT5_lT_lS4_lS5_liPT6_PT4_,"axG",@progbits,_ZL18rocblas_dot_kernelIiLb1ELi1024ELi32ELb0EDF16_PKPKDF16_fEviT5_lT_lS4_lS5_liPT6_PT4_,comdat
.Lfunc_end403:
	.size	_ZL18rocblas_dot_kernelIiLb1ELi1024ELi32ELb0EDF16_PKPKDF16_fEviT5_lT_lS4_lS5_liPT6_PT4_, .Lfunc_end403-_ZL18rocblas_dot_kernelIiLb1ELi1024ELi32ELb0EDF16_PKPKDF16_fEviT5_lT_lS4_lS5_liPT6_PT4_
                                        ; -- End function
	.section	.AMDGPU.csdata,"",@progbits
; Kernel info:
; codeLenInByte = 924
; NumSgprs: 29
; NumVgprs: 11
; NumAgprs: 0
; TotalNumVgprs: 11
; ScratchSize: 0
; MemoryBound: 0
; FloatMode: 240
; IeeeMode: 1
; LDSByteSize: 256 bytes/workgroup (compile time only)
; SGPRBlocks: 3
; VGPRBlocks: 1
; NumSGPRsForWavesPerEU: 29
; NumVGPRsForWavesPerEU: 11
; AccumOffset: 12
; Occupancy: 8
; WaveLimiterHint : 0
; COMPUTE_PGM_RSRC2:SCRATCH_EN: 0
; COMPUTE_PGM_RSRC2:USER_SGPR: 6
; COMPUTE_PGM_RSRC2:TRAP_HANDLER: 0
; COMPUTE_PGM_RSRC2:TGID_X_EN: 1
; COMPUTE_PGM_RSRC2:TGID_Y_EN: 0
; COMPUTE_PGM_RSRC2:TGID_Z_EN: 1
; COMPUTE_PGM_RSRC2:TIDIG_COMP_CNT: 0
; COMPUTE_PGM_RSRC3_GFX90A:ACCUM_OFFSET: 2
; COMPUTE_PGM_RSRC3_GFX90A:TG_SPLIT: 0
	.section	.text._ZL24rocblas_dot_kernel_magsqIiLb1ELi1024ELi32ELb0EDF16_PKPKDF16_fEviT5_lT_liPT6_PT4_,"axG",@progbits,_ZL24rocblas_dot_kernel_magsqIiLb1ELi1024ELi32ELb0EDF16_PKPKDF16_fEviT5_lT_liPT6_PT4_,comdat
	.globl	_ZL24rocblas_dot_kernel_magsqIiLb1ELi1024ELi32ELb0EDF16_PKPKDF16_fEviT5_lT_liPT6_PT4_ ; -- Begin function _ZL24rocblas_dot_kernel_magsqIiLb1ELi1024ELi32ELb0EDF16_PKPKDF16_fEviT5_lT_liPT6_PT4_
	.p2align	8
	.type	_ZL24rocblas_dot_kernel_magsqIiLb1ELi1024ELi32ELb0EDF16_PKPKDF16_fEviT5_lT_liPT6_PT4_,@function
_ZL24rocblas_dot_kernel_magsqIiLb1ELi1024ELi32ELb0EDF16_PKPKDF16_fEviT5_lT_liPT6_PT4_: ; @_ZL24rocblas_dot_kernel_magsqIiLb1ELi1024ELi32ELb0EDF16_PKPKDF16_fEviT5_lT_liPT6_PT4_
; %bb.0:
	s_mov_b32 s2, s7
	s_load_dword s12, s[4:5], 0x0
	s_load_dwordx2 s[6:7], s[4:5], 0x38
	s_mov_b32 s3, 0
	v_mov_b32_e32 v1, 0
	s_waitcnt lgkmcnt(0)
	v_cmp_gt_i32_e32 vcc, s12, v0
	s_and_saveexec_b64 s[8:9], vcc
	s_cbranch_execz .LBB404_4
; %bb.1:
	s_load_dwordx4 s[16:19], s[4:5], 0x8
	s_load_dword s10, s[4:5], 0x40
	s_load_dword s11, s[4:5], 0x18
	s_lshl_b64 s[0:1], s[2:3], 3
	s_waitcnt lgkmcnt(0)
	s_add_u32 s0, s16, s0
	s_addc_u32 s1, s17, s1
	s_load_dwordx2 s[0:1], s[0:1], 0x0
	v_mad_i64_i32 v[2:3], s[4:5], s11, v0, 0
	s_lshl_b32 s13, s10, 10
	s_lshl_b64 s[4:5], s[18:19], 1
	s_waitcnt lgkmcnt(0)
	s_add_u32 s0, s0, s4
	v_lshlrev_b64 v[2:3], 1, v[2:3]
	s_addc_u32 s1, s1, s5
	v_mov_b32_e32 v1, s1
	v_add_co_u32_e32 v2, vcc, s0, v2
	s_mul_hi_i32 s1, s11, s13
	s_mul_i32 s0, s11, s13
	s_lshl_b64 s[10:11], s[0:1], 1
	v_or_b32_e32 v4, s13, v0
	v_addc_co_u32_e32 v3, vcc, v1, v3, vcc
	s_mov_b64 s[4:5], 0
	v_mov_b32_e32 v1, 0
	v_mov_b32_e32 v5, s11
	s_mov_b32 s11, s3
.LBB404_2:                              ; =>This Inner Loop Header: Depth=1
	global_load_ushort v6, v[2:3], off
	s_add_i32 s14, s11, 1
	v_add_co_u32_e64 v2, s[0:1], s10, v2
	v_addc_co_u32_e64 v3, s[0:1], v3, v5, s[0:1]
	s_cmp_gt_u32 s11, 30
	v_cmp_le_i32_e32 vcc, s12, v4
	s_cselect_b64 s[0:1], -1, 0
	s_or_b64 s[0:1], s[0:1], vcc
	s_and_b64 s[0:1], exec, s[0:1]
	v_add_u32_e32 v4, s13, v4
	s_mov_b32 s11, s14
	s_or_b64 s[4:5], s[0:1], s[4:5]
	s_waitcnt vmcnt(0)
	v_fma_mix_f32 v1, v6, v6, v1 op_sel_hi:[1,1,0]
	s_andn2_b64 exec, exec, s[4:5]
	s_cbranch_execnz .LBB404_2
; %bb.3:
	s_or_b64 exec, exec, s[4:5]
.LBB404_4:
	s_or_b64 exec, exec, s[8:9]
	v_and_b32_e32 v3, 63, v0
	v_cmp_gt_u32_e32 vcc, 64, v0
	v_lshlrev_b32_e32 v2, 2, v3
	s_and_saveexec_b64 s[0:1], vcc
	s_cbranch_execz .LBB404_6
; %bb.5:
	v_mov_b32_e32 v4, 0
	ds_write_b32 v2, v4
.LBB404_6:
	s_or_b64 exec, exec, s[0:1]
	v_mbcnt_lo_u32_b32 v4, -1, 0
	v_mbcnt_hi_u32_b32 v6, -1, v4
	v_and_b32_e32 v7, 63, v6
	v_cmp_gt_u32_e64 s[0:1], 32, v7
	v_cndmask_b32_e64 v4, 0, 1, s[0:1]
	v_lshlrev_b32_e32 v4, 5, v4
	v_add_lshl_u32 v4, v4, v6, 2
	ds_bpermute_b32 v4, v4, v1
	v_cmp_gt_u32_e64 s[0:1], 48, v7
	v_cndmask_b32_e64 v5, 0, 1, s[0:1]
	v_lshlrev_b32_e32 v5, 4, v5
	v_cmp_gt_u32_e64 s[0:1], 56, v7
	s_waitcnt lgkmcnt(0)
	v_add_f32_e32 v1, v1, v4
	v_add_lshl_u32 v4, v5, v6, 2
	ds_bpermute_b32 v4, v4, v1
	v_cndmask_b32_e64 v5, 0, 1, s[0:1]
	v_lshlrev_b32_e32 v5, 3, v5
	v_cmp_gt_u32_e64 s[0:1], 60, v7
	v_cndmask_b32_e64 v8, 0, 1, s[0:1]
	s_waitcnt lgkmcnt(0)
	v_add_f32_e32 v4, v1, v4
	v_add_lshl_u32 v1, v5, v6, 2
	ds_bpermute_b32 v5, v1, v4
	v_lshlrev_b32_e32 v8, 2, v8
	v_cmp_gt_u32_e64 s[0:1], 62, v7
	v_cndmask_b32_e64 v9, 0, 1, s[0:1]
	v_lshlrev_b32_e32 v9, 1, v9
	s_waitcnt lgkmcnt(0)
	v_add_f32_e32 v5, v4, v5
	v_add_lshl_u32 v4, v8, v6, 2
	ds_bpermute_b32 v8, v4, v5
	v_cmp_ne_u32_e64 s[0:1], 63, v7
	s_waitcnt lgkmcnt(0)
	s_barrier
	v_add_f32_e32 v8, v5, v8
	v_add_lshl_u32 v5, v9, v6, 2
	ds_bpermute_b32 v9, v5, v8
	v_addc_co_u32_e64 v6, s[0:1], 0, v6, s[0:1]
	v_lshlrev_b32_e32 v6, 2, v6
	v_cmp_eq_u32_e64 s[0:1], 0, v3
	s_waitcnt lgkmcnt(0)
	v_add_f32_e32 v7, v8, v9
	ds_bpermute_b32 v8, v6, v7
	s_and_saveexec_b64 s[4:5], s[0:1]
	s_cbranch_execz .LBB404_8
; %bb.7:
	s_waitcnt lgkmcnt(0)
	v_add_f32_e32 v3, v7, v8
	v_lshrrev_b32_e32 v7, 4, v0
	v_and_b32_e32 v7, 60, v7
	ds_write_b32 v7, v3
.LBB404_8:
	s_or_b64 exec, exec, s[4:5]
	v_cmp_gt_u32_e64 s[0:1], 16, v0
	v_mov_b32_e32 v3, 0
	s_waitcnt lgkmcnt(0)
	s_barrier
	s_and_saveexec_b64 s[4:5], s[0:1]
	s_cbranch_execnz .LBB404_12
; %bb.9:
	s_or_b64 exec, exec, s[4:5]
	s_and_saveexec_b64 s[0:1], vcc
	s_cbranch_execnz .LBB404_13
.LBB404_10:
	s_or_b64 exec, exec, s[0:1]
	v_cmp_eq_u32_e32 vcc, 0, v0
	s_and_saveexec_b64 s[0:1], vcc
	s_cbranch_execnz .LBB404_14
.LBB404_11:
	s_endpgm
.LBB404_12:
	ds_read_b32 v3, v2
	s_or_b64 exec, exec, s[4:5]
	s_and_saveexec_b64 s[0:1], vcc
	s_cbranch_execz .LBB404_10
.LBB404_13:
	s_waitcnt lgkmcnt(0)
	ds_bpermute_b32 v1, v1, v3
	s_waitcnt lgkmcnt(0)
	v_add_f32_e32 v1, v3, v1
	ds_bpermute_b32 v2, v4, v1
	s_waitcnt lgkmcnt(0)
	v_add_f32_e32 v1, v1, v2
	;; [unrolled: 3-line block ×4, first 2 shown]
	s_or_b64 exec, exec, s[0:1]
	v_cmp_eq_u32_e32 vcc, 0, v0
	s_and_saveexec_b64 s[0:1], vcc
	s_cbranch_execz .LBB404_11
.LBB404_14:
	s_waitcnt lgkmcnt(0)
	v_cvt_f16_f32_e32 v0, v3
	s_lshl_b64 s[0:1], s[2:3], 1
	s_add_u32 s0, s6, s0
	s_addc_u32 s1, s7, s1
	v_mov_b32_e32 v1, 0
	global_store_short v1, v0, s[0:1]
	s_endpgm
	.section	.rodata,"a",@progbits
	.p2align	6, 0x0
	.amdhsa_kernel _ZL24rocblas_dot_kernel_magsqIiLb1ELi1024ELi32ELb0EDF16_PKPKDF16_fEviT5_lT_liPT6_PT4_
		.amdhsa_group_segment_fixed_size 256
		.amdhsa_private_segment_fixed_size 0
		.amdhsa_kernarg_size 320
		.amdhsa_user_sgpr_count 6
		.amdhsa_user_sgpr_private_segment_buffer 1
		.amdhsa_user_sgpr_dispatch_ptr 0
		.amdhsa_user_sgpr_queue_ptr 0
		.amdhsa_user_sgpr_kernarg_segment_ptr 1
		.amdhsa_user_sgpr_dispatch_id 0
		.amdhsa_user_sgpr_flat_scratch_init 0
		.amdhsa_user_sgpr_kernarg_preload_length 0
		.amdhsa_user_sgpr_kernarg_preload_offset 0
		.amdhsa_user_sgpr_private_segment_size 0
		.amdhsa_uses_dynamic_stack 0
		.amdhsa_system_sgpr_private_segment_wavefront_offset 0
		.amdhsa_system_sgpr_workgroup_id_x 1
		.amdhsa_system_sgpr_workgroup_id_y 0
		.amdhsa_system_sgpr_workgroup_id_z 1
		.amdhsa_system_sgpr_workgroup_info 0
		.amdhsa_system_vgpr_workitem_id 0
		.amdhsa_next_free_vgpr 10
		.amdhsa_next_free_sgpr 20
		.amdhsa_accum_offset 12
		.amdhsa_reserve_vcc 1
		.amdhsa_reserve_flat_scratch 0
		.amdhsa_float_round_mode_32 0
		.amdhsa_float_round_mode_16_64 0
		.amdhsa_float_denorm_mode_32 3
		.amdhsa_float_denorm_mode_16_64 3
		.amdhsa_dx10_clamp 1
		.amdhsa_ieee_mode 1
		.amdhsa_fp16_overflow 0
		.amdhsa_tg_split 0
		.amdhsa_exception_fp_ieee_invalid_op 0
		.amdhsa_exception_fp_denorm_src 0
		.amdhsa_exception_fp_ieee_div_zero 0
		.amdhsa_exception_fp_ieee_overflow 0
		.amdhsa_exception_fp_ieee_underflow 0
		.amdhsa_exception_fp_ieee_inexact 0
		.amdhsa_exception_int_div_zero 0
	.end_amdhsa_kernel
	.section	.text._ZL24rocblas_dot_kernel_magsqIiLb1ELi1024ELi32ELb0EDF16_PKPKDF16_fEviT5_lT_liPT6_PT4_,"axG",@progbits,_ZL24rocblas_dot_kernel_magsqIiLb1ELi1024ELi32ELb0EDF16_PKPKDF16_fEviT5_lT_liPT6_PT4_,comdat
.Lfunc_end404:
	.size	_ZL24rocblas_dot_kernel_magsqIiLb1ELi1024ELi32ELb0EDF16_PKPKDF16_fEviT5_lT_liPT6_PT4_, .Lfunc_end404-_ZL24rocblas_dot_kernel_magsqIiLb1ELi1024ELi32ELb0EDF16_PKPKDF16_fEviT5_lT_liPT6_PT4_
                                        ; -- End function
	.section	.AMDGPU.csdata,"",@progbits
; Kernel info:
; codeLenInByte = 812
; NumSgprs: 24
; NumVgprs: 10
; NumAgprs: 0
; TotalNumVgprs: 10
; ScratchSize: 0
; MemoryBound: 0
; FloatMode: 240
; IeeeMode: 1
; LDSByteSize: 256 bytes/workgroup (compile time only)
; SGPRBlocks: 2
; VGPRBlocks: 1
; NumSGPRsForWavesPerEU: 24
; NumVGPRsForWavesPerEU: 10
; AccumOffset: 12
; Occupancy: 8
; WaveLimiterHint : 0
; COMPUTE_PGM_RSRC2:SCRATCH_EN: 0
; COMPUTE_PGM_RSRC2:USER_SGPR: 6
; COMPUTE_PGM_RSRC2:TRAP_HANDLER: 0
; COMPUTE_PGM_RSRC2:TGID_X_EN: 1
; COMPUTE_PGM_RSRC2:TGID_Y_EN: 0
; COMPUTE_PGM_RSRC2:TGID_Z_EN: 1
; COMPUTE_PGM_RSRC2:TIDIG_COMP_CNT: 0
; COMPUTE_PGM_RSRC3_GFX90A:ACCUM_OFFSET: 2
; COMPUTE_PGM_RSRC3_GFX90A:TG_SPLIT: 0
	.section	.text._ZL38rocblas_dot_kernel_gfx942_float_doubleIiLi1024EDF16_PKPKDF16_fEviT2_lT_lS4_lS5_lPT3_PT1_,"axG",@progbits,_ZL38rocblas_dot_kernel_gfx942_float_doubleIiLi1024EDF16_PKPKDF16_fEviT2_lT_lS4_lS5_lPT3_PT1_,comdat
	.globl	_ZL38rocblas_dot_kernel_gfx942_float_doubleIiLi1024EDF16_PKPKDF16_fEviT2_lT_lS4_lS5_lPT3_PT1_ ; -- Begin function _ZL38rocblas_dot_kernel_gfx942_float_doubleIiLi1024EDF16_PKPKDF16_fEviT2_lT_lS4_lS5_lPT3_PT1_
	.p2align	8
	.type	_ZL38rocblas_dot_kernel_gfx942_float_doubleIiLi1024EDF16_PKPKDF16_fEviT2_lT_lS4_lS5_lPT3_PT1_,@function
_ZL38rocblas_dot_kernel_gfx942_float_doubleIiLi1024EDF16_PKPKDF16_fEviT2_lT_lS4_lS5_lPT3_PT1_: ; @_ZL38rocblas_dot_kernel_gfx942_float_doubleIiLi1024EDF16_PKPKDF16_fEviT2_lT_lS4_lS5_lPT3_PT1_
; %bb.0:
	s_endpgm
	.section	.rodata,"a",@progbits
	.p2align	6, 0x0
	.amdhsa_kernel _ZL38rocblas_dot_kernel_gfx942_float_doubleIiLi1024EDF16_PKPKDF16_fEviT2_lT_lS4_lS5_lPT3_PT1_
		.amdhsa_group_segment_fixed_size 0
		.amdhsa_private_segment_fixed_size 0
		.amdhsa_kernarg_size 88
		.amdhsa_user_sgpr_count 6
		.amdhsa_user_sgpr_private_segment_buffer 1
		.amdhsa_user_sgpr_dispatch_ptr 0
		.amdhsa_user_sgpr_queue_ptr 0
		.amdhsa_user_sgpr_kernarg_segment_ptr 1
		.amdhsa_user_sgpr_dispatch_id 0
		.amdhsa_user_sgpr_flat_scratch_init 0
		.amdhsa_user_sgpr_kernarg_preload_length 0
		.amdhsa_user_sgpr_kernarg_preload_offset 0
		.amdhsa_user_sgpr_private_segment_size 0
		.amdhsa_uses_dynamic_stack 0
		.amdhsa_system_sgpr_private_segment_wavefront_offset 0
		.amdhsa_system_sgpr_workgroup_id_x 1
		.amdhsa_system_sgpr_workgroup_id_y 0
		.amdhsa_system_sgpr_workgroup_id_z 0
		.amdhsa_system_sgpr_workgroup_info 0
		.amdhsa_system_vgpr_workitem_id 0
		.amdhsa_next_free_vgpr 1
		.amdhsa_next_free_sgpr 0
		.amdhsa_accum_offset 4
		.amdhsa_reserve_vcc 0
		.amdhsa_reserve_flat_scratch 0
		.amdhsa_float_round_mode_32 0
		.amdhsa_float_round_mode_16_64 0
		.amdhsa_float_denorm_mode_32 3
		.amdhsa_float_denorm_mode_16_64 3
		.amdhsa_dx10_clamp 1
		.amdhsa_ieee_mode 1
		.amdhsa_fp16_overflow 0
		.amdhsa_tg_split 0
		.amdhsa_exception_fp_ieee_invalid_op 0
		.amdhsa_exception_fp_denorm_src 0
		.amdhsa_exception_fp_ieee_div_zero 0
		.amdhsa_exception_fp_ieee_overflow 0
		.amdhsa_exception_fp_ieee_underflow 0
		.amdhsa_exception_fp_ieee_inexact 0
		.amdhsa_exception_int_div_zero 0
	.end_amdhsa_kernel
	.section	.text._ZL38rocblas_dot_kernel_gfx942_float_doubleIiLi1024EDF16_PKPKDF16_fEviT2_lT_lS4_lS5_lPT3_PT1_,"axG",@progbits,_ZL38rocblas_dot_kernel_gfx942_float_doubleIiLi1024EDF16_PKPKDF16_fEviT2_lT_lS4_lS5_lPT3_PT1_,comdat
.Lfunc_end405:
	.size	_ZL38rocblas_dot_kernel_gfx942_float_doubleIiLi1024EDF16_PKPKDF16_fEviT2_lT_lS4_lS5_lPT3_PT1_, .Lfunc_end405-_ZL38rocblas_dot_kernel_gfx942_float_doubleIiLi1024EDF16_PKPKDF16_fEviT2_lT_lS4_lS5_lPT3_PT1_
                                        ; -- End function
	.section	.AMDGPU.csdata,"",@progbits
; Kernel info:
; codeLenInByte = 4
; NumSgprs: 4
; NumVgprs: 0
; NumAgprs: 0
; TotalNumVgprs: 0
; ScratchSize: 0
; MemoryBound: 0
; FloatMode: 240
; IeeeMode: 1
; LDSByteSize: 0 bytes/workgroup (compile time only)
; SGPRBlocks: 0
; VGPRBlocks: 0
; NumSGPRsForWavesPerEU: 4
; NumVGPRsForWavesPerEU: 1
; AccumOffset: 4
; Occupancy: 8
; WaveLimiterHint : 0
; COMPUTE_PGM_RSRC2:SCRATCH_EN: 0
; COMPUTE_PGM_RSRC2:USER_SGPR: 6
; COMPUTE_PGM_RSRC2:TRAP_HANDLER: 0
; COMPUTE_PGM_RSRC2:TGID_X_EN: 1
; COMPUTE_PGM_RSRC2:TGID_Y_EN: 0
; COMPUTE_PGM_RSRC2:TGID_Z_EN: 0
; COMPUTE_PGM_RSRC2:TIDIG_COMP_CNT: 0
; COMPUTE_PGM_RSRC3_GFX90A:ACCUM_OFFSET: 0
; COMPUTE_PGM_RSRC3_GFX90A:TG_SPLIT: 0
	.section	.text._ZL23rocblas_dot_kernel_inc1ILb0ELi512ELi8ELb0EDF16_PKPKDF16_fEviT4_llS4_lliPT5_PT3_,"axG",@progbits,_ZL23rocblas_dot_kernel_inc1ILb0ELi512ELi8ELb0EDF16_PKPKDF16_fEviT4_llS4_lliPT5_PT3_,comdat
	.globl	_ZL23rocblas_dot_kernel_inc1ILb0ELi512ELi8ELb0EDF16_PKPKDF16_fEviT4_llS4_lliPT5_PT3_ ; -- Begin function _ZL23rocblas_dot_kernel_inc1ILb0ELi512ELi8ELb0EDF16_PKPKDF16_fEviT4_llS4_lliPT5_PT3_
	.p2align	8
	.type	_ZL23rocblas_dot_kernel_inc1ILb0ELi512ELi8ELb0EDF16_PKPKDF16_fEviT4_llS4_lliPT5_PT3_,@function
_ZL23rocblas_dot_kernel_inc1ILb0ELi512ELi8ELb0EDF16_PKPKDF16_fEviT4_llS4_lliPT5_PT3_: ; @_ZL23rocblas_dot_kernel_inc1ILb0ELi512ELi8ELb0EDF16_PKPKDF16_fEviT4_llS4_lliPT5_PT3_
; %bb.0:
	s_mov_b32 s2, s7
	s_load_dword s18, s[4:5], 0x50
	s_load_dword s7, s[4:5], 0x0
	s_load_dwordx4 s[8:11], s[4:5], 0x40
	v_lshl_or_b32 v4, s6, 9, v0
	s_mov_b32 s3, 0
	v_mov_b32_e32 v1, 0
	s_waitcnt lgkmcnt(0)
	v_cmp_gt_i32_e32 vcc, s7, v4
	s_and_saveexec_b64 s[12:13], vcc
	s_cbranch_execz .LBB406_4
; %bb.1:
	s_load_dwordx4 s[20:23], s[4:5], 0x8
	s_load_dwordx4 s[24:27], s[4:5], 0x20
	s_lshl_b64 s[0:1], s[2:3], 3
	v_ashrrev_i32_e32 v5, 31, v4
	v_lshlrev_b64 v[2:3], 1, v[4:5]
	s_waitcnt lgkmcnt(0)
	s_add_u32 s4, s20, s0
	s_addc_u32 s5, s21, s1
	s_load_dwordx2 s[14:15], s[4:5], 0x0
	s_lshl_b64 s[16:17], s[22:23], 1
	s_mov_b64 s[4:5], 0
	v_mov_b32_e32 v1, 0
	s_waitcnt lgkmcnt(0)
	s_add_u32 s19, s14, s16
	s_addc_u32 s14, s15, s17
	s_add_u32 s0, s24, s0
	s_addc_u32 s1, s25, s1
	s_load_dwordx2 s[0:1], s[0:1], 0x0
	v_mov_b32_e32 v5, s14
	s_lshl_b64 s[14:15], s[26:27], 1
	s_waitcnt lgkmcnt(0)
	s_add_u32 s20, s0, s14
	s_addc_u32 s0, s1, s15
	s_lshl_b32 s14, s18, 9
	s_ashr_i32 s15, s14, 31
	s_lshl_b64 s[16:17], s[14:15], 1
	v_add_u32_e32 v4, s14, v4
	v_mov_b32_e32 v6, s0
	v_mov_b32_e32 v7, s17
	s_mov_b32 s15, s3
.LBB406_2:                              ; =>This Inner Loop Header: Depth=1
	v_add_co_u32_e32 v8, vcc, s20, v2
	v_addc_co_u32_e32 v9, vcc, v6, v3, vcc
	v_add_co_u32_e32 v10, vcc, s19, v2
	v_addc_co_u32_e32 v11, vcc, v5, v3, vcc
	global_load_ushort v12, v[8:9], off
	global_load_ushort v13, v[10:11], off
	s_add_i32 s17, s15, 1
	v_add_co_u32_e64 v2, s[0:1], s16, v2
	v_addc_co_u32_e64 v3, s[0:1], v3, v7, s[0:1]
	s_cmp_gt_u32 s15, 6
	v_cmp_le_i32_e32 vcc, s7, v4
	s_cselect_b64 s[0:1], -1, 0
	s_or_b64 s[0:1], s[0:1], vcc
	s_and_b64 s[0:1], exec, s[0:1]
	v_add_u32_e32 v4, s14, v4
	s_mov_b32 s15, s17
	s_or_b64 s[4:5], s[0:1], s[4:5]
	s_waitcnt vmcnt(0)
	v_fma_mix_f32 v1, v12, v13, v1 op_sel_hi:[1,1,0]
	s_andn2_b64 exec, exec, s[4:5]
	s_cbranch_execnz .LBB406_2
; %bb.3:
	s_or_b64 exec, exec, s[4:5]
.LBB406_4:
	s_or_b64 exec, exec, s[12:13]
	v_and_b32_e32 v3, 63, v0
	v_cmp_gt_u32_e32 vcc, 64, v0
	v_lshlrev_b32_e32 v2, 2, v3
	s_and_saveexec_b64 s[0:1], vcc
	s_cbranch_execz .LBB406_6
; %bb.5:
	v_mov_b32_e32 v4, 0
	ds_write_b32 v2, v4
.LBB406_6:
	s_or_b64 exec, exec, s[0:1]
	v_mbcnt_lo_u32_b32 v4, -1, 0
	v_mbcnt_hi_u32_b32 v6, -1, v4
	v_and_b32_e32 v7, 63, v6
	v_cmp_gt_u32_e64 s[0:1], 32, v7
	v_cndmask_b32_e64 v4, 0, 1, s[0:1]
	v_lshlrev_b32_e32 v4, 5, v4
	v_add_lshl_u32 v4, v4, v6, 2
	ds_bpermute_b32 v4, v4, v1
	v_cmp_gt_u32_e64 s[0:1], 48, v7
	v_cndmask_b32_e64 v5, 0, 1, s[0:1]
	v_lshlrev_b32_e32 v5, 4, v5
	v_cmp_gt_u32_e64 s[0:1], 56, v7
	s_waitcnt lgkmcnt(0)
	v_add_f32_e32 v1, v1, v4
	v_add_lshl_u32 v4, v5, v6, 2
	ds_bpermute_b32 v4, v4, v1
	v_cndmask_b32_e64 v5, 0, 1, s[0:1]
	v_lshlrev_b32_e32 v5, 3, v5
	v_cmp_gt_u32_e64 s[0:1], 60, v7
	s_waitcnt lgkmcnt(0)
	v_add_f32_e32 v1, v1, v4
	v_add_lshl_u32 v4, v5, v6, 2
	ds_bpermute_b32 v4, v4, v1
	v_cndmask_b32_e64 v5, 0, 1, s[0:1]
	v_lshlrev_b32_e32 v5, 2, v5
	v_cmp_gt_u32_e64 s[0:1], 62, v7
	v_cndmask_b32_e64 v8, 0, 1, s[0:1]
	s_waitcnt lgkmcnt(0)
	v_add_f32_e32 v1, v1, v4
	v_add_lshl_u32 v4, v5, v6, 2
	ds_bpermute_b32 v5, v4, v1
	v_lshlrev_b32_e32 v8, 1, v8
	v_cmp_ne_u32_e64 s[0:1], 63, v7
	s_barrier
	s_waitcnt lgkmcnt(0)
	v_add_f32_e32 v1, v1, v5
	v_add_lshl_u32 v5, v8, v6, 2
	ds_bpermute_b32 v8, v5, v1
	v_addc_co_u32_e64 v6, s[0:1], 0, v6, s[0:1]
	v_lshlrev_b32_e32 v6, 2, v6
	v_cmp_eq_u32_e64 s[0:1], 0, v3
	s_waitcnt lgkmcnt(0)
	v_add_f32_e32 v1, v1, v8
	ds_bpermute_b32 v7, v6, v1
	s_and_saveexec_b64 s[4:5], s[0:1]
	s_cbranch_execz .LBB406_8
; %bb.7:
	v_lshrrev_b32_e32 v3, 4, v0
	s_waitcnt lgkmcnt(0)
	v_add_f32_e32 v1, v1, v7
	v_and_b32_e32 v3, 28, v3
	ds_write_b32 v3, v1
.LBB406_8:
	s_or_b64 exec, exec, s[4:5]
	v_cmp_gt_u32_e64 s[0:1], 8, v0
	v_mov_b32_e32 v1, 0
	s_waitcnt lgkmcnt(0)
	s_barrier
	s_and_saveexec_b64 s[4:5], s[0:1]
	s_cbranch_execnz .LBB406_12
; %bb.9:
	s_or_b64 exec, exec, s[4:5]
	s_and_saveexec_b64 s[0:1], vcc
	s_cbranch_execnz .LBB406_13
.LBB406_10:
	s_or_b64 exec, exec, s[0:1]
	v_cmp_eq_u32_e32 vcc, 0, v0
	s_and_saveexec_b64 s[0:1], vcc
	s_cbranch_execnz .LBB406_14
.LBB406_11:
	s_endpgm
.LBB406_12:
	ds_read_b32 v1, v2
	s_or_b64 exec, exec, s[4:5]
	s_and_saveexec_b64 s[0:1], vcc
	s_cbranch_execz .LBB406_10
.LBB406_13:
	s_waitcnt lgkmcnt(0)
	ds_bpermute_b32 v2, v4, v1
	s_waitcnt lgkmcnt(0)
	v_add_f32_e32 v1, v1, v2
	ds_bpermute_b32 v2, v5, v1
	s_waitcnt lgkmcnt(0)
	v_add_f32_e32 v1, v1, v2
	;; [unrolled: 3-line block ×3, first 2 shown]
	s_or_b64 exec, exec, s[0:1]
	v_cmp_eq_u32_e32 vcc, 0, v0
	s_and_saveexec_b64 s[0:1], vcc
	s_cbranch_execz .LBB406_11
.LBB406_14:
	s_cmp_lg_u32 s18, 1
	s_mov_b64 s[0:1], -1
	s_cbranch_scc0 .LBB406_16
; %bb.15:
	s_mul_hi_u32 s1, s18, s2
	s_mul_i32 s0, s18, s2
	s_lshl_b64 s[0:1], s[0:1], 2
	s_mov_b32 s7, 0
	s_add_u32 s4, s8, s0
	s_addc_u32 s5, s9, s1
	s_lshl_b64 s[0:1], s[6:7], 2
	s_add_u32 s0, s4, s0
	s_addc_u32 s1, s5, s1
	v_mov_b32_e32 v0, 0
	s_waitcnt lgkmcnt(0)
	global_store_dword v0, v1, s[0:1]
	s_mov_b64 s[0:1], 0
.LBB406_16:
	s_andn2_b64 vcc, exec, s[0:1]
	s_cbranch_vccnz .LBB406_11
; %bb.17:
	s_waitcnt lgkmcnt(0)
	v_cvt_f16_f32_e32 v0, v1
	s_lshl_b64 s[0:1], s[2:3], 1
	s_add_u32 s0, s10, s0
	s_addc_u32 s1, s11, s1
	v_mov_b32_e32 v1, 0
	global_store_short v1, v0, s[0:1]
	s_endpgm
	.section	.rodata,"a",@progbits
	.p2align	6, 0x0
	.amdhsa_kernel _ZL23rocblas_dot_kernel_inc1ILb0ELi512ELi8ELb0EDF16_PKPKDF16_fEviT4_llS4_lliPT5_PT3_
		.amdhsa_group_segment_fixed_size 256
		.amdhsa_private_segment_fixed_size 0
		.amdhsa_kernarg_size 336
		.amdhsa_user_sgpr_count 6
		.amdhsa_user_sgpr_private_segment_buffer 1
		.amdhsa_user_sgpr_dispatch_ptr 0
		.amdhsa_user_sgpr_queue_ptr 0
		.amdhsa_user_sgpr_kernarg_segment_ptr 1
		.amdhsa_user_sgpr_dispatch_id 0
		.amdhsa_user_sgpr_flat_scratch_init 0
		.amdhsa_user_sgpr_kernarg_preload_length 0
		.amdhsa_user_sgpr_kernarg_preload_offset 0
		.amdhsa_user_sgpr_private_segment_size 0
		.amdhsa_uses_dynamic_stack 0
		.amdhsa_system_sgpr_private_segment_wavefront_offset 0
		.amdhsa_system_sgpr_workgroup_id_x 1
		.amdhsa_system_sgpr_workgroup_id_y 0
		.amdhsa_system_sgpr_workgroup_id_z 1
		.amdhsa_system_sgpr_workgroup_info 0
		.amdhsa_system_vgpr_workitem_id 0
		.amdhsa_next_free_vgpr 14
		.amdhsa_next_free_sgpr 28
		.amdhsa_accum_offset 16
		.amdhsa_reserve_vcc 1
		.amdhsa_reserve_flat_scratch 0
		.amdhsa_float_round_mode_32 0
		.amdhsa_float_round_mode_16_64 0
		.amdhsa_float_denorm_mode_32 3
		.amdhsa_float_denorm_mode_16_64 3
		.amdhsa_dx10_clamp 1
		.amdhsa_ieee_mode 1
		.amdhsa_fp16_overflow 0
		.amdhsa_tg_split 0
		.amdhsa_exception_fp_ieee_invalid_op 0
		.amdhsa_exception_fp_denorm_src 0
		.amdhsa_exception_fp_ieee_div_zero 0
		.amdhsa_exception_fp_ieee_overflow 0
		.amdhsa_exception_fp_ieee_underflow 0
		.amdhsa_exception_fp_ieee_inexact 0
		.amdhsa_exception_int_div_zero 0
	.end_amdhsa_kernel
	.section	.text._ZL23rocblas_dot_kernel_inc1ILb0ELi512ELi8ELb0EDF16_PKPKDF16_fEviT4_llS4_lliPT5_PT3_,"axG",@progbits,_ZL23rocblas_dot_kernel_inc1ILb0ELi512ELi8ELb0EDF16_PKPKDF16_fEviT4_llS4_lliPT5_PT3_,comdat
.Lfunc_end406:
	.size	_ZL23rocblas_dot_kernel_inc1ILb0ELi512ELi8ELb0EDF16_PKPKDF16_fEviT4_llS4_lliPT5_PT3_, .Lfunc_end406-_ZL23rocblas_dot_kernel_inc1ILb0ELi512ELi8ELb0EDF16_PKPKDF16_fEviT4_llS4_lliPT5_PT3_
                                        ; -- End function
	.section	.AMDGPU.csdata,"",@progbits
; Kernel info:
; codeLenInByte = 924
; NumSgprs: 32
; NumVgprs: 14
; NumAgprs: 0
; TotalNumVgprs: 14
; ScratchSize: 0
; MemoryBound: 0
; FloatMode: 240
; IeeeMode: 1
; LDSByteSize: 256 bytes/workgroup (compile time only)
; SGPRBlocks: 3
; VGPRBlocks: 1
; NumSGPRsForWavesPerEU: 32
; NumVGPRsForWavesPerEU: 14
; AccumOffset: 16
; Occupancy: 8
; WaveLimiterHint : 1
; COMPUTE_PGM_RSRC2:SCRATCH_EN: 0
; COMPUTE_PGM_RSRC2:USER_SGPR: 6
; COMPUTE_PGM_RSRC2:TRAP_HANDLER: 0
; COMPUTE_PGM_RSRC2:TGID_X_EN: 1
; COMPUTE_PGM_RSRC2:TGID_Y_EN: 0
; COMPUTE_PGM_RSRC2:TGID_Z_EN: 1
; COMPUTE_PGM_RSRC2:TIDIG_COMP_CNT: 0
; COMPUTE_PGM_RSRC3_GFX90A:ACCUM_OFFSET: 3
; COMPUTE_PGM_RSRC3_GFX90A:TG_SPLIT: 0
	.section	.text._ZL18rocblas_dot_kernelIiLb0ELi512ELi8ELb0EDF16_PKPKDF16_fEviT5_lT_lS4_lS5_liPT6_PT4_,"axG",@progbits,_ZL18rocblas_dot_kernelIiLb0ELi512ELi8ELb0EDF16_PKPKDF16_fEviT5_lT_lS4_lS5_liPT6_PT4_,comdat
	.globl	_ZL18rocblas_dot_kernelIiLb0ELi512ELi8ELb0EDF16_PKPKDF16_fEviT5_lT_lS4_lS5_liPT6_PT4_ ; -- Begin function _ZL18rocblas_dot_kernelIiLb0ELi512ELi8ELb0EDF16_PKPKDF16_fEviT5_lT_lS4_lS5_liPT6_PT4_
	.p2align	8
	.type	_ZL18rocblas_dot_kernelIiLb0ELi512ELi8ELb0EDF16_PKPKDF16_fEviT5_lT_lS4_lS5_liPT6_PT4_,@function
_ZL18rocblas_dot_kernelIiLb0ELi512ELi8ELb0EDF16_PKPKDF16_fEviT5_lT_lS4_lS5_liPT6_PT4_: ; @_ZL18rocblas_dot_kernelIiLb0ELi512ELi8ELb0EDF16_PKPKDF16_fEviT5_lT_lS4_lS5_liPT6_PT4_
; %bb.0:
	s_mov_b32 s2, s7
	s_load_dword s18, s[4:5], 0x60
	s_load_dword s7, s[4:5], 0x0
	s_load_dwordx4 s[8:11], s[4:5], 0x50
	v_lshl_or_b32 v4, s6, 9, v0
	s_mov_b32 s3, 0
	v_mov_b32_e32 v1, 0
	s_waitcnt lgkmcnt(0)
	v_cmp_gt_i32_e32 vcc, s7, v4
	s_and_saveexec_b64 s[12:13], vcc
	s_cbranch_execz .LBB407_4
; %bb.1:
	s_load_dwordx4 s[20:23], s[4:5], 0x8
	s_load_dword s16, s[4:5], 0x18
	s_load_dwordx4 s[24:27], s[4:5], 0x28
	s_load_dword s17, s[4:5], 0x38
	s_lshl_b64 s[0:1], s[2:3], 3
	s_waitcnt lgkmcnt(0)
	s_add_u32 s4, s20, s0
	s_addc_u32 s5, s21, s1
	s_load_dwordx2 s[4:5], s[4:5], 0x0
	s_add_u32 s0, s24, s0
	s_addc_u32 s1, s25, s1
	v_mad_i64_i32 v[2:3], s[14:15], s16, v4, 0
	s_load_dwordx2 s[0:1], s[0:1], 0x0
	s_lshl_b32 s19, s18, 9
	s_lshl_b64 s[14:15], s[22:23], 1
	s_waitcnt lgkmcnt(0)
	s_add_u32 s4, s4, s14
	v_lshlrev_b64 v[2:3], 1, v[2:3]
	s_addc_u32 s5, s5, s15
	v_add_u32_e32 v6, s19, v4
	v_mov_b32_e32 v1, s5
	v_add_co_u32_e32 v2, vcc, s4, v2
	s_mul_hi_i32 s5, s16, s19
	s_mul_i32 s4, s16, s19
	v_mad_i64_i32 v[4:5], s[14:15], s17, v4, 0
	s_lshl_b64 s[4:5], s[4:5], 1
	s_lshl_b64 s[14:15], s[26:27], 1
	s_add_u32 s0, s0, s14
	v_addc_co_u32_e32 v3, vcc, v1, v3, vcc
	v_lshlrev_b64 v[4:5], 1, v[4:5]
	s_addc_u32 s1, s1, s15
	v_mov_b32_e32 v1, s1
	v_add_co_u32_e32 v4, vcc, s0, v4
	s_mul_hi_i32 s1, s17, s19
	s_mul_i32 s0, s17, s19
	s_lshl_b64 s[16:17], s[0:1], 1
	v_addc_co_u32_e32 v5, vcc, v1, v5, vcc
	s_mov_b64 s[14:15], 0
	v_mov_b32_e32 v1, 0
	v_mov_b32_e32 v7, s5
	;; [unrolled: 1-line block ×3, first 2 shown]
	s_mov_b32 s5, s3
.LBB407_2:                              ; =>This Inner Loop Header: Depth=1
	global_load_ushort v9, v[4:5], off
	global_load_ushort v10, v[2:3], off
	v_add_co_u32_e64 v2, s[0:1], s4, v2
	v_addc_co_u32_e64 v3, s[0:1], v3, v7, s[0:1]
	s_add_i32 s17, s5, 1
	v_add_co_u32_e64 v4, s[0:1], s16, v4
	v_addc_co_u32_e64 v5, s[0:1], v5, v8, s[0:1]
	s_cmp_gt_u32 s5, 6
	v_cmp_le_i32_e32 vcc, s7, v6
	s_cselect_b64 s[0:1], -1, 0
	s_or_b64 s[0:1], s[0:1], vcc
	s_and_b64 s[0:1], exec, s[0:1]
	v_add_u32_e32 v6, s19, v6
	s_mov_b32 s5, s17
	s_or_b64 s[14:15], s[0:1], s[14:15]
	s_waitcnt vmcnt(0)
	v_fma_mix_f32 v1, v9, v10, v1 op_sel_hi:[1,1,0]
	s_andn2_b64 exec, exec, s[14:15]
	s_cbranch_execnz .LBB407_2
; %bb.3:
	s_or_b64 exec, exec, s[14:15]
.LBB407_4:
	s_or_b64 exec, exec, s[12:13]
	v_and_b32_e32 v3, 63, v0
	v_cmp_gt_u32_e32 vcc, 64, v0
	v_lshlrev_b32_e32 v2, 2, v3
	s_and_saveexec_b64 s[0:1], vcc
	s_cbranch_execz .LBB407_6
; %bb.5:
	v_mov_b32_e32 v4, 0
	ds_write_b32 v2, v4
.LBB407_6:
	s_or_b64 exec, exec, s[0:1]
	v_mbcnt_lo_u32_b32 v4, -1, 0
	v_mbcnt_hi_u32_b32 v6, -1, v4
	v_and_b32_e32 v7, 63, v6
	v_cmp_gt_u32_e64 s[0:1], 32, v7
	v_cndmask_b32_e64 v4, 0, 1, s[0:1]
	v_lshlrev_b32_e32 v4, 5, v4
	v_add_lshl_u32 v4, v4, v6, 2
	ds_bpermute_b32 v4, v4, v1
	v_cmp_gt_u32_e64 s[0:1], 48, v7
	v_cndmask_b32_e64 v5, 0, 1, s[0:1]
	v_lshlrev_b32_e32 v5, 4, v5
	v_cmp_gt_u32_e64 s[0:1], 56, v7
	s_waitcnt lgkmcnt(0)
	v_add_f32_e32 v1, v1, v4
	v_add_lshl_u32 v4, v5, v6, 2
	ds_bpermute_b32 v4, v4, v1
	v_cndmask_b32_e64 v5, 0, 1, s[0:1]
	v_lshlrev_b32_e32 v5, 3, v5
	v_cmp_gt_u32_e64 s[0:1], 60, v7
	s_waitcnt lgkmcnt(0)
	v_add_f32_e32 v1, v1, v4
	v_add_lshl_u32 v4, v5, v6, 2
	ds_bpermute_b32 v4, v4, v1
	v_cndmask_b32_e64 v5, 0, 1, s[0:1]
	v_lshlrev_b32_e32 v5, 2, v5
	v_cmp_gt_u32_e64 s[0:1], 62, v7
	v_cndmask_b32_e64 v8, 0, 1, s[0:1]
	s_waitcnt lgkmcnt(0)
	v_add_f32_e32 v1, v1, v4
	v_add_lshl_u32 v4, v5, v6, 2
	ds_bpermute_b32 v5, v4, v1
	v_lshlrev_b32_e32 v8, 1, v8
	v_cmp_ne_u32_e64 s[0:1], 63, v7
	s_barrier
	s_waitcnt lgkmcnt(0)
	v_add_f32_e32 v1, v1, v5
	v_add_lshl_u32 v5, v8, v6, 2
	ds_bpermute_b32 v8, v5, v1
	v_addc_co_u32_e64 v6, s[0:1], 0, v6, s[0:1]
	v_lshlrev_b32_e32 v6, 2, v6
	v_cmp_eq_u32_e64 s[0:1], 0, v3
	s_waitcnt lgkmcnt(0)
	v_add_f32_e32 v1, v1, v8
	ds_bpermute_b32 v7, v6, v1
	s_and_saveexec_b64 s[4:5], s[0:1]
	s_cbranch_execz .LBB407_8
; %bb.7:
	v_lshrrev_b32_e32 v3, 4, v0
	s_waitcnt lgkmcnt(0)
	v_add_f32_e32 v1, v1, v7
	v_and_b32_e32 v3, 28, v3
	ds_write_b32 v3, v1
.LBB407_8:
	s_or_b64 exec, exec, s[4:5]
	v_cmp_gt_u32_e64 s[0:1], 8, v0
	v_mov_b32_e32 v1, 0
	s_waitcnt lgkmcnt(0)
	s_barrier
	s_and_saveexec_b64 s[4:5], s[0:1]
	s_cbranch_execnz .LBB407_12
; %bb.9:
	s_or_b64 exec, exec, s[4:5]
	s_and_saveexec_b64 s[0:1], vcc
	s_cbranch_execnz .LBB407_13
.LBB407_10:
	s_or_b64 exec, exec, s[0:1]
	v_cmp_eq_u32_e32 vcc, 0, v0
	s_and_saveexec_b64 s[0:1], vcc
	s_cbranch_execnz .LBB407_14
.LBB407_11:
	s_endpgm
.LBB407_12:
	ds_read_b32 v1, v2
	s_or_b64 exec, exec, s[4:5]
	s_and_saveexec_b64 s[0:1], vcc
	s_cbranch_execz .LBB407_10
.LBB407_13:
	s_waitcnt lgkmcnt(0)
	ds_bpermute_b32 v2, v4, v1
	s_waitcnt lgkmcnt(0)
	v_add_f32_e32 v1, v1, v2
	ds_bpermute_b32 v2, v5, v1
	s_waitcnt lgkmcnt(0)
	v_add_f32_e32 v1, v1, v2
	;; [unrolled: 3-line block ×3, first 2 shown]
	s_or_b64 exec, exec, s[0:1]
	v_cmp_eq_u32_e32 vcc, 0, v0
	s_and_saveexec_b64 s[0:1], vcc
	s_cbranch_execz .LBB407_11
.LBB407_14:
	s_cmp_lg_u32 s18, 1
	s_mov_b64 s[0:1], -1
	s_cbranch_scc0 .LBB407_16
; %bb.15:
	s_mul_hi_u32 s1, s18, s2
	s_mul_i32 s0, s18, s2
	s_lshl_b64 s[0:1], s[0:1], 2
	s_mov_b32 s7, 0
	s_add_u32 s4, s8, s0
	s_addc_u32 s5, s9, s1
	s_lshl_b64 s[0:1], s[6:7], 2
	s_add_u32 s0, s4, s0
	s_addc_u32 s1, s5, s1
	v_mov_b32_e32 v0, 0
	s_waitcnt lgkmcnt(0)
	global_store_dword v0, v1, s[0:1]
	s_mov_b64 s[0:1], 0
.LBB407_16:
	s_andn2_b64 vcc, exec, s[0:1]
	s_cbranch_vccnz .LBB407_11
; %bb.17:
	s_waitcnt lgkmcnt(0)
	v_cvt_f16_f32_e32 v0, v1
	s_lshl_b64 s[0:1], s[2:3], 1
	s_add_u32 s0, s10, s0
	s_addc_u32 s1, s11, s1
	v_mov_b32_e32 v1, 0
	global_store_short v1, v0, s[0:1]
	s_endpgm
	.section	.rodata,"a",@progbits
	.p2align	6, 0x0
	.amdhsa_kernel _ZL18rocblas_dot_kernelIiLb0ELi512ELi8ELb0EDF16_PKPKDF16_fEviT5_lT_lS4_lS5_liPT6_PT4_
		.amdhsa_group_segment_fixed_size 256
		.amdhsa_private_segment_fixed_size 0
		.amdhsa_kernarg_size 352
		.amdhsa_user_sgpr_count 6
		.amdhsa_user_sgpr_private_segment_buffer 1
		.amdhsa_user_sgpr_dispatch_ptr 0
		.amdhsa_user_sgpr_queue_ptr 0
		.amdhsa_user_sgpr_kernarg_segment_ptr 1
		.amdhsa_user_sgpr_dispatch_id 0
		.amdhsa_user_sgpr_flat_scratch_init 0
		.amdhsa_user_sgpr_kernarg_preload_length 0
		.amdhsa_user_sgpr_kernarg_preload_offset 0
		.amdhsa_user_sgpr_private_segment_size 0
		.amdhsa_uses_dynamic_stack 0
		.amdhsa_system_sgpr_private_segment_wavefront_offset 0
		.amdhsa_system_sgpr_workgroup_id_x 1
		.amdhsa_system_sgpr_workgroup_id_y 0
		.amdhsa_system_sgpr_workgroup_id_z 1
		.amdhsa_system_sgpr_workgroup_info 0
		.amdhsa_system_vgpr_workitem_id 0
		.amdhsa_next_free_vgpr 11
		.amdhsa_next_free_sgpr 28
		.amdhsa_accum_offset 12
		.amdhsa_reserve_vcc 1
		.amdhsa_reserve_flat_scratch 0
		.amdhsa_float_round_mode_32 0
		.amdhsa_float_round_mode_16_64 0
		.amdhsa_float_denorm_mode_32 3
		.amdhsa_float_denorm_mode_16_64 3
		.amdhsa_dx10_clamp 1
		.amdhsa_ieee_mode 1
		.amdhsa_fp16_overflow 0
		.amdhsa_tg_split 0
		.amdhsa_exception_fp_ieee_invalid_op 0
		.amdhsa_exception_fp_denorm_src 0
		.amdhsa_exception_fp_ieee_div_zero 0
		.amdhsa_exception_fp_ieee_overflow 0
		.amdhsa_exception_fp_ieee_underflow 0
		.amdhsa_exception_fp_ieee_inexact 0
		.amdhsa_exception_int_div_zero 0
	.end_amdhsa_kernel
	.section	.text._ZL18rocblas_dot_kernelIiLb0ELi512ELi8ELb0EDF16_PKPKDF16_fEviT5_lT_lS4_lS5_liPT6_PT4_,"axG",@progbits,_ZL18rocblas_dot_kernelIiLb0ELi512ELi8ELb0EDF16_PKPKDF16_fEviT5_lT_lS4_lS5_liPT6_PT4_,comdat
.Lfunc_end407:
	.size	_ZL18rocblas_dot_kernelIiLb0ELi512ELi8ELb0EDF16_PKPKDF16_fEviT5_lT_lS4_lS5_liPT6_PT4_, .Lfunc_end407-_ZL18rocblas_dot_kernelIiLb0ELi512ELi8ELb0EDF16_PKPKDF16_fEviT5_lT_lS4_lS5_liPT6_PT4_
                                        ; -- End function
	.section	.AMDGPU.csdata,"",@progbits
; Kernel info:
; codeLenInByte = 992
; NumSgprs: 32
; NumVgprs: 11
; NumAgprs: 0
; TotalNumVgprs: 11
; ScratchSize: 0
; MemoryBound: 0
; FloatMode: 240
; IeeeMode: 1
; LDSByteSize: 256 bytes/workgroup (compile time only)
; SGPRBlocks: 3
; VGPRBlocks: 1
; NumSGPRsForWavesPerEU: 32
; NumVGPRsForWavesPerEU: 11
; AccumOffset: 12
; Occupancy: 8
; WaveLimiterHint : 0
; COMPUTE_PGM_RSRC2:SCRATCH_EN: 0
; COMPUTE_PGM_RSRC2:USER_SGPR: 6
; COMPUTE_PGM_RSRC2:TRAP_HANDLER: 0
; COMPUTE_PGM_RSRC2:TGID_X_EN: 1
; COMPUTE_PGM_RSRC2:TGID_Y_EN: 0
; COMPUTE_PGM_RSRC2:TGID_Z_EN: 1
; COMPUTE_PGM_RSRC2:TIDIG_COMP_CNT: 0
; COMPUTE_PGM_RSRC3_GFX90A:ACCUM_OFFSET: 2
; COMPUTE_PGM_RSRC3_GFX90A:TG_SPLIT: 0
	.section	.text._ZL24rocblas_dot_kernel_magsqIiLb0ELi512ELi8ELb0EDF16_PKPKDF16_fEviT5_lT_liPT6_PT4_,"axG",@progbits,_ZL24rocblas_dot_kernel_magsqIiLb0ELi512ELi8ELb0EDF16_PKPKDF16_fEviT5_lT_liPT6_PT4_,comdat
	.globl	_ZL24rocblas_dot_kernel_magsqIiLb0ELi512ELi8ELb0EDF16_PKPKDF16_fEviT5_lT_liPT6_PT4_ ; -- Begin function _ZL24rocblas_dot_kernel_magsqIiLb0ELi512ELi8ELb0EDF16_PKPKDF16_fEviT5_lT_liPT6_PT4_
	.p2align	8
	.type	_ZL24rocblas_dot_kernel_magsqIiLb0ELi512ELi8ELb0EDF16_PKPKDF16_fEviT5_lT_liPT6_PT4_,@function
_ZL24rocblas_dot_kernel_magsqIiLb0ELi512ELi8ELb0EDF16_PKPKDF16_fEviT5_lT_liPT6_PT4_: ; @_ZL24rocblas_dot_kernel_magsqIiLb0ELi512ELi8ELb0EDF16_PKPKDF16_fEviT5_lT_liPT6_PT4_
; %bb.0:
	s_mov_b32 s2, s7
	s_load_dword s7, s[4:5], 0x0
	s_load_dwordx4 s[8:11], s[4:5], 0x30
	s_load_dword s16, s[4:5], 0x40
	v_lshl_or_b32 v2, s6, 9, v0
	s_mov_b32 s3, 0
	s_waitcnt lgkmcnt(0)
	v_cmp_gt_i32_e32 vcc, s7, v2
	v_mov_b32_e32 v1, 0
	s_and_saveexec_b64 s[12:13], vcc
	s_cbranch_execz .LBB408_4
; %bb.1:
	s_load_dwordx4 s[20:23], s[4:5], 0x8
	s_load_dword s14, s[4:5], 0x18
	s_lshl_b64 s[0:1], s[2:3], 3
	s_waitcnt lgkmcnt(0)
	s_add_u32 s0, s20, s0
	s_addc_u32 s1, s21, s1
	s_load_dwordx2 s[0:1], s[0:1], 0x0
	v_mad_i64_i32 v[4:5], s[4:5], s14, v2, 0
	s_lshl_b32 s17, s16, 9
	s_lshl_b64 s[4:5], s[22:23], 1
	s_waitcnt lgkmcnt(0)
	s_add_u32 s0, s0, s4
	v_lshlrev_b64 v[6:7], 1, v[4:5]
	s_addc_u32 s1, s1, s5
	v_add_u32_e32 v4, s17, v2
	v_mov_b32_e32 v1, s1
	v_add_co_u32_e32 v2, vcc, s0, v6
	s_mul_hi_i32 s1, s14, s17
	s_mul_i32 s0, s14, s17
	s_lshl_b64 s[14:15], s[0:1], 1
	v_addc_co_u32_e32 v3, vcc, v1, v7, vcc
	s_mov_b64 s[4:5], 0
	v_mov_b32_e32 v1, 0
	v_mov_b32_e32 v5, s15
	s_mov_b32 s15, s3
.LBB408_2:                              ; =>This Inner Loop Header: Depth=1
	global_load_ushort v6, v[2:3], off
	s_add_i32 s18, s15, 1
	v_add_co_u32_e64 v2, s[0:1], s14, v2
	v_addc_co_u32_e64 v3, s[0:1], v3, v5, s[0:1]
	s_cmp_gt_u32 s15, 6
	v_cmp_le_i32_e32 vcc, s7, v4
	s_cselect_b64 s[0:1], -1, 0
	s_or_b64 s[0:1], s[0:1], vcc
	s_and_b64 s[0:1], exec, s[0:1]
	v_add_u32_e32 v4, s17, v4
	s_mov_b32 s15, s18
	s_or_b64 s[4:5], s[0:1], s[4:5]
	s_waitcnt vmcnt(0)
	v_fma_mix_f32 v1, v6, v6, v1 op_sel_hi:[1,1,0]
	s_andn2_b64 exec, exec, s[4:5]
	s_cbranch_execnz .LBB408_2
; %bb.3:
	s_or_b64 exec, exec, s[4:5]
.LBB408_4:
	s_or_b64 exec, exec, s[12:13]
	v_and_b32_e32 v3, 63, v0
	v_cmp_gt_u32_e32 vcc, 64, v0
	v_lshlrev_b32_e32 v2, 2, v3
	s_and_saveexec_b64 s[0:1], vcc
	s_cbranch_execz .LBB408_6
; %bb.5:
	v_mov_b32_e32 v4, 0
	ds_write_b32 v2, v4
.LBB408_6:
	s_or_b64 exec, exec, s[0:1]
	v_mbcnt_lo_u32_b32 v4, -1, 0
	v_mbcnt_hi_u32_b32 v6, -1, v4
	v_and_b32_e32 v7, 63, v6
	v_cmp_gt_u32_e64 s[0:1], 32, v7
	v_cndmask_b32_e64 v4, 0, 1, s[0:1]
	v_lshlrev_b32_e32 v4, 5, v4
	v_add_lshl_u32 v4, v4, v6, 2
	ds_bpermute_b32 v4, v4, v1
	v_cmp_gt_u32_e64 s[0:1], 48, v7
	v_cndmask_b32_e64 v5, 0, 1, s[0:1]
	v_lshlrev_b32_e32 v5, 4, v5
	v_cmp_gt_u32_e64 s[0:1], 56, v7
	s_waitcnt lgkmcnt(0)
	v_add_f32_e32 v1, v1, v4
	v_add_lshl_u32 v4, v5, v6, 2
	ds_bpermute_b32 v4, v4, v1
	v_cndmask_b32_e64 v5, 0, 1, s[0:1]
	v_lshlrev_b32_e32 v5, 3, v5
	v_cmp_gt_u32_e64 s[0:1], 60, v7
	s_waitcnt lgkmcnt(0)
	v_add_f32_e32 v1, v1, v4
	v_add_lshl_u32 v4, v5, v6, 2
	ds_bpermute_b32 v4, v4, v1
	v_cndmask_b32_e64 v5, 0, 1, s[0:1]
	v_lshlrev_b32_e32 v5, 2, v5
	v_cmp_gt_u32_e64 s[0:1], 62, v7
	v_cndmask_b32_e64 v8, 0, 1, s[0:1]
	s_waitcnt lgkmcnt(0)
	v_add_f32_e32 v1, v1, v4
	v_add_lshl_u32 v4, v5, v6, 2
	ds_bpermute_b32 v5, v4, v1
	v_lshlrev_b32_e32 v8, 1, v8
	v_cmp_ne_u32_e64 s[0:1], 63, v7
	s_barrier
	s_waitcnt lgkmcnt(0)
	v_add_f32_e32 v1, v1, v5
	v_add_lshl_u32 v5, v8, v6, 2
	ds_bpermute_b32 v8, v5, v1
	v_addc_co_u32_e64 v6, s[0:1], 0, v6, s[0:1]
	v_lshlrev_b32_e32 v6, 2, v6
	v_cmp_eq_u32_e64 s[0:1], 0, v3
	s_waitcnt lgkmcnt(0)
	v_add_f32_e32 v1, v1, v8
	ds_bpermute_b32 v7, v6, v1
	s_and_saveexec_b64 s[4:5], s[0:1]
	s_cbranch_execz .LBB408_8
; %bb.7:
	v_lshrrev_b32_e32 v3, 4, v0
	s_waitcnt lgkmcnt(0)
	v_add_f32_e32 v1, v1, v7
	v_and_b32_e32 v3, 28, v3
	ds_write_b32 v3, v1
.LBB408_8:
	s_or_b64 exec, exec, s[4:5]
	v_cmp_gt_u32_e64 s[0:1], 8, v0
	v_mov_b32_e32 v1, 0
	s_waitcnt lgkmcnt(0)
	s_barrier
	s_and_saveexec_b64 s[4:5], s[0:1]
	s_cbranch_execnz .LBB408_12
; %bb.9:
	s_or_b64 exec, exec, s[4:5]
	s_and_saveexec_b64 s[0:1], vcc
	s_cbranch_execnz .LBB408_13
.LBB408_10:
	s_or_b64 exec, exec, s[0:1]
	v_cmp_eq_u32_e32 vcc, 0, v0
	s_and_saveexec_b64 s[0:1], vcc
	s_cbranch_execnz .LBB408_14
.LBB408_11:
	s_endpgm
.LBB408_12:
	ds_read_b32 v1, v2
	s_or_b64 exec, exec, s[4:5]
	s_and_saveexec_b64 s[0:1], vcc
	s_cbranch_execz .LBB408_10
.LBB408_13:
	s_waitcnt lgkmcnt(0)
	ds_bpermute_b32 v2, v4, v1
	s_waitcnt lgkmcnt(0)
	v_add_f32_e32 v1, v1, v2
	ds_bpermute_b32 v2, v5, v1
	s_waitcnt lgkmcnt(0)
	v_add_f32_e32 v1, v1, v2
	;; [unrolled: 3-line block ×3, first 2 shown]
	s_or_b64 exec, exec, s[0:1]
	v_cmp_eq_u32_e32 vcc, 0, v0
	s_and_saveexec_b64 s[0:1], vcc
	s_cbranch_execz .LBB408_11
.LBB408_14:
	s_cmp_lg_u32 s16, 1
	s_mov_b64 s[0:1], -1
	s_cbranch_scc0 .LBB408_16
; %bb.15:
	s_mul_hi_u32 s1, s16, s2
	s_mul_i32 s0, s16, s2
	s_lshl_b64 s[0:1], s[0:1], 2
	s_mov_b32 s7, 0
	s_add_u32 s4, s8, s0
	s_addc_u32 s5, s9, s1
	s_lshl_b64 s[0:1], s[6:7], 2
	s_add_u32 s0, s4, s0
	s_addc_u32 s1, s5, s1
	v_mov_b32_e32 v0, 0
	s_waitcnt lgkmcnt(0)
	global_store_dword v0, v1, s[0:1]
	s_mov_b64 s[0:1], 0
.LBB408_16:
	s_andn2_b64 vcc, exec, s[0:1]
	s_cbranch_vccnz .LBB408_11
; %bb.17:
	s_waitcnt lgkmcnt(0)
	v_cvt_f16_f32_e32 v0, v1
	s_lshl_b64 s[0:1], s[2:3], 1
	s_add_u32 s0, s10, s0
	s_addc_u32 s1, s11, s1
	v_mov_b32_e32 v1, 0
	global_store_short v1, v0, s[0:1]
	s_endpgm
	.section	.rodata,"a",@progbits
	.p2align	6, 0x0
	.amdhsa_kernel _ZL24rocblas_dot_kernel_magsqIiLb0ELi512ELi8ELb0EDF16_PKPKDF16_fEviT5_lT_liPT6_PT4_
		.amdhsa_group_segment_fixed_size 256
		.amdhsa_private_segment_fixed_size 0
		.amdhsa_kernarg_size 320
		.amdhsa_user_sgpr_count 6
		.amdhsa_user_sgpr_private_segment_buffer 1
		.amdhsa_user_sgpr_dispatch_ptr 0
		.amdhsa_user_sgpr_queue_ptr 0
		.amdhsa_user_sgpr_kernarg_segment_ptr 1
		.amdhsa_user_sgpr_dispatch_id 0
		.amdhsa_user_sgpr_flat_scratch_init 0
		.amdhsa_user_sgpr_kernarg_preload_length 0
		.amdhsa_user_sgpr_kernarg_preload_offset 0
		.amdhsa_user_sgpr_private_segment_size 0
		.amdhsa_uses_dynamic_stack 0
		.amdhsa_system_sgpr_private_segment_wavefront_offset 0
		.amdhsa_system_sgpr_workgroup_id_x 1
		.amdhsa_system_sgpr_workgroup_id_y 0
		.amdhsa_system_sgpr_workgroup_id_z 1
		.amdhsa_system_sgpr_workgroup_info 0
		.amdhsa_system_vgpr_workitem_id 0
		.amdhsa_next_free_vgpr 9
		.amdhsa_next_free_sgpr 24
		.amdhsa_accum_offset 12
		.amdhsa_reserve_vcc 1
		.amdhsa_reserve_flat_scratch 0
		.amdhsa_float_round_mode_32 0
		.amdhsa_float_round_mode_16_64 0
		.amdhsa_float_denorm_mode_32 3
		.amdhsa_float_denorm_mode_16_64 3
		.amdhsa_dx10_clamp 1
		.amdhsa_ieee_mode 1
		.amdhsa_fp16_overflow 0
		.amdhsa_tg_split 0
		.amdhsa_exception_fp_ieee_invalid_op 0
		.amdhsa_exception_fp_denorm_src 0
		.amdhsa_exception_fp_ieee_div_zero 0
		.amdhsa_exception_fp_ieee_overflow 0
		.amdhsa_exception_fp_ieee_underflow 0
		.amdhsa_exception_fp_ieee_inexact 0
		.amdhsa_exception_int_div_zero 0
	.end_amdhsa_kernel
	.section	.text._ZL24rocblas_dot_kernel_magsqIiLb0ELi512ELi8ELb0EDF16_PKPKDF16_fEviT5_lT_liPT6_PT4_,"axG",@progbits,_ZL24rocblas_dot_kernel_magsqIiLb0ELi512ELi8ELb0EDF16_PKPKDF16_fEviT5_lT_liPT6_PT4_,comdat
.Lfunc_end408:
	.size	_ZL24rocblas_dot_kernel_magsqIiLb0ELi512ELi8ELb0EDF16_PKPKDF16_fEviT5_lT_liPT6_PT4_, .Lfunc_end408-_ZL24rocblas_dot_kernel_magsqIiLb0ELi512ELi8ELb0EDF16_PKPKDF16_fEviT5_lT_liPT6_PT4_
                                        ; -- End function
	.section	.AMDGPU.csdata,"",@progbits
; Kernel info:
; codeLenInByte = 880
; NumSgprs: 28
; NumVgprs: 9
; NumAgprs: 0
; TotalNumVgprs: 9
; ScratchSize: 0
; MemoryBound: 0
; FloatMode: 240
; IeeeMode: 1
; LDSByteSize: 256 bytes/workgroup (compile time only)
; SGPRBlocks: 3
; VGPRBlocks: 1
; NumSGPRsForWavesPerEU: 28
; NumVGPRsForWavesPerEU: 9
; AccumOffset: 12
; Occupancy: 8
; WaveLimiterHint : 0
; COMPUTE_PGM_RSRC2:SCRATCH_EN: 0
; COMPUTE_PGM_RSRC2:USER_SGPR: 6
; COMPUTE_PGM_RSRC2:TRAP_HANDLER: 0
; COMPUTE_PGM_RSRC2:TGID_X_EN: 1
; COMPUTE_PGM_RSRC2:TGID_Y_EN: 0
; COMPUTE_PGM_RSRC2:TGID_Z_EN: 1
; COMPUTE_PGM_RSRC2:TIDIG_COMP_CNT: 0
; COMPUTE_PGM_RSRC3_GFX90A:ACCUM_OFFSET: 2
; COMPUTE_PGM_RSRC3_GFX90A:TG_SPLIT: 0
	.section	.text._ZL28rocblas_dot_batched_4_kernelIiLi32ELi4ELb0EffPKPKDF16_EviT5_lT_lS4_lS5_liPT4_,"axG",@progbits,_ZL28rocblas_dot_batched_4_kernelIiLi32ELi4ELb0EffPKPKDF16_EviT5_lT_lS4_lS5_liPT4_,comdat
	.globl	_ZL28rocblas_dot_batched_4_kernelIiLi32ELi4ELb0EffPKPKDF16_EviT5_lT_lS4_lS5_liPT4_ ; -- Begin function _ZL28rocblas_dot_batched_4_kernelIiLi32ELi4ELb0EffPKPKDF16_EviT5_lT_lS4_lS5_liPT4_
	.p2align	8
	.type	_ZL28rocblas_dot_batched_4_kernelIiLi32ELi4ELb0EffPKPKDF16_EviT5_lT_lS4_lS5_liPT4_,@function
_ZL28rocblas_dot_batched_4_kernelIiLi32ELi4ELb0EffPKPKDF16_EviT5_lT_lS4_lS5_liPT4_: ; @_ZL28rocblas_dot_batched_4_kernelIiLi32ELi4ELb0EffPKPKDF16_EviT5_lT_lS4_lS5_liPT4_
; %bb.0:
	s_load_dword s0, s[4:5], 0x48
	v_bfe_u32 v1, v0, 10, 10
	v_lshl_add_u32 v2, s6, 2, v1
	s_waitcnt lgkmcnt(0)
	v_cmp_gt_u32_e32 vcc, s0, v2
	s_and_saveexec_b64 s[0:1], vcc
	s_cbranch_execz .LBB409_7
; %bb.1:
	s_load_dword s14, s[4:5], 0x0
	s_load_dwordx2 s[6:7], s[4:5], 0x50
	v_mov_b32_e32 v3, 0
	v_and_b32_e32 v6, 0x3ff, v0
	v_mov_b32_e32 v7, v3
	s_waitcnt lgkmcnt(0)
	v_cmp_gt_i32_e32 vcc, s14, v6
	s_and_saveexec_b64 s[12:13], vcc
	s_cbranch_execz .LBB409_5
; %bb.2:
	s_load_dwordx4 s[0:3], s[4:5], 0x8
	s_load_dwordx4 s[8:11], s[4:5], 0x28
	v_lshlrev_b64 v[0:1], 3, v[2:3]
	s_load_dword s16, s[4:5], 0x18
	s_waitcnt lgkmcnt(0)
	v_mov_b32_e32 v5, s1
	v_add_co_u32_e32 v4, vcc, s0, v0
	v_addc_co_u32_e32 v5, vcc, v5, v1, vcc
	global_load_dwordx2 v[4:5], v[4:5], off
	v_mov_b32_e32 v7, s9
	v_add_co_u32_e32 v0, vcc, s8, v0
	v_addc_co_u32_e32 v1, vcc, v7, v1, vcc
	global_load_dwordx2 v[10:11], v[0:1], off
	s_load_dword s4, s[4:5], 0x38
	v_mad_i64_i32 v[0:1], s[8:9], s16, v6, 0
	s_lshl_b64 s[8:9], s[2:3], 1
	v_lshlrev_b64 v[0:1], 1, v[0:1]
	s_waitcnt lgkmcnt(0)
	v_mad_i64_i32 v[8:9], s[2:3], s4, v6, 0
	v_mov_b32_e32 v12, s9
	v_add_co_u32_e32 v0, vcc, s8, v0
	s_lshl_b64 s[10:11], s[10:11], 1
	v_lshlrev_b64 v[8:9], 1, v[8:9]
	v_addc_co_u32_e32 v1, vcc, v1, v12, vcc
	v_mov_b32_e32 v13, s11
	v_add_co_u32_e32 v12, vcc, s10, v8
	v_addc_co_u32_e32 v13, vcc, v9, v13, vcc
	s_ashr_i32 s17, s16, 31
	s_ashr_i32 s5, s4, 31
	s_lshl_b64 s[2:3], s[16:17], 6
	s_lshl_b64 s[4:5], s[4:5], 6
	s_mov_b64 s[0:1], 0
	v_mov_b32_e32 v7, 0
	v_mov_b32_e32 v8, s3
	;; [unrolled: 1-line block ×3, first 2 shown]
	s_waitcnt vmcnt(1)
	v_add_co_u32_e32 v0, vcc, v4, v0
	v_addc_co_u32_e32 v1, vcc, v5, v1, vcc
	s_waitcnt vmcnt(0)
	v_add_co_u32_e32 v4, vcc, v10, v12
	v_addc_co_u32_e32 v5, vcc, v11, v13, vcc
	v_mov_b32_e32 v10, v6
.LBB409_3:                              ; =>This Inner Loop Header: Depth=1
	global_load_ushort v11, v[0:1], off
	global_load_ushort v12, v[4:5], off
	v_add_co_u32_e32 v0, vcc, s2, v0
	v_addc_co_u32_e32 v1, vcc, v1, v8, vcc
	v_add_co_u32_e32 v4, vcc, s4, v4
	v_add_u32_e32 v10, 32, v10
	v_addc_co_u32_e32 v5, vcc, v5, v9, vcc
	v_cmp_le_i32_e32 vcc, s14, v10
	s_or_b64 s[0:1], vcc, s[0:1]
	s_waitcnt vmcnt(0)
	v_fma_mix_f32 v7, v11, v12, v7 op_sel_hi:[1,1,0]
	s_andn2_b64 exec, exec, s[0:1]
	s_cbranch_execnz .LBB409_3
; %bb.4:
	s_or_b64 exec, exec, s[0:1]
.LBB409_5:
	s_or_b64 exec, exec, s[12:13]
	v_mbcnt_lo_u32_b32 v0, -1, 0
	v_mbcnt_hi_u32_b32 v0, -1, v0
	v_and_b32_e32 v1, 63, v0
	v_cmp_gt_u32_e32 vcc, 48, v1
	v_cndmask_b32_e64 v4, 0, 1, vcc
	v_lshlrev_b32_e32 v4, 4, v4
	v_add_lshl_u32 v4, v4, v0, 2
	ds_bpermute_b32 v4, v4, v7
	v_cmp_gt_u32_e32 vcc, 56, v1
	v_cndmask_b32_e64 v5, 0, 1, vcc
	v_lshlrev_b32_e32 v5, 3, v5
	v_add_lshl_u32 v5, v5, v0, 2
	s_waitcnt lgkmcnt(0)
	v_add_f32_e32 v4, v7, v4
	ds_bpermute_b32 v5, v5, v4
	v_cmp_gt_u32_e32 vcc, 60, v1
	v_cndmask_b32_e64 v7, 0, 1, vcc
	v_lshlrev_b32_e32 v7, 2, v7
	v_cmp_gt_u32_e32 vcc, 62, v1
	s_waitcnt lgkmcnt(0)
	v_add_f32_e32 v4, v4, v5
	v_add_lshl_u32 v5, v7, v0, 2
	ds_bpermute_b32 v5, v5, v4
	v_cndmask_b32_e64 v7, 0, 1, vcc
	v_lshlrev_b32_e32 v7, 1, v7
	v_cmp_ne_u32_e32 vcc, 63, v1
	v_addc_co_u32_e32 v1, vcc, 0, v0, vcc
	s_waitcnt lgkmcnt(0)
	v_add_f32_e32 v4, v4, v5
	v_add_lshl_u32 v5, v7, v0, 2
	ds_bpermute_b32 v5, v5, v4
	v_lshlrev_b32_e32 v1, 2, v1
	v_cmp_eq_u32_e32 vcc, 0, v6
	s_waitcnt lgkmcnt(0)
	s_barrier
	v_add_f32_e32 v0, v4, v5
	ds_bpermute_b32 v1, v1, v0
	s_waitcnt lgkmcnt(0)
	s_and_b64 exec, exec, vcc
	s_cbranch_execz .LBB409_7
; %bb.6:
	v_lshlrev_b64 v[2:3], 2, v[2:3]
	v_mov_b32_e32 v4, s7
	v_add_co_u32_e32 v2, vcc, s6, v2
	v_addc_co_u32_e32 v3, vcc, v4, v3, vcc
	v_add_f32_e32 v0, v0, v1
	global_store_dword v[2:3], v0, off
.LBB409_7:
	s_endpgm
	.section	.rodata,"a",@progbits
	.p2align	6, 0x0
	.amdhsa_kernel _ZL28rocblas_dot_batched_4_kernelIiLi32ELi4ELb0EffPKPKDF16_EviT5_lT_lS4_lS5_liPT4_
		.amdhsa_group_segment_fixed_size 0
		.amdhsa_private_segment_fixed_size 0
		.amdhsa_kernarg_size 88
		.amdhsa_user_sgpr_count 6
		.amdhsa_user_sgpr_private_segment_buffer 1
		.amdhsa_user_sgpr_dispatch_ptr 0
		.amdhsa_user_sgpr_queue_ptr 0
		.amdhsa_user_sgpr_kernarg_segment_ptr 1
		.amdhsa_user_sgpr_dispatch_id 0
		.amdhsa_user_sgpr_flat_scratch_init 0
		.amdhsa_user_sgpr_kernarg_preload_length 0
		.amdhsa_user_sgpr_kernarg_preload_offset 0
		.amdhsa_user_sgpr_private_segment_size 0
		.amdhsa_uses_dynamic_stack 0
		.amdhsa_system_sgpr_private_segment_wavefront_offset 0
		.amdhsa_system_sgpr_workgroup_id_x 1
		.amdhsa_system_sgpr_workgroup_id_y 0
		.amdhsa_system_sgpr_workgroup_id_z 0
		.amdhsa_system_sgpr_workgroup_info 0
		.amdhsa_system_vgpr_workitem_id 1
		.amdhsa_next_free_vgpr 14
		.amdhsa_next_free_sgpr 18
		.amdhsa_accum_offset 16
		.amdhsa_reserve_vcc 1
		.amdhsa_reserve_flat_scratch 0
		.amdhsa_float_round_mode_32 0
		.amdhsa_float_round_mode_16_64 0
		.amdhsa_float_denorm_mode_32 3
		.amdhsa_float_denorm_mode_16_64 3
		.amdhsa_dx10_clamp 1
		.amdhsa_ieee_mode 1
		.amdhsa_fp16_overflow 0
		.amdhsa_tg_split 0
		.amdhsa_exception_fp_ieee_invalid_op 0
		.amdhsa_exception_fp_denorm_src 0
		.amdhsa_exception_fp_ieee_div_zero 0
		.amdhsa_exception_fp_ieee_overflow 0
		.amdhsa_exception_fp_ieee_underflow 0
		.amdhsa_exception_fp_ieee_inexact 0
		.amdhsa_exception_int_div_zero 0
	.end_amdhsa_kernel
	.section	.text._ZL28rocblas_dot_batched_4_kernelIiLi32ELi4ELb0EffPKPKDF16_EviT5_lT_lS4_lS5_liPT4_,"axG",@progbits,_ZL28rocblas_dot_batched_4_kernelIiLi32ELi4ELb0EffPKPKDF16_EviT5_lT_lS4_lS5_liPT4_,comdat
.Lfunc_end409:
	.size	_ZL28rocblas_dot_batched_4_kernelIiLi32ELi4ELb0EffPKPKDF16_EviT5_lT_lS4_lS5_liPT4_, .Lfunc_end409-_ZL28rocblas_dot_batched_4_kernelIiLi32ELi4ELb0EffPKPKDF16_EviT5_lT_lS4_lS5_liPT4_
                                        ; -- End function
	.section	.AMDGPU.csdata,"",@progbits
; Kernel info:
; codeLenInByte = 628
; NumSgprs: 22
; NumVgprs: 14
; NumAgprs: 0
; TotalNumVgprs: 14
; ScratchSize: 0
; MemoryBound: 0
; FloatMode: 240
; IeeeMode: 1
; LDSByteSize: 0 bytes/workgroup (compile time only)
; SGPRBlocks: 2
; VGPRBlocks: 1
; NumSGPRsForWavesPerEU: 22
; NumVGPRsForWavesPerEU: 14
; AccumOffset: 16
; Occupancy: 8
; WaveLimiterHint : 0
; COMPUTE_PGM_RSRC2:SCRATCH_EN: 0
; COMPUTE_PGM_RSRC2:USER_SGPR: 6
; COMPUTE_PGM_RSRC2:TRAP_HANDLER: 0
; COMPUTE_PGM_RSRC2:TGID_X_EN: 1
; COMPUTE_PGM_RSRC2:TGID_Y_EN: 0
; COMPUTE_PGM_RSRC2:TGID_Z_EN: 0
; COMPUTE_PGM_RSRC2:TIDIG_COMP_CNT: 1
; COMPUTE_PGM_RSRC3_GFX90A:ACCUM_OFFSET: 3
; COMPUTE_PGM_RSRC3_GFX90A:TG_SPLIT: 0
	.section	.text._ZL28rocblas_dot_batched_4_kernelIiLi64ELi4ELb0EffPKPKDF16_EviT5_lT_lS4_lS5_liPT4_,"axG",@progbits,_ZL28rocblas_dot_batched_4_kernelIiLi64ELi4ELb0EffPKPKDF16_EviT5_lT_lS4_lS5_liPT4_,comdat
	.globl	_ZL28rocblas_dot_batched_4_kernelIiLi64ELi4ELb0EffPKPKDF16_EviT5_lT_lS4_lS5_liPT4_ ; -- Begin function _ZL28rocblas_dot_batched_4_kernelIiLi64ELi4ELb0EffPKPKDF16_EviT5_lT_lS4_lS5_liPT4_
	.p2align	8
	.type	_ZL28rocblas_dot_batched_4_kernelIiLi64ELi4ELb0EffPKPKDF16_EviT5_lT_lS4_lS5_liPT4_,@function
_ZL28rocblas_dot_batched_4_kernelIiLi64ELi4ELb0EffPKPKDF16_EviT5_lT_lS4_lS5_liPT4_: ; @_ZL28rocblas_dot_batched_4_kernelIiLi64ELi4ELb0EffPKPKDF16_EviT5_lT_lS4_lS5_liPT4_
; %bb.0:
	s_load_dword s0, s[4:5], 0x48
	v_bfe_u32 v1, v0, 10, 10
	v_lshl_add_u32 v2, s6, 2, v1
	s_waitcnt lgkmcnt(0)
	v_cmp_gt_u32_e32 vcc, s0, v2
	s_and_saveexec_b64 s[0:1], vcc
	s_cbranch_execz .LBB410_7
; %bb.1:
	s_load_dword s14, s[4:5], 0x0
	s_load_dwordx2 s[6:7], s[4:5], 0x50
	v_mov_b32_e32 v3, 0
	v_and_b32_e32 v6, 0x3ff, v0
	v_mov_b32_e32 v7, v3
	s_waitcnt lgkmcnt(0)
	v_cmp_gt_i32_e32 vcc, s14, v6
	s_and_saveexec_b64 s[12:13], vcc
	s_cbranch_execz .LBB410_5
; %bb.2:
	s_load_dwordx4 s[0:3], s[4:5], 0x8
	s_load_dwordx4 s[8:11], s[4:5], 0x28
	v_lshlrev_b64 v[0:1], 3, v[2:3]
	s_load_dword s16, s[4:5], 0x18
	s_waitcnt lgkmcnt(0)
	v_mov_b32_e32 v5, s1
	v_add_co_u32_e32 v4, vcc, s0, v0
	v_addc_co_u32_e32 v5, vcc, v5, v1, vcc
	global_load_dwordx2 v[4:5], v[4:5], off
	v_mov_b32_e32 v7, s9
	v_add_co_u32_e32 v0, vcc, s8, v0
	v_addc_co_u32_e32 v1, vcc, v7, v1, vcc
	global_load_dwordx2 v[10:11], v[0:1], off
	s_load_dword s4, s[4:5], 0x38
	v_mad_i64_i32 v[0:1], s[8:9], s16, v6, 0
	s_lshl_b64 s[8:9], s[2:3], 1
	v_lshlrev_b64 v[0:1], 1, v[0:1]
	s_waitcnt lgkmcnt(0)
	v_mad_i64_i32 v[8:9], s[2:3], s4, v6, 0
	v_mov_b32_e32 v12, s9
	v_add_co_u32_e32 v0, vcc, s8, v0
	s_lshl_b64 s[10:11], s[10:11], 1
	v_lshlrev_b64 v[8:9], 1, v[8:9]
	v_addc_co_u32_e32 v1, vcc, v1, v12, vcc
	v_mov_b32_e32 v13, s11
	v_add_co_u32_e32 v12, vcc, s10, v8
	v_addc_co_u32_e32 v13, vcc, v9, v13, vcc
	s_ashr_i32 s17, s16, 31
	s_ashr_i32 s5, s4, 31
	s_lshl_b64 s[2:3], s[16:17], 7
	s_lshl_b64 s[4:5], s[4:5], 7
	s_mov_b64 s[0:1], 0
	v_mov_b32_e32 v7, 0
	v_mov_b32_e32 v8, s3
	;; [unrolled: 1-line block ×3, first 2 shown]
	s_waitcnt vmcnt(1)
	v_add_co_u32_e32 v0, vcc, v4, v0
	v_addc_co_u32_e32 v1, vcc, v5, v1, vcc
	s_waitcnt vmcnt(0)
	v_add_co_u32_e32 v4, vcc, v10, v12
	v_addc_co_u32_e32 v5, vcc, v11, v13, vcc
	v_mov_b32_e32 v10, v6
.LBB410_3:                              ; =>This Inner Loop Header: Depth=1
	global_load_ushort v11, v[0:1], off
	global_load_ushort v12, v[4:5], off
	v_add_co_u32_e32 v0, vcc, s2, v0
	v_addc_co_u32_e32 v1, vcc, v1, v8, vcc
	v_add_co_u32_e32 v4, vcc, s4, v4
	v_add_u32_e32 v10, 64, v10
	v_addc_co_u32_e32 v5, vcc, v5, v9, vcc
	v_cmp_le_i32_e32 vcc, s14, v10
	s_or_b64 s[0:1], vcc, s[0:1]
	s_waitcnt vmcnt(0)
	v_fma_mix_f32 v7, v11, v12, v7 op_sel_hi:[1,1,0]
	s_andn2_b64 exec, exec, s[0:1]
	s_cbranch_execnz .LBB410_3
; %bb.4:
	s_or_b64 exec, exec, s[0:1]
.LBB410_5:
	s_or_b64 exec, exec, s[12:13]
	v_mbcnt_lo_u32_b32 v0, -1, 0
	v_mbcnt_hi_u32_b32 v0, -1, v0
	v_and_b32_e32 v1, 63, v0
	v_cmp_gt_u32_e32 vcc, 32, v1
	v_cndmask_b32_e64 v4, 0, 1, vcc
	v_lshlrev_b32_e32 v4, 5, v4
	v_add_lshl_u32 v4, v4, v0, 2
	ds_bpermute_b32 v4, v4, v7
	v_cmp_gt_u32_e32 vcc, 48, v1
	v_cndmask_b32_e64 v5, 0, 1, vcc
	v_lshlrev_b32_e32 v5, 4, v5
	v_add_lshl_u32 v5, v5, v0, 2
	s_waitcnt lgkmcnt(0)
	v_add_f32_e32 v4, v7, v4
	ds_bpermute_b32 v5, v5, v4
	v_cmp_gt_u32_e32 vcc, 56, v1
	v_cndmask_b32_e64 v7, 0, 1, vcc
	v_lshlrev_b32_e32 v7, 3, v7
	v_cmp_gt_u32_e32 vcc, 60, v1
	s_waitcnt lgkmcnt(0)
	v_add_f32_e32 v4, v4, v5
	v_add_lshl_u32 v5, v7, v0, 2
	ds_bpermute_b32 v5, v5, v4
	v_cndmask_b32_e64 v7, 0, 1, vcc
	v_lshlrev_b32_e32 v7, 2, v7
	v_cmp_gt_u32_e32 vcc, 62, v1
	s_waitcnt lgkmcnt(0)
	v_add_f32_e32 v4, v4, v5
	v_add_lshl_u32 v5, v7, v0, 2
	ds_bpermute_b32 v5, v5, v4
	v_cndmask_b32_e64 v7, 0, 1, vcc
	v_lshlrev_b32_e32 v7, 1, v7
	v_cmp_ne_u32_e32 vcc, 63, v1
	v_addc_co_u32_e32 v1, vcc, 0, v0, vcc
	s_waitcnt lgkmcnt(0)
	v_add_f32_e32 v4, v4, v5
	v_add_lshl_u32 v5, v7, v0, 2
	ds_bpermute_b32 v5, v5, v4
	v_lshlrev_b32_e32 v1, 2, v1
	v_cmp_eq_u32_e32 vcc, 0, v6
	s_barrier
	s_waitcnt lgkmcnt(0)
	v_add_f32_e32 v0, v4, v5
	ds_bpermute_b32 v1, v1, v0
	s_and_b64 exec, exec, vcc
	s_cbranch_execz .LBB410_7
; %bb.6:
	v_lshlrev_b64 v[2:3], 2, v[2:3]
	v_mov_b32_e32 v4, s7
	v_add_co_u32_e32 v2, vcc, s6, v2
	v_addc_co_u32_e32 v3, vcc, v4, v3, vcc
	s_waitcnt lgkmcnt(0)
	v_add_f32_e32 v0, v0, v1
	global_store_dword v[2:3], v0, off
.LBB410_7:
	s_endpgm
	.section	.rodata,"a",@progbits
	.p2align	6, 0x0
	.amdhsa_kernel _ZL28rocblas_dot_batched_4_kernelIiLi64ELi4ELb0EffPKPKDF16_EviT5_lT_lS4_lS5_liPT4_
		.amdhsa_group_segment_fixed_size 0
		.amdhsa_private_segment_fixed_size 0
		.amdhsa_kernarg_size 88
		.amdhsa_user_sgpr_count 6
		.amdhsa_user_sgpr_private_segment_buffer 1
		.amdhsa_user_sgpr_dispatch_ptr 0
		.amdhsa_user_sgpr_queue_ptr 0
		.amdhsa_user_sgpr_kernarg_segment_ptr 1
		.amdhsa_user_sgpr_dispatch_id 0
		.amdhsa_user_sgpr_flat_scratch_init 0
		.amdhsa_user_sgpr_kernarg_preload_length 0
		.amdhsa_user_sgpr_kernarg_preload_offset 0
		.amdhsa_user_sgpr_private_segment_size 0
		.amdhsa_uses_dynamic_stack 0
		.amdhsa_system_sgpr_private_segment_wavefront_offset 0
		.amdhsa_system_sgpr_workgroup_id_x 1
		.amdhsa_system_sgpr_workgroup_id_y 0
		.amdhsa_system_sgpr_workgroup_id_z 0
		.amdhsa_system_sgpr_workgroup_info 0
		.amdhsa_system_vgpr_workitem_id 1
		.amdhsa_next_free_vgpr 14
		.amdhsa_next_free_sgpr 18
		.amdhsa_accum_offset 16
		.amdhsa_reserve_vcc 1
		.amdhsa_reserve_flat_scratch 0
		.amdhsa_float_round_mode_32 0
		.amdhsa_float_round_mode_16_64 0
		.amdhsa_float_denorm_mode_32 3
		.amdhsa_float_denorm_mode_16_64 3
		.amdhsa_dx10_clamp 1
		.amdhsa_ieee_mode 1
		.amdhsa_fp16_overflow 0
		.amdhsa_tg_split 0
		.amdhsa_exception_fp_ieee_invalid_op 0
		.amdhsa_exception_fp_denorm_src 0
		.amdhsa_exception_fp_ieee_div_zero 0
		.amdhsa_exception_fp_ieee_overflow 0
		.amdhsa_exception_fp_ieee_underflow 0
		.amdhsa_exception_fp_ieee_inexact 0
		.amdhsa_exception_int_div_zero 0
	.end_amdhsa_kernel
	.section	.text._ZL28rocblas_dot_batched_4_kernelIiLi64ELi4ELb0EffPKPKDF16_EviT5_lT_lS4_lS5_liPT4_,"axG",@progbits,_ZL28rocblas_dot_batched_4_kernelIiLi64ELi4ELb0EffPKPKDF16_EviT5_lT_lS4_lS5_liPT4_,comdat
.Lfunc_end410:
	.size	_ZL28rocblas_dot_batched_4_kernelIiLi64ELi4ELb0EffPKPKDF16_EviT5_lT_lS4_lS5_liPT4_, .Lfunc_end410-_ZL28rocblas_dot_batched_4_kernelIiLi64ELi4ELb0EffPKPKDF16_EviT5_lT_lS4_lS5_liPT4_
                                        ; -- End function
	.section	.AMDGPU.csdata,"",@progbits
; Kernel info:
; codeLenInByte = 668
; NumSgprs: 22
; NumVgprs: 14
; NumAgprs: 0
; TotalNumVgprs: 14
; ScratchSize: 0
; MemoryBound: 0
; FloatMode: 240
; IeeeMode: 1
; LDSByteSize: 0 bytes/workgroup (compile time only)
; SGPRBlocks: 2
; VGPRBlocks: 1
; NumSGPRsForWavesPerEU: 22
; NumVGPRsForWavesPerEU: 14
; AccumOffset: 16
; Occupancy: 8
; WaveLimiterHint : 0
; COMPUTE_PGM_RSRC2:SCRATCH_EN: 0
; COMPUTE_PGM_RSRC2:USER_SGPR: 6
; COMPUTE_PGM_RSRC2:TRAP_HANDLER: 0
; COMPUTE_PGM_RSRC2:TGID_X_EN: 1
; COMPUTE_PGM_RSRC2:TGID_Y_EN: 0
; COMPUTE_PGM_RSRC2:TGID_Z_EN: 0
; COMPUTE_PGM_RSRC2:TIDIG_COMP_CNT: 1
; COMPUTE_PGM_RSRC3_GFX90A:ACCUM_OFFSET: 3
; COMPUTE_PGM_RSRC3_GFX90A:TG_SPLIT: 0
	.section	.text._ZL18rocblas_dot_kernelIiLb1ELi1024ELi32ELb0EfPKPKDF16_fEviT5_lT_lS4_lS5_liPT6_PT4_,"axG",@progbits,_ZL18rocblas_dot_kernelIiLb1ELi1024ELi32ELb0EfPKPKDF16_fEviT5_lT_lS4_lS5_liPT6_PT4_,comdat
	.globl	_ZL18rocblas_dot_kernelIiLb1ELi1024ELi32ELb0EfPKPKDF16_fEviT5_lT_lS4_lS5_liPT6_PT4_ ; -- Begin function _ZL18rocblas_dot_kernelIiLb1ELi1024ELi32ELb0EfPKPKDF16_fEviT5_lT_lS4_lS5_liPT6_PT4_
	.p2align	8
	.type	_ZL18rocblas_dot_kernelIiLb1ELi1024ELi32ELb0EfPKPKDF16_fEviT5_lT_lS4_lS5_liPT6_PT4_,@function
_ZL18rocblas_dot_kernelIiLb1ELi1024ELi32ELb0EfPKPKDF16_fEviT5_lT_lS4_lS5_liPT6_PT4_: ; @_ZL18rocblas_dot_kernelIiLb1ELi1024ELi32ELb0EfPKPKDF16_fEviT5_lT_lS4_lS5_liPT6_PT4_
; %bb.0:
	s_mov_b32 s2, s7
	s_load_dword s14, s[4:5], 0x0
	s_load_dwordx2 s[6:7], s[4:5], 0x58
	s_mov_b32 s3, 0
	v_mov_b32_e32 v1, 0
	s_waitcnt lgkmcnt(0)
	v_cmp_gt_i32_e32 vcc, s14, v0
	s_and_saveexec_b64 s[8:9], vcc
	s_cbranch_execz .LBB411_4
; %bb.1:
	s_load_dwordx4 s[16:19], s[4:5], 0x8
	s_load_dword s24, s[4:5], 0x18
	s_load_dwordx4 s[20:23], s[4:5], 0x28
	s_lshl_b64 s[0:1], s[2:3], 3
	s_waitcnt lgkmcnt(0)
	s_add_u32 s10, s16, s0
	s_addc_u32 s11, s17, s1
	s_load_dword s16, s[4:5], 0x38
	s_load_dword s15, s[4:5], 0x60
	s_load_dwordx2 s[12:13], s[10:11], 0x0
	s_add_u32 s0, s20, s0
	s_addc_u32 s1, s21, s1
	v_mad_i64_i32 v[2:3], s[4:5], s24, v0, 0
	s_load_dwordx2 s[0:1], s[0:1], 0x0
	s_waitcnt lgkmcnt(0)
	s_lshl_b32 s15, s15, 10
	s_lshl_b64 s[4:5], s[18:19], 1
	s_add_u32 s4, s12, s4
	v_lshlrev_b64 v[2:3], 1, v[2:3]
	s_addc_u32 s5, s13, s5
	v_mov_b32_e32 v1, s5
	v_add_co_u32_e32 v2, vcc, s4, v2
	s_mul_hi_i32 s5, s24, s15
	s_mul_i32 s4, s24, s15
	v_mad_i64_i32 v[4:5], s[10:11], s16, v0, 0
	s_lshl_b64 s[4:5], s[4:5], 1
	s_lshl_b64 s[10:11], s[22:23], 1
	s_add_u32 s0, s0, s10
	v_addc_co_u32_e32 v3, vcc, v1, v3, vcc
	v_lshlrev_b64 v[4:5], 1, v[4:5]
	s_addc_u32 s1, s1, s11
	v_mov_b32_e32 v1, s1
	v_add_co_u32_e32 v4, vcc, s0, v4
	s_mul_hi_i32 s1, s16, s15
	s_mul_i32 s0, s16, s15
	s_lshl_b64 s[12:13], s[0:1], 1
	v_or_b32_e32 v6, s15, v0
	v_addc_co_u32_e32 v5, vcc, v1, v5, vcc
	s_mov_b64 s[10:11], 0
	v_mov_b32_e32 v1, 0
	v_mov_b32_e32 v7, s5
	;; [unrolled: 1-line block ×3, first 2 shown]
	s_mov_b32 s5, s3
.LBB411_2:                              ; =>This Inner Loop Header: Depth=1
	global_load_ushort v9, v[4:5], off
	global_load_ushort v10, v[2:3], off
	v_add_co_u32_e64 v2, s[0:1], s4, v2
	v_addc_co_u32_e64 v3, s[0:1], v3, v7, s[0:1]
	s_add_i32 s13, s5, 1
	v_add_co_u32_e64 v4, s[0:1], s12, v4
	v_addc_co_u32_e64 v5, s[0:1], v5, v8, s[0:1]
	s_cmp_gt_u32 s5, 30
	v_cmp_le_i32_e32 vcc, s14, v6
	s_cselect_b64 s[0:1], -1, 0
	s_or_b64 s[0:1], s[0:1], vcc
	s_and_b64 s[0:1], exec, s[0:1]
	v_add_u32_e32 v6, s15, v6
	s_mov_b32 s5, s13
	s_or_b64 s[10:11], s[0:1], s[10:11]
	s_waitcnt vmcnt(0)
	v_fma_mix_f32 v1, v9, v10, v1 op_sel_hi:[1,1,0]
	s_andn2_b64 exec, exec, s[10:11]
	s_cbranch_execnz .LBB411_2
; %bb.3:
	s_or_b64 exec, exec, s[10:11]
.LBB411_4:
	s_or_b64 exec, exec, s[8:9]
	v_and_b32_e32 v3, 63, v0
	v_cmp_gt_u32_e32 vcc, 64, v0
	v_lshlrev_b32_e32 v2, 2, v3
	s_and_saveexec_b64 s[0:1], vcc
	s_cbranch_execz .LBB411_6
; %bb.5:
	v_mov_b32_e32 v4, 0
	ds_write_b32 v2, v4
.LBB411_6:
	s_or_b64 exec, exec, s[0:1]
	v_mbcnt_lo_u32_b32 v4, -1, 0
	v_mbcnt_hi_u32_b32 v6, -1, v4
	v_and_b32_e32 v7, 63, v6
	v_cmp_gt_u32_e64 s[0:1], 32, v7
	v_cndmask_b32_e64 v4, 0, 1, s[0:1]
	v_lshlrev_b32_e32 v4, 5, v4
	v_add_lshl_u32 v4, v4, v6, 2
	ds_bpermute_b32 v4, v4, v1
	v_cmp_gt_u32_e64 s[0:1], 48, v7
	v_cndmask_b32_e64 v5, 0, 1, s[0:1]
	v_lshlrev_b32_e32 v5, 4, v5
	v_cmp_gt_u32_e64 s[0:1], 56, v7
	s_waitcnt lgkmcnt(0)
	v_add_f32_e32 v1, v1, v4
	v_add_lshl_u32 v4, v5, v6, 2
	ds_bpermute_b32 v4, v4, v1
	v_cndmask_b32_e64 v5, 0, 1, s[0:1]
	v_lshlrev_b32_e32 v5, 3, v5
	v_cmp_gt_u32_e64 s[0:1], 60, v7
	v_cndmask_b32_e64 v8, 0, 1, s[0:1]
	s_waitcnt lgkmcnt(0)
	v_add_f32_e32 v4, v1, v4
	v_add_lshl_u32 v1, v5, v6, 2
	ds_bpermute_b32 v5, v1, v4
	v_lshlrev_b32_e32 v8, 2, v8
	v_cmp_gt_u32_e64 s[0:1], 62, v7
	v_cndmask_b32_e64 v9, 0, 1, s[0:1]
	v_lshlrev_b32_e32 v9, 1, v9
	s_waitcnt lgkmcnt(0)
	v_add_f32_e32 v5, v4, v5
	v_add_lshl_u32 v4, v8, v6, 2
	ds_bpermute_b32 v8, v4, v5
	v_cmp_ne_u32_e64 s[0:1], 63, v7
	s_waitcnt lgkmcnt(0)
	s_barrier
	v_add_f32_e32 v8, v5, v8
	v_add_lshl_u32 v5, v9, v6, 2
	ds_bpermute_b32 v9, v5, v8
	v_addc_co_u32_e64 v6, s[0:1], 0, v6, s[0:1]
	v_lshlrev_b32_e32 v6, 2, v6
	v_cmp_eq_u32_e64 s[0:1], 0, v3
	s_waitcnt lgkmcnt(0)
	v_add_f32_e32 v7, v8, v9
	ds_bpermute_b32 v8, v6, v7
	s_and_saveexec_b64 s[4:5], s[0:1]
	s_cbranch_execz .LBB411_8
; %bb.7:
	s_waitcnt lgkmcnt(0)
	v_add_f32_e32 v3, v7, v8
	v_lshrrev_b32_e32 v7, 4, v0
	v_and_b32_e32 v7, 60, v7
	ds_write_b32 v7, v3
.LBB411_8:
	s_or_b64 exec, exec, s[4:5]
	v_cmp_gt_u32_e64 s[0:1], 16, v0
	v_mov_b32_e32 v3, 0
	s_waitcnt lgkmcnt(0)
	s_barrier
	s_and_saveexec_b64 s[4:5], s[0:1]
	s_cbranch_execnz .LBB411_12
; %bb.9:
	s_or_b64 exec, exec, s[4:5]
	s_and_saveexec_b64 s[0:1], vcc
	s_cbranch_execnz .LBB411_13
.LBB411_10:
	s_or_b64 exec, exec, s[0:1]
	v_cmp_eq_u32_e32 vcc, 0, v0
	s_and_saveexec_b64 s[0:1], vcc
	s_cbranch_execnz .LBB411_14
.LBB411_11:
	s_endpgm
.LBB411_12:
	ds_read_b32 v3, v2
	s_or_b64 exec, exec, s[4:5]
	s_and_saveexec_b64 s[0:1], vcc
	s_cbranch_execz .LBB411_10
.LBB411_13:
	s_waitcnt lgkmcnt(0)
	ds_bpermute_b32 v1, v1, v3
	s_waitcnt lgkmcnt(0)
	v_add_f32_e32 v1, v3, v1
	ds_bpermute_b32 v2, v4, v1
	s_waitcnt lgkmcnt(0)
	v_add_f32_e32 v1, v1, v2
	;; [unrolled: 3-line block ×4, first 2 shown]
	s_or_b64 exec, exec, s[0:1]
	v_cmp_eq_u32_e32 vcc, 0, v0
	s_and_saveexec_b64 s[0:1], vcc
	s_cbranch_execz .LBB411_11
.LBB411_14:
	s_lshl_b64 s[0:1], s[2:3], 2
	s_add_u32 s0, s6, s0
	s_addc_u32 s1, s7, s1
	v_mov_b32_e32 v0, 0
	s_waitcnt lgkmcnt(0)
	global_store_dword v0, v3, s[0:1]
	s_endpgm
	.section	.rodata,"a",@progbits
	.p2align	6, 0x0
	.amdhsa_kernel _ZL18rocblas_dot_kernelIiLb1ELi1024ELi32ELb0EfPKPKDF16_fEviT5_lT_lS4_lS5_liPT6_PT4_
		.amdhsa_group_segment_fixed_size 256
		.amdhsa_private_segment_fixed_size 0
		.amdhsa_kernarg_size 352
		.amdhsa_user_sgpr_count 6
		.amdhsa_user_sgpr_private_segment_buffer 1
		.amdhsa_user_sgpr_dispatch_ptr 0
		.amdhsa_user_sgpr_queue_ptr 0
		.amdhsa_user_sgpr_kernarg_segment_ptr 1
		.amdhsa_user_sgpr_dispatch_id 0
		.amdhsa_user_sgpr_flat_scratch_init 0
		.amdhsa_user_sgpr_kernarg_preload_length 0
		.amdhsa_user_sgpr_kernarg_preload_offset 0
		.amdhsa_user_sgpr_private_segment_size 0
		.amdhsa_uses_dynamic_stack 0
		.amdhsa_system_sgpr_private_segment_wavefront_offset 0
		.amdhsa_system_sgpr_workgroup_id_x 1
		.amdhsa_system_sgpr_workgroup_id_y 0
		.amdhsa_system_sgpr_workgroup_id_z 1
		.amdhsa_system_sgpr_workgroup_info 0
		.amdhsa_system_vgpr_workitem_id 0
		.amdhsa_next_free_vgpr 11
		.amdhsa_next_free_sgpr 25
		.amdhsa_accum_offset 12
		.amdhsa_reserve_vcc 1
		.amdhsa_reserve_flat_scratch 0
		.amdhsa_float_round_mode_32 0
		.amdhsa_float_round_mode_16_64 0
		.amdhsa_float_denorm_mode_32 3
		.amdhsa_float_denorm_mode_16_64 3
		.amdhsa_dx10_clamp 1
		.amdhsa_ieee_mode 1
		.amdhsa_fp16_overflow 0
		.amdhsa_tg_split 0
		.amdhsa_exception_fp_ieee_invalid_op 0
		.amdhsa_exception_fp_denorm_src 0
		.amdhsa_exception_fp_ieee_div_zero 0
		.amdhsa_exception_fp_ieee_overflow 0
		.amdhsa_exception_fp_ieee_underflow 0
		.amdhsa_exception_fp_ieee_inexact 0
		.amdhsa_exception_int_div_zero 0
	.end_amdhsa_kernel
	.section	.text._ZL18rocblas_dot_kernelIiLb1ELi1024ELi32ELb0EfPKPKDF16_fEviT5_lT_lS4_lS5_liPT6_PT4_,"axG",@progbits,_ZL18rocblas_dot_kernelIiLb1ELi1024ELi32ELb0EfPKPKDF16_fEviT5_lT_lS4_lS5_liPT6_PT4_,comdat
.Lfunc_end411:
	.size	_ZL18rocblas_dot_kernelIiLb1ELi1024ELi32ELb0EfPKPKDF16_fEviT5_lT_lS4_lS5_liPT6_PT4_, .Lfunc_end411-_ZL18rocblas_dot_kernelIiLb1ELi1024ELi32ELb0EfPKPKDF16_fEviT5_lT_lS4_lS5_liPT6_PT4_
                                        ; -- End function
	.section	.AMDGPU.csdata,"",@progbits
; Kernel info:
; codeLenInByte = 920
; NumSgprs: 29
; NumVgprs: 11
; NumAgprs: 0
; TotalNumVgprs: 11
; ScratchSize: 0
; MemoryBound: 0
; FloatMode: 240
; IeeeMode: 1
; LDSByteSize: 256 bytes/workgroup (compile time only)
; SGPRBlocks: 3
; VGPRBlocks: 1
; NumSGPRsForWavesPerEU: 29
; NumVGPRsForWavesPerEU: 11
; AccumOffset: 12
; Occupancy: 8
; WaveLimiterHint : 0
; COMPUTE_PGM_RSRC2:SCRATCH_EN: 0
; COMPUTE_PGM_RSRC2:USER_SGPR: 6
; COMPUTE_PGM_RSRC2:TRAP_HANDLER: 0
; COMPUTE_PGM_RSRC2:TGID_X_EN: 1
; COMPUTE_PGM_RSRC2:TGID_Y_EN: 0
; COMPUTE_PGM_RSRC2:TGID_Z_EN: 1
; COMPUTE_PGM_RSRC2:TIDIG_COMP_CNT: 0
; COMPUTE_PGM_RSRC3_GFX90A:ACCUM_OFFSET: 2
; COMPUTE_PGM_RSRC3_GFX90A:TG_SPLIT: 0
	.section	.text._ZL24rocblas_dot_kernel_magsqIiLb1ELi1024ELi32ELb0EfPKPKDF16_fEviT5_lT_liPT6_PT4_,"axG",@progbits,_ZL24rocblas_dot_kernel_magsqIiLb1ELi1024ELi32ELb0EfPKPKDF16_fEviT5_lT_liPT6_PT4_,comdat
	.globl	_ZL24rocblas_dot_kernel_magsqIiLb1ELi1024ELi32ELb0EfPKPKDF16_fEviT5_lT_liPT6_PT4_ ; -- Begin function _ZL24rocblas_dot_kernel_magsqIiLb1ELi1024ELi32ELb0EfPKPKDF16_fEviT5_lT_liPT6_PT4_
	.p2align	8
	.type	_ZL24rocblas_dot_kernel_magsqIiLb1ELi1024ELi32ELb0EfPKPKDF16_fEviT5_lT_liPT6_PT4_,@function
_ZL24rocblas_dot_kernel_magsqIiLb1ELi1024ELi32ELb0EfPKPKDF16_fEviT5_lT_liPT6_PT4_: ; @_ZL24rocblas_dot_kernel_magsqIiLb1ELi1024ELi32ELb0EfPKPKDF16_fEviT5_lT_liPT6_PT4_
; %bb.0:
	s_mov_b32 s2, s7
	s_load_dword s12, s[4:5], 0x0
	s_load_dwordx2 s[6:7], s[4:5], 0x38
	s_mov_b32 s3, 0
	v_mov_b32_e32 v1, 0
	s_waitcnt lgkmcnt(0)
	v_cmp_gt_i32_e32 vcc, s12, v0
	s_and_saveexec_b64 s[8:9], vcc
	s_cbranch_execz .LBB412_4
; %bb.1:
	s_load_dwordx4 s[16:19], s[4:5], 0x8
	s_load_dword s10, s[4:5], 0x40
	s_load_dword s11, s[4:5], 0x18
	s_lshl_b64 s[0:1], s[2:3], 3
	s_waitcnt lgkmcnt(0)
	s_add_u32 s0, s16, s0
	s_addc_u32 s1, s17, s1
	s_load_dwordx2 s[0:1], s[0:1], 0x0
	v_mad_i64_i32 v[2:3], s[4:5], s11, v0, 0
	s_lshl_b32 s13, s10, 10
	s_lshl_b64 s[4:5], s[18:19], 1
	s_waitcnt lgkmcnt(0)
	s_add_u32 s0, s0, s4
	v_lshlrev_b64 v[2:3], 1, v[2:3]
	s_addc_u32 s1, s1, s5
	v_mov_b32_e32 v1, s1
	v_add_co_u32_e32 v2, vcc, s0, v2
	s_mul_hi_i32 s1, s11, s13
	s_mul_i32 s0, s11, s13
	s_lshl_b64 s[10:11], s[0:1], 1
	v_or_b32_e32 v4, s13, v0
	v_addc_co_u32_e32 v3, vcc, v1, v3, vcc
	s_mov_b64 s[4:5], 0
	v_mov_b32_e32 v1, 0
	v_mov_b32_e32 v5, s11
	s_mov_b32 s11, s3
.LBB412_2:                              ; =>This Inner Loop Header: Depth=1
	global_load_ushort v6, v[2:3], off
	s_add_i32 s14, s11, 1
	v_add_co_u32_e64 v2, s[0:1], s10, v2
	v_addc_co_u32_e64 v3, s[0:1], v3, v5, s[0:1]
	s_cmp_gt_u32 s11, 30
	v_cmp_le_i32_e32 vcc, s12, v4
	s_cselect_b64 s[0:1], -1, 0
	s_or_b64 s[0:1], s[0:1], vcc
	s_and_b64 s[0:1], exec, s[0:1]
	v_add_u32_e32 v4, s13, v4
	s_mov_b32 s11, s14
	s_or_b64 s[4:5], s[0:1], s[4:5]
	s_waitcnt vmcnt(0)
	v_fma_mix_f32 v1, v6, v6, v1 op_sel_hi:[1,1,0]
	s_andn2_b64 exec, exec, s[4:5]
	s_cbranch_execnz .LBB412_2
; %bb.3:
	s_or_b64 exec, exec, s[4:5]
.LBB412_4:
	s_or_b64 exec, exec, s[8:9]
	v_and_b32_e32 v3, 63, v0
	v_cmp_gt_u32_e32 vcc, 64, v0
	v_lshlrev_b32_e32 v2, 2, v3
	s_and_saveexec_b64 s[0:1], vcc
	s_cbranch_execz .LBB412_6
; %bb.5:
	v_mov_b32_e32 v4, 0
	ds_write_b32 v2, v4
.LBB412_6:
	s_or_b64 exec, exec, s[0:1]
	v_mbcnt_lo_u32_b32 v4, -1, 0
	v_mbcnt_hi_u32_b32 v6, -1, v4
	v_and_b32_e32 v7, 63, v6
	v_cmp_gt_u32_e64 s[0:1], 32, v7
	v_cndmask_b32_e64 v4, 0, 1, s[0:1]
	v_lshlrev_b32_e32 v4, 5, v4
	v_add_lshl_u32 v4, v4, v6, 2
	ds_bpermute_b32 v4, v4, v1
	v_cmp_gt_u32_e64 s[0:1], 48, v7
	v_cndmask_b32_e64 v5, 0, 1, s[0:1]
	v_lshlrev_b32_e32 v5, 4, v5
	v_cmp_gt_u32_e64 s[0:1], 56, v7
	s_waitcnt lgkmcnt(0)
	v_add_f32_e32 v1, v1, v4
	v_add_lshl_u32 v4, v5, v6, 2
	ds_bpermute_b32 v4, v4, v1
	v_cndmask_b32_e64 v5, 0, 1, s[0:1]
	v_lshlrev_b32_e32 v5, 3, v5
	v_cmp_gt_u32_e64 s[0:1], 60, v7
	v_cndmask_b32_e64 v8, 0, 1, s[0:1]
	s_waitcnt lgkmcnt(0)
	v_add_f32_e32 v4, v1, v4
	v_add_lshl_u32 v1, v5, v6, 2
	ds_bpermute_b32 v5, v1, v4
	v_lshlrev_b32_e32 v8, 2, v8
	v_cmp_gt_u32_e64 s[0:1], 62, v7
	v_cndmask_b32_e64 v9, 0, 1, s[0:1]
	v_lshlrev_b32_e32 v9, 1, v9
	s_waitcnt lgkmcnt(0)
	v_add_f32_e32 v5, v4, v5
	v_add_lshl_u32 v4, v8, v6, 2
	ds_bpermute_b32 v8, v4, v5
	v_cmp_ne_u32_e64 s[0:1], 63, v7
	s_waitcnt lgkmcnt(0)
	s_barrier
	v_add_f32_e32 v8, v5, v8
	v_add_lshl_u32 v5, v9, v6, 2
	ds_bpermute_b32 v9, v5, v8
	v_addc_co_u32_e64 v6, s[0:1], 0, v6, s[0:1]
	v_lshlrev_b32_e32 v6, 2, v6
	v_cmp_eq_u32_e64 s[0:1], 0, v3
	s_waitcnt lgkmcnt(0)
	v_add_f32_e32 v7, v8, v9
	ds_bpermute_b32 v8, v6, v7
	s_and_saveexec_b64 s[4:5], s[0:1]
	s_cbranch_execz .LBB412_8
; %bb.7:
	s_waitcnt lgkmcnt(0)
	v_add_f32_e32 v3, v7, v8
	v_lshrrev_b32_e32 v7, 4, v0
	v_and_b32_e32 v7, 60, v7
	ds_write_b32 v7, v3
.LBB412_8:
	s_or_b64 exec, exec, s[4:5]
	v_cmp_gt_u32_e64 s[0:1], 16, v0
	v_mov_b32_e32 v3, 0
	s_waitcnt lgkmcnt(0)
	s_barrier
	s_and_saveexec_b64 s[4:5], s[0:1]
	s_cbranch_execnz .LBB412_12
; %bb.9:
	s_or_b64 exec, exec, s[4:5]
	s_and_saveexec_b64 s[0:1], vcc
	s_cbranch_execnz .LBB412_13
.LBB412_10:
	s_or_b64 exec, exec, s[0:1]
	v_cmp_eq_u32_e32 vcc, 0, v0
	s_and_saveexec_b64 s[0:1], vcc
	s_cbranch_execnz .LBB412_14
.LBB412_11:
	s_endpgm
.LBB412_12:
	ds_read_b32 v3, v2
	s_or_b64 exec, exec, s[4:5]
	s_and_saveexec_b64 s[0:1], vcc
	s_cbranch_execz .LBB412_10
.LBB412_13:
	s_waitcnt lgkmcnt(0)
	ds_bpermute_b32 v1, v1, v3
	s_waitcnt lgkmcnt(0)
	v_add_f32_e32 v1, v3, v1
	ds_bpermute_b32 v2, v4, v1
	s_waitcnt lgkmcnt(0)
	v_add_f32_e32 v1, v1, v2
	ds_bpermute_b32 v2, v5, v1
	s_waitcnt lgkmcnt(0)
	v_add_f32_e32 v1, v1, v2
	ds_bpermute_b32 v2, v6, v1
	s_waitcnt lgkmcnt(0)
	v_add_f32_e32 v3, v1, v2
	s_or_b64 exec, exec, s[0:1]
	v_cmp_eq_u32_e32 vcc, 0, v0
	s_and_saveexec_b64 s[0:1], vcc
	s_cbranch_execz .LBB412_11
.LBB412_14:
	s_lshl_b64 s[0:1], s[2:3], 2
	s_add_u32 s0, s6, s0
	s_addc_u32 s1, s7, s1
	v_mov_b32_e32 v0, 0
	s_waitcnt lgkmcnt(0)
	global_store_dword v0, v3, s[0:1]
	s_endpgm
	.section	.rodata,"a",@progbits
	.p2align	6, 0x0
	.amdhsa_kernel _ZL24rocblas_dot_kernel_magsqIiLb1ELi1024ELi32ELb0EfPKPKDF16_fEviT5_lT_liPT6_PT4_
		.amdhsa_group_segment_fixed_size 256
		.amdhsa_private_segment_fixed_size 0
		.amdhsa_kernarg_size 320
		.amdhsa_user_sgpr_count 6
		.amdhsa_user_sgpr_private_segment_buffer 1
		.amdhsa_user_sgpr_dispatch_ptr 0
		.amdhsa_user_sgpr_queue_ptr 0
		.amdhsa_user_sgpr_kernarg_segment_ptr 1
		.amdhsa_user_sgpr_dispatch_id 0
		.amdhsa_user_sgpr_flat_scratch_init 0
		.amdhsa_user_sgpr_kernarg_preload_length 0
		.amdhsa_user_sgpr_kernarg_preload_offset 0
		.amdhsa_user_sgpr_private_segment_size 0
		.amdhsa_uses_dynamic_stack 0
		.amdhsa_system_sgpr_private_segment_wavefront_offset 0
		.amdhsa_system_sgpr_workgroup_id_x 1
		.amdhsa_system_sgpr_workgroup_id_y 0
		.amdhsa_system_sgpr_workgroup_id_z 1
		.amdhsa_system_sgpr_workgroup_info 0
		.amdhsa_system_vgpr_workitem_id 0
		.amdhsa_next_free_vgpr 10
		.amdhsa_next_free_sgpr 20
		.amdhsa_accum_offset 12
		.amdhsa_reserve_vcc 1
		.amdhsa_reserve_flat_scratch 0
		.amdhsa_float_round_mode_32 0
		.amdhsa_float_round_mode_16_64 0
		.amdhsa_float_denorm_mode_32 3
		.amdhsa_float_denorm_mode_16_64 3
		.amdhsa_dx10_clamp 1
		.amdhsa_ieee_mode 1
		.amdhsa_fp16_overflow 0
		.amdhsa_tg_split 0
		.amdhsa_exception_fp_ieee_invalid_op 0
		.amdhsa_exception_fp_denorm_src 0
		.amdhsa_exception_fp_ieee_div_zero 0
		.amdhsa_exception_fp_ieee_overflow 0
		.amdhsa_exception_fp_ieee_underflow 0
		.amdhsa_exception_fp_ieee_inexact 0
		.amdhsa_exception_int_div_zero 0
	.end_amdhsa_kernel
	.section	.text._ZL24rocblas_dot_kernel_magsqIiLb1ELi1024ELi32ELb0EfPKPKDF16_fEviT5_lT_liPT6_PT4_,"axG",@progbits,_ZL24rocblas_dot_kernel_magsqIiLb1ELi1024ELi32ELb0EfPKPKDF16_fEviT5_lT_liPT6_PT4_,comdat
.Lfunc_end412:
	.size	_ZL24rocblas_dot_kernel_magsqIiLb1ELi1024ELi32ELb0EfPKPKDF16_fEviT5_lT_liPT6_PT4_, .Lfunc_end412-_ZL24rocblas_dot_kernel_magsqIiLb1ELi1024ELi32ELb0EfPKPKDF16_fEviT5_lT_liPT6_PT4_
                                        ; -- End function
	.section	.AMDGPU.csdata,"",@progbits
; Kernel info:
; codeLenInByte = 808
; NumSgprs: 24
; NumVgprs: 10
; NumAgprs: 0
; TotalNumVgprs: 10
; ScratchSize: 0
; MemoryBound: 0
; FloatMode: 240
; IeeeMode: 1
; LDSByteSize: 256 bytes/workgroup (compile time only)
; SGPRBlocks: 2
; VGPRBlocks: 1
; NumSGPRsForWavesPerEU: 24
; NumVGPRsForWavesPerEU: 10
; AccumOffset: 12
; Occupancy: 8
; WaveLimiterHint : 0
; COMPUTE_PGM_RSRC2:SCRATCH_EN: 0
; COMPUTE_PGM_RSRC2:USER_SGPR: 6
; COMPUTE_PGM_RSRC2:TRAP_HANDLER: 0
; COMPUTE_PGM_RSRC2:TGID_X_EN: 1
; COMPUTE_PGM_RSRC2:TGID_Y_EN: 0
; COMPUTE_PGM_RSRC2:TGID_Z_EN: 1
; COMPUTE_PGM_RSRC2:TIDIG_COMP_CNT: 0
; COMPUTE_PGM_RSRC3_GFX90A:ACCUM_OFFSET: 2
; COMPUTE_PGM_RSRC3_GFX90A:TG_SPLIT: 0
	.section	.text._ZL38rocblas_dot_kernel_gfx942_float_doubleIiLi1024EfPKPKDF16_fEviT2_lT_lS4_lS5_lPT3_PT1_,"axG",@progbits,_ZL38rocblas_dot_kernel_gfx942_float_doubleIiLi1024EfPKPKDF16_fEviT2_lT_lS4_lS5_lPT3_PT1_,comdat
	.globl	_ZL38rocblas_dot_kernel_gfx942_float_doubleIiLi1024EfPKPKDF16_fEviT2_lT_lS4_lS5_lPT3_PT1_ ; -- Begin function _ZL38rocblas_dot_kernel_gfx942_float_doubleIiLi1024EfPKPKDF16_fEviT2_lT_lS4_lS5_lPT3_PT1_
	.p2align	8
	.type	_ZL38rocblas_dot_kernel_gfx942_float_doubleIiLi1024EfPKPKDF16_fEviT2_lT_lS4_lS5_lPT3_PT1_,@function
_ZL38rocblas_dot_kernel_gfx942_float_doubleIiLi1024EfPKPKDF16_fEviT2_lT_lS4_lS5_lPT3_PT1_: ; @_ZL38rocblas_dot_kernel_gfx942_float_doubleIiLi1024EfPKPKDF16_fEviT2_lT_lS4_lS5_lPT3_PT1_
; %bb.0:
	s_endpgm
	.section	.rodata,"a",@progbits
	.p2align	6, 0x0
	.amdhsa_kernel _ZL38rocblas_dot_kernel_gfx942_float_doubleIiLi1024EfPKPKDF16_fEviT2_lT_lS4_lS5_lPT3_PT1_
		.amdhsa_group_segment_fixed_size 0
		.amdhsa_private_segment_fixed_size 0
		.amdhsa_kernarg_size 88
		.amdhsa_user_sgpr_count 6
		.amdhsa_user_sgpr_private_segment_buffer 1
		.amdhsa_user_sgpr_dispatch_ptr 0
		.amdhsa_user_sgpr_queue_ptr 0
		.amdhsa_user_sgpr_kernarg_segment_ptr 1
		.amdhsa_user_sgpr_dispatch_id 0
		.amdhsa_user_sgpr_flat_scratch_init 0
		.amdhsa_user_sgpr_kernarg_preload_length 0
		.amdhsa_user_sgpr_kernarg_preload_offset 0
		.amdhsa_user_sgpr_private_segment_size 0
		.amdhsa_uses_dynamic_stack 0
		.amdhsa_system_sgpr_private_segment_wavefront_offset 0
		.amdhsa_system_sgpr_workgroup_id_x 1
		.amdhsa_system_sgpr_workgroup_id_y 0
		.amdhsa_system_sgpr_workgroup_id_z 0
		.amdhsa_system_sgpr_workgroup_info 0
		.amdhsa_system_vgpr_workitem_id 0
		.amdhsa_next_free_vgpr 1
		.amdhsa_next_free_sgpr 0
		.amdhsa_accum_offset 4
		.amdhsa_reserve_vcc 0
		.amdhsa_reserve_flat_scratch 0
		.amdhsa_float_round_mode_32 0
		.amdhsa_float_round_mode_16_64 0
		.amdhsa_float_denorm_mode_32 3
		.amdhsa_float_denorm_mode_16_64 3
		.amdhsa_dx10_clamp 1
		.amdhsa_ieee_mode 1
		.amdhsa_fp16_overflow 0
		.amdhsa_tg_split 0
		.amdhsa_exception_fp_ieee_invalid_op 0
		.amdhsa_exception_fp_denorm_src 0
		.amdhsa_exception_fp_ieee_div_zero 0
		.amdhsa_exception_fp_ieee_overflow 0
		.amdhsa_exception_fp_ieee_underflow 0
		.amdhsa_exception_fp_ieee_inexact 0
		.amdhsa_exception_int_div_zero 0
	.end_amdhsa_kernel
	.section	.text._ZL38rocblas_dot_kernel_gfx942_float_doubleIiLi1024EfPKPKDF16_fEviT2_lT_lS4_lS5_lPT3_PT1_,"axG",@progbits,_ZL38rocblas_dot_kernel_gfx942_float_doubleIiLi1024EfPKPKDF16_fEviT2_lT_lS4_lS5_lPT3_PT1_,comdat
.Lfunc_end413:
	.size	_ZL38rocblas_dot_kernel_gfx942_float_doubleIiLi1024EfPKPKDF16_fEviT2_lT_lS4_lS5_lPT3_PT1_, .Lfunc_end413-_ZL38rocblas_dot_kernel_gfx942_float_doubleIiLi1024EfPKPKDF16_fEviT2_lT_lS4_lS5_lPT3_PT1_
                                        ; -- End function
	.section	.AMDGPU.csdata,"",@progbits
; Kernel info:
; codeLenInByte = 4
; NumSgprs: 4
; NumVgprs: 0
; NumAgprs: 0
; TotalNumVgprs: 0
; ScratchSize: 0
; MemoryBound: 0
; FloatMode: 240
; IeeeMode: 1
; LDSByteSize: 0 bytes/workgroup (compile time only)
; SGPRBlocks: 0
; VGPRBlocks: 0
; NumSGPRsForWavesPerEU: 4
; NumVGPRsForWavesPerEU: 1
; AccumOffset: 4
; Occupancy: 8
; WaveLimiterHint : 0
; COMPUTE_PGM_RSRC2:SCRATCH_EN: 0
; COMPUTE_PGM_RSRC2:USER_SGPR: 6
; COMPUTE_PGM_RSRC2:TRAP_HANDLER: 0
; COMPUTE_PGM_RSRC2:TGID_X_EN: 1
; COMPUTE_PGM_RSRC2:TGID_Y_EN: 0
; COMPUTE_PGM_RSRC2:TGID_Z_EN: 0
; COMPUTE_PGM_RSRC2:TIDIG_COMP_CNT: 0
; COMPUTE_PGM_RSRC3_GFX90A:ACCUM_OFFSET: 0
; COMPUTE_PGM_RSRC3_GFX90A:TG_SPLIT: 0
	.section	.text._ZL18rocblas_dot_kernelIiLb0ELi512ELi4ELb0EfPKPKDF16_fEviT5_lT_lS4_lS5_liPT6_PT4_,"axG",@progbits,_ZL18rocblas_dot_kernelIiLb0ELi512ELi4ELb0EfPKPKDF16_fEviT5_lT_lS4_lS5_liPT6_PT4_,comdat
	.globl	_ZL18rocblas_dot_kernelIiLb0ELi512ELi4ELb0EfPKPKDF16_fEviT5_lT_lS4_lS5_liPT6_PT4_ ; -- Begin function _ZL18rocblas_dot_kernelIiLb0ELi512ELi4ELb0EfPKPKDF16_fEviT5_lT_lS4_lS5_liPT6_PT4_
	.p2align	8
	.type	_ZL18rocblas_dot_kernelIiLb0ELi512ELi4ELb0EfPKPKDF16_fEviT5_lT_lS4_lS5_liPT6_PT4_,@function
_ZL18rocblas_dot_kernelIiLb0ELi512ELi4ELb0EfPKPKDF16_fEviT5_lT_lS4_lS5_liPT6_PT4_: ; @_ZL18rocblas_dot_kernelIiLb0ELi512ELi4ELb0EfPKPKDF16_fEviT5_lT_lS4_lS5_liPT6_PT4_
; %bb.0:
	s_mov_b32 s2, s7
	s_load_dword s18, s[4:5], 0x60
	s_load_dword s7, s[4:5], 0x0
	s_load_dwordx4 s[8:11], s[4:5], 0x50
	v_lshl_or_b32 v4, s6, 9, v0
	s_mov_b32 s3, 0
	v_mov_b32_e32 v1, 0
	s_waitcnt lgkmcnt(0)
	v_cmp_gt_i32_e32 vcc, s7, v4
	s_and_saveexec_b64 s[12:13], vcc
	s_cbranch_execz .LBB414_4
; %bb.1:
	s_load_dwordx4 s[20:23], s[4:5], 0x8
	s_load_dword s16, s[4:5], 0x18
	s_load_dwordx4 s[24:27], s[4:5], 0x28
	s_load_dword s17, s[4:5], 0x38
	s_lshl_b64 s[0:1], s[2:3], 3
	s_waitcnt lgkmcnt(0)
	s_add_u32 s4, s20, s0
	s_addc_u32 s5, s21, s1
	s_load_dwordx2 s[4:5], s[4:5], 0x0
	s_add_u32 s0, s24, s0
	s_addc_u32 s1, s25, s1
	v_mad_i64_i32 v[2:3], s[14:15], s16, v4, 0
	s_load_dwordx2 s[0:1], s[0:1], 0x0
	s_lshl_b32 s19, s18, 9
	s_lshl_b64 s[14:15], s[22:23], 1
	s_waitcnt lgkmcnt(0)
	s_add_u32 s4, s4, s14
	v_lshlrev_b64 v[2:3], 1, v[2:3]
	s_addc_u32 s5, s5, s15
	v_add_u32_e32 v6, s19, v4
	v_mov_b32_e32 v1, s5
	v_add_co_u32_e32 v2, vcc, s4, v2
	s_mul_hi_i32 s5, s16, s19
	s_mul_i32 s4, s16, s19
	v_mad_i64_i32 v[4:5], s[14:15], s17, v4, 0
	s_lshl_b64 s[4:5], s[4:5], 1
	s_lshl_b64 s[14:15], s[26:27], 1
	s_add_u32 s0, s0, s14
	v_addc_co_u32_e32 v3, vcc, v1, v3, vcc
	v_lshlrev_b64 v[4:5], 1, v[4:5]
	s_addc_u32 s1, s1, s15
	v_mov_b32_e32 v1, s1
	v_add_co_u32_e32 v4, vcc, s0, v4
	s_mul_hi_i32 s1, s17, s19
	s_mul_i32 s0, s17, s19
	s_lshl_b64 s[16:17], s[0:1], 1
	v_addc_co_u32_e32 v5, vcc, v1, v5, vcc
	s_mov_b64 s[14:15], 0
	v_mov_b32_e32 v1, 0
	v_mov_b32_e32 v7, s5
	;; [unrolled: 1-line block ×3, first 2 shown]
	s_mov_b32 s5, s3
.LBB414_2:                              ; =>This Inner Loop Header: Depth=1
	global_load_ushort v9, v[4:5], off
	global_load_ushort v10, v[2:3], off
	v_add_co_u32_e64 v2, s[0:1], s4, v2
	v_addc_co_u32_e64 v3, s[0:1], v3, v7, s[0:1]
	s_add_i32 s17, s5, 1
	v_add_co_u32_e64 v4, s[0:1], s16, v4
	v_addc_co_u32_e64 v5, s[0:1], v5, v8, s[0:1]
	s_cmp_gt_u32 s5, 2
	v_cmp_le_i32_e32 vcc, s7, v6
	s_cselect_b64 s[0:1], -1, 0
	s_or_b64 s[0:1], s[0:1], vcc
	s_and_b64 s[0:1], exec, s[0:1]
	v_add_u32_e32 v6, s19, v6
	s_mov_b32 s5, s17
	s_or_b64 s[14:15], s[0:1], s[14:15]
	s_waitcnt vmcnt(0)
	v_fma_mix_f32 v1, v9, v10, v1 op_sel_hi:[1,1,0]
	s_andn2_b64 exec, exec, s[14:15]
	s_cbranch_execnz .LBB414_2
; %bb.3:
	s_or_b64 exec, exec, s[14:15]
.LBB414_4:
	s_or_b64 exec, exec, s[12:13]
	v_and_b32_e32 v3, 63, v0
	v_cmp_gt_u32_e32 vcc, 64, v0
	v_lshlrev_b32_e32 v2, 2, v3
	s_and_saveexec_b64 s[0:1], vcc
	s_cbranch_execz .LBB414_6
; %bb.5:
	v_mov_b32_e32 v4, 0
	ds_write_b32 v2, v4
.LBB414_6:
	s_or_b64 exec, exec, s[0:1]
	v_mbcnt_lo_u32_b32 v4, -1, 0
	v_mbcnt_hi_u32_b32 v6, -1, v4
	v_and_b32_e32 v7, 63, v6
	v_cmp_gt_u32_e64 s[0:1], 32, v7
	v_cndmask_b32_e64 v4, 0, 1, s[0:1]
	v_lshlrev_b32_e32 v4, 5, v4
	v_add_lshl_u32 v4, v4, v6, 2
	ds_bpermute_b32 v4, v4, v1
	v_cmp_gt_u32_e64 s[0:1], 48, v7
	v_cndmask_b32_e64 v5, 0, 1, s[0:1]
	v_lshlrev_b32_e32 v5, 4, v5
	v_cmp_gt_u32_e64 s[0:1], 56, v7
	s_waitcnt lgkmcnt(0)
	v_add_f32_e32 v1, v1, v4
	v_add_lshl_u32 v4, v5, v6, 2
	ds_bpermute_b32 v4, v4, v1
	v_cndmask_b32_e64 v5, 0, 1, s[0:1]
	v_lshlrev_b32_e32 v5, 3, v5
	v_cmp_gt_u32_e64 s[0:1], 60, v7
	s_waitcnt lgkmcnt(0)
	v_add_f32_e32 v1, v1, v4
	v_add_lshl_u32 v4, v5, v6, 2
	ds_bpermute_b32 v4, v4, v1
	v_cndmask_b32_e64 v5, 0, 1, s[0:1]
	v_lshlrev_b32_e32 v5, 2, v5
	v_cmp_gt_u32_e64 s[0:1], 62, v7
	v_cndmask_b32_e64 v8, 0, 1, s[0:1]
	s_waitcnt lgkmcnt(0)
	v_add_f32_e32 v1, v1, v4
	v_add_lshl_u32 v4, v5, v6, 2
	ds_bpermute_b32 v5, v4, v1
	v_lshlrev_b32_e32 v8, 1, v8
	v_cmp_ne_u32_e64 s[0:1], 63, v7
	s_barrier
	s_waitcnt lgkmcnt(0)
	v_add_f32_e32 v1, v1, v5
	v_add_lshl_u32 v5, v8, v6, 2
	ds_bpermute_b32 v8, v5, v1
	v_addc_co_u32_e64 v6, s[0:1], 0, v6, s[0:1]
	v_lshlrev_b32_e32 v6, 2, v6
	v_cmp_eq_u32_e64 s[0:1], 0, v3
	s_waitcnt lgkmcnt(0)
	v_add_f32_e32 v1, v1, v8
	ds_bpermute_b32 v7, v6, v1
	s_and_saveexec_b64 s[4:5], s[0:1]
	s_cbranch_execz .LBB414_8
; %bb.7:
	v_lshrrev_b32_e32 v3, 4, v0
	s_waitcnt lgkmcnt(0)
	v_add_f32_e32 v1, v1, v7
	v_and_b32_e32 v3, 28, v3
	ds_write_b32 v3, v1
.LBB414_8:
	s_or_b64 exec, exec, s[4:5]
	v_cmp_gt_u32_e64 s[0:1], 8, v0
	v_mov_b32_e32 v1, 0
	s_waitcnt lgkmcnt(0)
	s_barrier
	s_and_saveexec_b64 s[4:5], s[0:1]
	s_cbranch_execnz .LBB414_12
; %bb.9:
	s_or_b64 exec, exec, s[4:5]
	s_and_saveexec_b64 s[0:1], vcc
	s_cbranch_execnz .LBB414_13
.LBB414_10:
	s_or_b64 exec, exec, s[0:1]
	v_cmp_eq_u32_e32 vcc, 0, v0
	s_and_saveexec_b64 s[0:1], vcc
	s_cbranch_execnz .LBB414_14
.LBB414_11:
	s_endpgm
.LBB414_12:
	ds_read_b32 v1, v2
	s_or_b64 exec, exec, s[4:5]
	s_and_saveexec_b64 s[0:1], vcc
	s_cbranch_execz .LBB414_10
.LBB414_13:
	s_waitcnt lgkmcnt(0)
	ds_bpermute_b32 v2, v4, v1
	s_waitcnt lgkmcnt(0)
	v_add_f32_e32 v1, v1, v2
	ds_bpermute_b32 v2, v5, v1
	s_waitcnt lgkmcnt(0)
	v_add_f32_e32 v1, v1, v2
	;; [unrolled: 3-line block ×3, first 2 shown]
	s_or_b64 exec, exec, s[0:1]
	v_cmp_eq_u32_e32 vcc, 0, v0
	s_and_saveexec_b64 s[0:1], vcc
	s_cbranch_execz .LBB414_11
.LBB414_14:
	s_cmp_lg_u32 s18, 1
	s_cbranch_scc0 .LBB414_16
; %bb.15:
	s_mul_hi_u32 s1, s18, s2
	s_mul_i32 s0, s18, s2
	s_lshl_b64 s[0:1], s[0:1], 2
	s_mov_b32 s7, 0
	s_add_u32 s4, s8, s0
	s_addc_u32 s5, s9, s1
	s_lshl_b64 s[0:1], s[6:7], 2
	s_add_u32 s0, s4, s0
	s_addc_u32 s1, s5, s1
	s_cbranch_execz .LBB414_17
	s_branch .LBB414_18
.LBB414_16:
                                        ; implicit-def: $sgpr0_sgpr1
.LBB414_17:
	s_lshl_b64 s[0:1], s[2:3], 2
	s_add_u32 s0, s10, s0
	s_addc_u32 s1, s11, s1
.LBB414_18:
	v_mov_b32_e32 v0, 0
	s_waitcnt lgkmcnt(0)
	global_store_dword v0, v1, s[0:1]
	s_endpgm
	.section	.rodata,"a",@progbits
	.p2align	6, 0x0
	.amdhsa_kernel _ZL18rocblas_dot_kernelIiLb0ELi512ELi4ELb0EfPKPKDF16_fEviT5_lT_lS4_lS5_liPT6_PT4_
		.amdhsa_group_segment_fixed_size 256
		.amdhsa_private_segment_fixed_size 0
		.amdhsa_kernarg_size 352
		.amdhsa_user_sgpr_count 6
		.amdhsa_user_sgpr_private_segment_buffer 1
		.amdhsa_user_sgpr_dispatch_ptr 0
		.amdhsa_user_sgpr_queue_ptr 0
		.amdhsa_user_sgpr_kernarg_segment_ptr 1
		.amdhsa_user_sgpr_dispatch_id 0
		.amdhsa_user_sgpr_flat_scratch_init 0
		.amdhsa_user_sgpr_kernarg_preload_length 0
		.amdhsa_user_sgpr_kernarg_preload_offset 0
		.amdhsa_user_sgpr_private_segment_size 0
		.amdhsa_uses_dynamic_stack 0
		.amdhsa_system_sgpr_private_segment_wavefront_offset 0
		.amdhsa_system_sgpr_workgroup_id_x 1
		.amdhsa_system_sgpr_workgroup_id_y 0
		.amdhsa_system_sgpr_workgroup_id_z 1
		.amdhsa_system_sgpr_workgroup_info 0
		.amdhsa_system_vgpr_workitem_id 0
		.amdhsa_next_free_vgpr 11
		.amdhsa_next_free_sgpr 28
		.amdhsa_accum_offset 12
		.amdhsa_reserve_vcc 1
		.amdhsa_reserve_flat_scratch 0
		.amdhsa_float_round_mode_32 0
		.amdhsa_float_round_mode_16_64 0
		.amdhsa_float_denorm_mode_32 3
		.amdhsa_float_denorm_mode_16_64 3
		.amdhsa_dx10_clamp 1
		.amdhsa_ieee_mode 1
		.amdhsa_fp16_overflow 0
		.amdhsa_tg_split 0
		.amdhsa_exception_fp_ieee_invalid_op 0
		.amdhsa_exception_fp_denorm_src 0
		.amdhsa_exception_fp_ieee_div_zero 0
		.amdhsa_exception_fp_ieee_overflow 0
		.amdhsa_exception_fp_ieee_underflow 0
		.amdhsa_exception_fp_ieee_inexact 0
		.amdhsa_exception_int_div_zero 0
	.end_amdhsa_kernel
	.section	.text._ZL18rocblas_dot_kernelIiLb0ELi512ELi4ELb0EfPKPKDF16_fEviT5_lT_lS4_lS5_liPT6_PT4_,"axG",@progbits,_ZL18rocblas_dot_kernelIiLb0ELi512ELi4ELb0EfPKPKDF16_fEviT5_lT_lS4_lS5_liPT6_PT4_,comdat
.Lfunc_end414:
	.size	_ZL18rocblas_dot_kernelIiLb0ELi512ELi4ELb0EfPKPKDF16_fEviT5_lT_lS4_lS5_liPT6_PT4_, .Lfunc_end414-_ZL18rocblas_dot_kernelIiLb0ELi512ELi4ELb0EfPKPKDF16_fEviT5_lT_lS4_lS5_liPT6_PT4_
                                        ; -- End function
	.section	.AMDGPU.csdata,"",@progbits
; Kernel info:
; codeLenInByte = 964
; NumSgprs: 32
; NumVgprs: 11
; NumAgprs: 0
; TotalNumVgprs: 11
; ScratchSize: 0
; MemoryBound: 0
; FloatMode: 240
; IeeeMode: 1
; LDSByteSize: 256 bytes/workgroup (compile time only)
; SGPRBlocks: 3
; VGPRBlocks: 1
; NumSGPRsForWavesPerEU: 32
; NumVGPRsForWavesPerEU: 11
; AccumOffset: 12
; Occupancy: 8
; WaveLimiterHint : 0
; COMPUTE_PGM_RSRC2:SCRATCH_EN: 0
; COMPUTE_PGM_RSRC2:USER_SGPR: 6
; COMPUTE_PGM_RSRC2:TRAP_HANDLER: 0
; COMPUTE_PGM_RSRC2:TGID_X_EN: 1
; COMPUTE_PGM_RSRC2:TGID_Y_EN: 0
; COMPUTE_PGM_RSRC2:TGID_Z_EN: 1
; COMPUTE_PGM_RSRC2:TIDIG_COMP_CNT: 0
; COMPUTE_PGM_RSRC3_GFX90A:ACCUM_OFFSET: 2
; COMPUTE_PGM_RSRC3_GFX90A:TG_SPLIT: 0
	.section	.text._ZL24rocblas_dot_kernel_magsqIiLb0ELi512ELi4ELb0EfPKPKDF16_fEviT5_lT_liPT6_PT4_,"axG",@progbits,_ZL24rocblas_dot_kernel_magsqIiLb0ELi512ELi4ELb0EfPKPKDF16_fEviT5_lT_liPT6_PT4_,comdat
	.globl	_ZL24rocblas_dot_kernel_magsqIiLb0ELi512ELi4ELb0EfPKPKDF16_fEviT5_lT_liPT6_PT4_ ; -- Begin function _ZL24rocblas_dot_kernel_magsqIiLb0ELi512ELi4ELb0EfPKPKDF16_fEviT5_lT_liPT6_PT4_
	.p2align	8
	.type	_ZL24rocblas_dot_kernel_magsqIiLb0ELi512ELi4ELb0EfPKPKDF16_fEviT5_lT_liPT6_PT4_,@function
_ZL24rocblas_dot_kernel_magsqIiLb0ELi512ELi4ELb0EfPKPKDF16_fEviT5_lT_liPT6_PT4_: ; @_ZL24rocblas_dot_kernel_magsqIiLb0ELi512ELi4ELb0EfPKPKDF16_fEviT5_lT_liPT6_PT4_
; %bb.0:
	s_mov_b32 s2, s7
	s_load_dword s7, s[4:5], 0x0
	s_load_dwordx4 s[8:11], s[4:5], 0x30
	s_load_dword s16, s[4:5], 0x40
	v_lshl_or_b32 v2, s6, 9, v0
	s_mov_b32 s3, 0
	s_waitcnt lgkmcnt(0)
	v_cmp_gt_i32_e32 vcc, s7, v2
	v_mov_b32_e32 v1, 0
	s_and_saveexec_b64 s[12:13], vcc
	s_cbranch_execz .LBB415_4
; %bb.1:
	s_load_dwordx4 s[20:23], s[4:5], 0x8
	s_load_dword s14, s[4:5], 0x18
	s_lshl_b64 s[0:1], s[2:3], 3
	s_waitcnt lgkmcnt(0)
	s_add_u32 s0, s20, s0
	s_addc_u32 s1, s21, s1
	s_load_dwordx2 s[0:1], s[0:1], 0x0
	v_mad_i64_i32 v[4:5], s[4:5], s14, v2, 0
	s_lshl_b32 s17, s16, 9
	s_lshl_b64 s[4:5], s[22:23], 1
	s_waitcnt lgkmcnt(0)
	s_add_u32 s0, s0, s4
	v_lshlrev_b64 v[6:7], 1, v[4:5]
	s_addc_u32 s1, s1, s5
	v_add_u32_e32 v4, s17, v2
	v_mov_b32_e32 v1, s1
	v_add_co_u32_e32 v2, vcc, s0, v6
	s_mul_hi_i32 s1, s14, s17
	s_mul_i32 s0, s14, s17
	s_lshl_b64 s[14:15], s[0:1], 1
	v_addc_co_u32_e32 v3, vcc, v1, v7, vcc
	s_mov_b64 s[4:5], 0
	v_mov_b32_e32 v1, 0
	v_mov_b32_e32 v5, s15
	s_mov_b32 s15, s3
.LBB415_2:                              ; =>This Inner Loop Header: Depth=1
	global_load_ushort v6, v[2:3], off
	s_add_i32 s18, s15, 1
	v_add_co_u32_e64 v2, s[0:1], s14, v2
	v_addc_co_u32_e64 v3, s[0:1], v3, v5, s[0:1]
	s_cmp_gt_u32 s15, 2
	v_cmp_le_i32_e32 vcc, s7, v4
	s_cselect_b64 s[0:1], -1, 0
	s_or_b64 s[0:1], s[0:1], vcc
	s_and_b64 s[0:1], exec, s[0:1]
	v_add_u32_e32 v4, s17, v4
	s_mov_b32 s15, s18
	s_or_b64 s[4:5], s[0:1], s[4:5]
	s_waitcnt vmcnt(0)
	v_fma_mix_f32 v1, v6, v6, v1 op_sel_hi:[1,1,0]
	s_andn2_b64 exec, exec, s[4:5]
	s_cbranch_execnz .LBB415_2
; %bb.3:
	s_or_b64 exec, exec, s[4:5]
.LBB415_4:
	s_or_b64 exec, exec, s[12:13]
	v_and_b32_e32 v3, 63, v0
	v_cmp_gt_u32_e32 vcc, 64, v0
	v_lshlrev_b32_e32 v2, 2, v3
	s_and_saveexec_b64 s[0:1], vcc
	s_cbranch_execz .LBB415_6
; %bb.5:
	v_mov_b32_e32 v4, 0
	ds_write_b32 v2, v4
.LBB415_6:
	s_or_b64 exec, exec, s[0:1]
	v_mbcnt_lo_u32_b32 v4, -1, 0
	v_mbcnt_hi_u32_b32 v6, -1, v4
	v_and_b32_e32 v7, 63, v6
	v_cmp_gt_u32_e64 s[0:1], 32, v7
	v_cndmask_b32_e64 v4, 0, 1, s[0:1]
	v_lshlrev_b32_e32 v4, 5, v4
	v_add_lshl_u32 v4, v4, v6, 2
	ds_bpermute_b32 v4, v4, v1
	v_cmp_gt_u32_e64 s[0:1], 48, v7
	v_cndmask_b32_e64 v5, 0, 1, s[0:1]
	v_lshlrev_b32_e32 v5, 4, v5
	v_cmp_gt_u32_e64 s[0:1], 56, v7
	s_waitcnt lgkmcnt(0)
	v_add_f32_e32 v1, v1, v4
	v_add_lshl_u32 v4, v5, v6, 2
	ds_bpermute_b32 v4, v4, v1
	v_cndmask_b32_e64 v5, 0, 1, s[0:1]
	v_lshlrev_b32_e32 v5, 3, v5
	v_cmp_gt_u32_e64 s[0:1], 60, v7
	s_waitcnt lgkmcnt(0)
	v_add_f32_e32 v1, v1, v4
	v_add_lshl_u32 v4, v5, v6, 2
	ds_bpermute_b32 v4, v4, v1
	v_cndmask_b32_e64 v5, 0, 1, s[0:1]
	v_lshlrev_b32_e32 v5, 2, v5
	v_cmp_gt_u32_e64 s[0:1], 62, v7
	v_cndmask_b32_e64 v8, 0, 1, s[0:1]
	s_waitcnt lgkmcnt(0)
	v_add_f32_e32 v1, v1, v4
	v_add_lshl_u32 v4, v5, v6, 2
	ds_bpermute_b32 v5, v4, v1
	v_lshlrev_b32_e32 v8, 1, v8
	v_cmp_ne_u32_e64 s[0:1], 63, v7
	s_barrier
	s_waitcnt lgkmcnt(0)
	v_add_f32_e32 v1, v1, v5
	v_add_lshl_u32 v5, v8, v6, 2
	ds_bpermute_b32 v8, v5, v1
	v_addc_co_u32_e64 v6, s[0:1], 0, v6, s[0:1]
	v_lshlrev_b32_e32 v6, 2, v6
	v_cmp_eq_u32_e64 s[0:1], 0, v3
	s_waitcnt lgkmcnt(0)
	v_add_f32_e32 v1, v1, v8
	ds_bpermute_b32 v7, v6, v1
	s_and_saveexec_b64 s[4:5], s[0:1]
	s_cbranch_execz .LBB415_8
; %bb.7:
	v_lshrrev_b32_e32 v3, 4, v0
	s_waitcnt lgkmcnt(0)
	v_add_f32_e32 v1, v1, v7
	v_and_b32_e32 v3, 28, v3
	ds_write_b32 v3, v1
.LBB415_8:
	s_or_b64 exec, exec, s[4:5]
	v_cmp_gt_u32_e64 s[0:1], 8, v0
	v_mov_b32_e32 v1, 0
	s_waitcnt lgkmcnt(0)
	s_barrier
	s_and_saveexec_b64 s[4:5], s[0:1]
	s_cbranch_execnz .LBB415_12
; %bb.9:
	s_or_b64 exec, exec, s[4:5]
	s_and_saveexec_b64 s[0:1], vcc
	s_cbranch_execnz .LBB415_13
.LBB415_10:
	s_or_b64 exec, exec, s[0:1]
	v_cmp_eq_u32_e32 vcc, 0, v0
	s_and_saveexec_b64 s[0:1], vcc
	s_cbranch_execnz .LBB415_14
.LBB415_11:
	s_endpgm
.LBB415_12:
	ds_read_b32 v1, v2
	s_or_b64 exec, exec, s[4:5]
	s_and_saveexec_b64 s[0:1], vcc
	s_cbranch_execz .LBB415_10
.LBB415_13:
	s_waitcnt lgkmcnt(0)
	ds_bpermute_b32 v2, v4, v1
	s_waitcnt lgkmcnt(0)
	v_add_f32_e32 v1, v1, v2
	ds_bpermute_b32 v2, v5, v1
	s_waitcnt lgkmcnt(0)
	v_add_f32_e32 v1, v1, v2
	;; [unrolled: 3-line block ×3, first 2 shown]
	s_or_b64 exec, exec, s[0:1]
	v_cmp_eq_u32_e32 vcc, 0, v0
	s_and_saveexec_b64 s[0:1], vcc
	s_cbranch_execz .LBB415_11
.LBB415_14:
	s_cmp_lg_u32 s16, 1
	s_cbranch_scc0 .LBB415_16
; %bb.15:
	s_mul_hi_u32 s1, s16, s2
	s_mul_i32 s0, s16, s2
	s_lshl_b64 s[0:1], s[0:1], 2
	s_mov_b32 s7, 0
	s_add_u32 s4, s8, s0
	s_addc_u32 s5, s9, s1
	s_lshl_b64 s[0:1], s[6:7], 2
	s_add_u32 s0, s4, s0
	s_addc_u32 s1, s5, s1
	s_cbranch_execz .LBB415_17
	s_branch .LBB415_18
.LBB415_16:
                                        ; implicit-def: $sgpr0_sgpr1
.LBB415_17:
	s_lshl_b64 s[0:1], s[2:3], 2
	s_add_u32 s0, s10, s0
	s_addc_u32 s1, s11, s1
.LBB415_18:
	v_mov_b32_e32 v0, 0
	s_waitcnt lgkmcnt(0)
	global_store_dword v0, v1, s[0:1]
	s_endpgm
	.section	.rodata,"a",@progbits
	.p2align	6, 0x0
	.amdhsa_kernel _ZL24rocblas_dot_kernel_magsqIiLb0ELi512ELi4ELb0EfPKPKDF16_fEviT5_lT_liPT6_PT4_
		.amdhsa_group_segment_fixed_size 256
		.amdhsa_private_segment_fixed_size 0
		.amdhsa_kernarg_size 320
		.amdhsa_user_sgpr_count 6
		.amdhsa_user_sgpr_private_segment_buffer 1
		.amdhsa_user_sgpr_dispatch_ptr 0
		.amdhsa_user_sgpr_queue_ptr 0
		.amdhsa_user_sgpr_kernarg_segment_ptr 1
		.amdhsa_user_sgpr_dispatch_id 0
		.amdhsa_user_sgpr_flat_scratch_init 0
		.amdhsa_user_sgpr_kernarg_preload_length 0
		.amdhsa_user_sgpr_kernarg_preload_offset 0
		.amdhsa_user_sgpr_private_segment_size 0
		.amdhsa_uses_dynamic_stack 0
		.amdhsa_system_sgpr_private_segment_wavefront_offset 0
		.amdhsa_system_sgpr_workgroup_id_x 1
		.amdhsa_system_sgpr_workgroup_id_y 0
		.amdhsa_system_sgpr_workgroup_id_z 1
		.amdhsa_system_sgpr_workgroup_info 0
		.amdhsa_system_vgpr_workitem_id 0
		.amdhsa_next_free_vgpr 9
		.amdhsa_next_free_sgpr 24
		.amdhsa_accum_offset 12
		.amdhsa_reserve_vcc 1
		.amdhsa_reserve_flat_scratch 0
		.amdhsa_float_round_mode_32 0
		.amdhsa_float_round_mode_16_64 0
		.amdhsa_float_denorm_mode_32 3
		.amdhsa_float_denorm_mode_16_64 3
		.amdhsa_dx10_clamp 1
		.amdhsa_ieee_mode 1
		.amdhsa_fp16_overflow 0
		.amdhsa_tg_split 0
		.amdhsa_exception_fp_ieee_invalid_op 0
		.amdhsa_exception_fp_denorm_src 0
		.amdhsa_exception_fp_ieee_div_zero 0
		.amdhsa_exception_fp_ieee_overflow 0
		.amdhsa_exception_fp_ieee_underflow 0
		.amdhsa_exception_fp_ieee_inexact 0
		.amdhsa_exception_int_div_zero 0
	.end_amdhsa_kernel
	.section	.text._ZL24rocblas_dot_kernel_magsqIiLb0ELi512ELi4ELb0EfPKPKDF16_fEviT5_lT_liPT6_PT4_,"axG",@progbits,_ZL24rocblas_dot_kernel_magsqIiLb0ELi512ELi4ELb0EfPKPKDF16_fEviT5_lT_liPT6_PT4_,comdat
.Lfunc_end415:
	.size	_ZL24rocblas_dot_kernel_magsqIiLb0ELi512ELi4ELb0EfPKPKDF16_fEviT5_lT_liPT6_PT4_, .Lfunc_end415-_ZL24rocblas_dot_kernel_magsqIiLb0ELi512ELi4ELb0EfPKPKDF16_fEviT5_lT_liPT6_PT4_
                                        ; -- End function
	.section	.AMDGPU.csdata,"",@progbits
; Kernel info:
; codeLenInByte = 852
; NumSgprs: 28
; NumVgprs: 9
; NumAgprs: 0
; TotalNumVgprs: 9
; ScratchSize: 0
; MemoryBound: 0
; FloatMode: 240
; IeeeMode: 1
; LDSByteSize: 256 bytes/workgroup (compile time only)
; SGPRBlocks: 3
; VGPRBlocks: 1
; NumSGPRsForWavesPerEU: 28
; NumVGPRsForWavesPerEU: 9
; AccumOffset: 12
; Occupancy: 8
; WaveLimiterHint : 0
; COMPUTE_PGM_RSRC2:SCRATCH_EN: 0
; COMPUTE_PGM_RSRC2:USER_SGPR: 6
; COMPUTE_PGM_RSRC2:TRAP_HANDLER: 0
; COMPUTE_PGM_RSRC2:TGID_X_EN: 1
; COMPUTE_PGM_RSRC2:TGID_Y_EN: 0
; COMPUTE_PGM_RSRC2:TGID_Z_EN: 1
; COMPUTE_PGM_RSRC2:TIDIG_COMP_CNT: 0
; COMPUTE_PGM_RSRC3_GFX90A:ACCUM_OFFSET: 2
; COMPUTE_PGM_RSRC3_GFX90A:TG_SPLIT: 0
	.section	.text._ZL28rocblas_dot_batched_4_kernelIlLi32ELi4ELb0EfDF16_PKPKDF16_EviT5_lT_lS4_lS5_liPT4_,"axG",@progbits,_ZL28rocblas_dot_batched_4_kernelIlLi32ELi4ELb0EfDF16_PKPKDF16_EviT5_lT_lS4_lS5_liPT4_,comdat
	.globl	_ZL28rocblas_dot_batched_4_kernelIlLi32ELi4ELb0EfDF16_PKPKDF16_EviT5_lT_lS4_lS5_liPT4_ ; -- Begin function _ZL28rocblas_dot_batched_4_kernelIlLi32ELi4ELb0EfDF16_PKPKDF16_EviT5_lT_lS4_lS5_liPT4_
	.p2align	8
	.type	_ZL28rocblas_dot_batched_4_kernelIlLi32ELi4ELb0EfDF16_PKPKDF16_EviT5_lT_lS4_lS5_liPT4_,@function
_ZL28rocblas_dot_batched_4_kernelIlLi32ELi4ELb0EfDF16_PKPKDF16_EviT5_lT_lS4_lS5_liPT4_: ; @_ZL28rocblas_dot_batched_4_kernelIlLi32ELi4ELb0EfDF16_PKPKDF16_EviT5_lT_lS4_lS5_liPT4_
; %bb.0:
	s_load_dword s0, s[4:5], 0x48
	v_bfe_u32 v1, v0, 10, 10
	v_lshl_add_u32 v2, s6, 2, v1
	s_waitcnt lgkmcnt(0)
	v_cmp_gt_u32_e32 vcc, s0, v2
	s_and_saveexec_b64 s[0:1], vcc
	s_cbranch_execz .LBB416_7
; %bb.1:
	s_load_dword s14, s[4:5], 0x0
	s_load_dwordx2 s[8:9], s[4:5], 0x50
	v_mov_b32_e32 v3, 0
	v_and_b32_e32 v6, 0x3ff, v0
	v_mov_b32_e32 v7, v3
	s_waitcnt lgkmcnt(0)
	v_cmp_gt_i32_e32 vcc, s14, v6
	s_and_saveexec_b64 s[10:11], vcc
	s_cbranch_execz .LBB416_5
; %bb.2:
	s_load_dwordx2 s[6:7], s[4:5], 0x8
	s_load_dwordx2 s[12:13], s[4:5], 0x28
	v_lshlrev_b64 v[0:1], 3, v[2:3]
	s_load_dwordx4 s[0:3], s[4:5], 0x10
	s_waitcnt lgkmcnt(0)
	v_mov_b32_e32 v5, s7
	v_add_co_u32_e32 v4, vcc, s6, v0
	v_addc_co_u32_e32 v5, vcc, v5, v1, vcc
	global_load_dwordx2 v[4:5], v[4:5], off
	v_mov_b32_e32 v7, s13
	v_add_co_u32_e32 v0, vcc, s12, v0
	v_addc_co_u32_e32 v1, vcc, v7, v1, vcc
	global_load_dwordx2 v[10:11], v[0:1], off
	s_load_dwordx4 s[4:7], s[4:5], 0x30
	v_mad_u64_u32 v[0:1], s[16:17], s2, v6, 0
	v_mov_b32_e32 v14, v1
	s_lshl_b64 s[16:17], s[0:1], 1
	s_lshl_b64 s[0:1], s[2:3], 6
	s_waitcnt lgkmcnt(0)
	v_mad_u64_u32 v[12:13], s[18:19], s6, v6, 0
	v_mad_u64_u32 v[14:15], s[2:3], s3, v6, v[14:15]
	v_mov_b32_e32 v16, v13
	v_mov_b32_e32 v1, v14
	v_mad_u64_u32 v[16:17], s[2:3], s7, v6, v[16:17]
	v_lshlrev_b64 v[0:1], 1, v[0:1]
	v_mov_b32_e32 v18, s17
	v_mov_b32_e32 v13, v16
	v_add_co_u32_e32 v0, vcc, s16, v0
	s_lshl_b64 s[18:19], s[4:5], 1
	v_lshlrev_b64 v[12:13], 1, v[12:13]
	v_addc_co_u32_e32 v1, vcc, v1, v18, vcc
	v_mov_b32_e32 v19, s19
	v_add_co_u32_e32 v12, vcc, s18, v12
	v_addc_co_u32_e32 v13, vcc, v13, v19, vcc
	s_lshl_b64 s[4:5], s[6:7], 6
	s_mov_b64 s[12:13], 0
	v_mov_b32_e32 v7, 0
	v_mov_b32_e32 v8, s1
	;; [unrolled: 1-line block ×3, first 2 shown]
	s_waitcnt vmcnt(1)
	v_add_co_u32_e32 v0, vcc, v4, v0
	v_addc_co_u32_e32 v1, vcc, v5, v1, vcc
	s_waitcnt vmcnt(0)
	v_add_co_u32_e32 v4, vcc, v10, v12
	v_addc_co_u32_e32 v5, vcc, v11, v13, vcc
	v_mov_b32_e32 v10, v6
.LBB416_3:                              ; =>This Inner Loop Header: Depth=1
	global_load_ushort v11, v[0:1], off
	global_load_ushort v12, v[4:5], off
	v_add_co_u32_e32 v0, vcc, s0, v0
	v_addc_co_u32_e32 v1, vcc, v1, v8, vcc
	v_add_co_u32_e32 v4, vcc, s4, v4
	v_add_u32_e32 v10, 32, v10
	v_addc_co_u32_e32 v5, vcc, v5, v9, vcc
	v_cmp_le_i32_e32 vcc, s14, v10
	s_or_b64 s[12:13], vcc, s[12:13]
	s_waitcnt vmcnt(0)
	v_fma_mix_f32 v7, v11, v12, v7 op_sel_hi:[1,1,0]
	s_andn2_b64 exec, exec, s[12:13]
	s_cbranch_execnz .LBB416_3
; %bb.4:
	s_or_b64 exec, exec, s[12:13]
.LBB416_5:
	s_or_b64 exec, exec, s[10:11]
	v_mbcnt_lo_u32_b32 v0, -1, 0
	v_mbcnt_hi_u32_b32 v0, -1, v0
	v_and_b32_e32 v1, 63, v0
	v_cmp_gt_u32_e32 vcc, 48, v1
	v_cndmask_b32_e64 v4, 0, 1, vcc
	v_lshlrev_b32_e32 v4, 4, v4
	v_add_lshl_u32 v4, v4, v0, 2
	ds_bpermute_b32 v4, v4, v7
	v_cmp_gt_u32_e32 vcc, 56, v1
	v_cndmask_b32_e64 v5, 0, 1, vcc
	v_lshlrev_b32_e32 v5, 3, v5
	v_add_lshl_u32 v5, v5, v0, 2
	s_waitcnt lgkmcnt(0)
	v_add_f32_e32 v4, v7, v4
	ds_bpermute_b32 v5, v5, v4
	v_cmp_gt_u32_e32 vcc, 60, v1
	v_cndmask_b32_e64 v7, 0, 1, vcc
	v_lshlrev_b32_e32 v7, 2, v7
	v_cmp_gt_u32_e32 vcc, 62, v1
	s_waitcnt lgkmcnt(0)
	v_add_f32_e32 v4, v4, v5
	v_add_lshl_u32 v5, v7, v0, 2
	ds_bpermute_b32 v5, v5, v4
	v_cndmask_b32_e64 v7, 0, 1, vcc
	v_lshlrev_b32_e32 v7, 1, v7
	v_cmp_ne_u32_e32 vcc, 63, v1
	v_addc_co_u32_e32 v1, vcc, 0, v0, vcc
	s_waitcnt lgkmcnt(0)
	v_add_f32_e32 v4, v4, v5
	v_add_lshl_u32 v5, v7, v0, 2
	ds_bpermute_b32 v5, v5, v4
	v_lshlrev_b32_e32 v1, 2, v1
	v_cmp_eq_u32_e32 vcc, 0, v6
	s_waitcnt lgkmcnt(0)
	s_barrier
	v_add_f32_e32 v0, v4, v5
	ds_bpermute_b32 v1, v1, v0
	s_waitcnt lgkmcnt(0)
	s_and_b64 exec, exec, vcc
	s_cbranch_execz .LBB416_7
; %bb.6:
	v_add_f32_e32 v0, v0, v1
	v_cvt_f16_f32_e32 v5, v0
	v_lshlrev_b64 v[2:3], 1, v[2:3]
	v_mov_b32_e32 v4, s9
	v_add_co_u32_e32 v0, vcc, s8, v2
	v_addc_co_u32_e32 v1, vcc, v4, v3, vcc
	global_store_short v[0:1], v5, off
.LBB416_7:
	s_endpgm
	.section	.rodata,"a",@progbits
	.p2align	6, 0x0
	.amdhsa_kernel _ZL28rocblas_dot_batched_4_kernelIlLi32ELi4ELb0EfDF16_PKPKDF16_EviT5_lT_lS4_lS5_liPT4_
		.amdhsa_group_segment_fixed_size 0
		.amdhsa_private_segment_fixed_size 0
		.amdhsa_kernarg_size 88
		.amdhsa_user_sgpr_count 6
		.amdhsa_user_sgpr_private_segment_buffer 1
		.amdhsa_user_sgpr_dispatch_ptr 0
		.amdhsa_user_sgpr_queue_ptr 0
		.amdhsa_user_sgpr_kernarg_segment_ptr 1
		.amdhsa_user_sgpr_dispatch_id 0
		.amdhsa_user_sgpr_flat_scratch_init 0
		.amdhsa_user_sgpr_kernarg_preload_length 0
		.amdhsa_user_sgpr_kernarg_preload_offset 0
		.amdhsa_user_sgpr_private_segment_size 0
		.amdhsa_uses_dynamic_stack 0
		.amdhsa_system_sgpr_private_segment_wavefront_offset 0
		.amdhsa_system_sgpr_workgroup_id_x 1
		.amdhsa_system_sgpr_workgroup_id_y 0
		.amdhsa_system_sgpr_workgroup_id_z 0
		.amdhsa_system_sgpr_workgroup_info 0
		.amdhsa_system_vgpr_workitem_id 1
		.amdhsa_next_free_vgpr 20
		.amdhsa_next_free_sgpr 20
		.amdhsa_accum_offset 20
		.amdhsa_reserve_vcc 1
		.amdhsa_reserve_flat_scratch 0
		.amdhsa_float_round_mode_32 0
		.amdhsa_float_round_mode_16_64 0
		.amdhsa_float_denorm_mode_32 3
		.amdhsa_float_denorm_mode_16_64 3
		.amdhsa_dx10_clamp 1
		.amdhsa_ieee_mode 1
		.amdhsa_fp16_overflow 0
		.amdhsa_tg_split 0
		.amdhsa_exception_fp_ieee_invalid_op 0
		.amdhsa_exception_fp_denorm_src 0
		.amdhsa_exception_fp_ieee_div_zero 0
		.amdhsa_exception_fp_ieee_overflow 0
		.amdhsa_exception_fp_ieee_underflow 0
		.amdhsa_exception_fp_ieee_inexact 0
		.amdhsa_exception_int_div_zero 0
	.end_amdhsa_kernel
	.section	.text._ZL28rocblas_dot_batched_4_kernelIlLi32ELi4ELb0EfDF16_PKPKDF16_EviT5_lT_lS4_lS5_liPT4_,"axG",@progbits,_ZL28rocblas_dot_batched_4_kernelIlLi32ELi4ELb0EfDF16_PKPKDF16_EviT5_lT_lS4_lS5_liPT4_,comdat
.Lfunc_end416:
	.size	_ZL28rocblas_dot_batched_4_kernelIlLi32ELi4ELb0EfDF16_PKPKDF16_EviT5_lT_lS4_lS5_liPT4_, .Lfunc_end416-_ZL28rocblas_dot_batched_4_kernelIlLi32ELi4ELb0EfDF16_PKPKDF16_EviT5_lT_lS4_lS5_liPT4_
                                        ; -- End function
	.section	.AMDGPU.csdata,"",@progbits
; Kernel info:
; codeLenInByte = 656
; NumSgprs: 24
; NumVgprs: 20
; NumAgprs: 0
; TotalNumVgprs: 20
; ScratchSize: 0
; MemoryBound: 0
; FloatMode: 240
; IeeeMode: 1
; LDSByteSize: 0 bytes/workgroup (compile time only)
; SGPRBlocks: 2
; VGPRBlocks: 2
; NumSGPRsForWavesPerEU: 24
; NumVGPRsForWavesPerEU: 20
; AccumOffset: 20
; Occupancy: 8
; WaveLimiterHint : 0
; COMPUTE_PGM_RSRC2:SCRATCH_EN: 0
; COMPUTE_PGM_RSRC2:USER_SGPR: 6
; COMPUTE_PGM_RSRC2:TRAP_HANDLER: 0
; COMPUTE_PGM_RSRC2:TGID_X_EN: 1
; COMPUTE_PGM_RSRC2:TGID_Y_EN: 0
; COMPUTE_PGM_RSRC2:TGID_Z_EN: 0
; COMPUTE_PGM_RSRC2:TIDIG_COMP_CNT: 1
; COMPUTE_PGM_RSRC3_GFX90A:ACCUM_OFFSET: 4
; COMPUTE_PGM_RSRC3_GFX90A:TG_SPLIT: 0
	.section	.text._ZL28rocblas_dot_batched_4_kernelIlLi64ELi4ELb0EfDF16_PKPKDF16_EviT5_lT_lS4_lS5_liPT4_,"axG",@progbits,_ZL28rocblas_dot_batched_4_kernelIlLi64ELi4ELb0EfDF16_PKPKDF16_EviT5_lT_lS4_lS5_liPT4_,comdat
	.globl	_ZL28rocblas_dot_batched_4_kernelIlLi64ELi4ELb0EfDF16_PKPKDF16_EviT5_lT_lS4_lS5_liPT4_ ; -- Begin function _ZL28rocblas_dot_batched_4_kernelIlLi64ELi4ELb0EfDF16_PKPKDF16_EviT5_lT_lS4_lS5_liPT4_
	.p2align	8
	.type	_ZL28rocblas_dot_batched_4_kernelIlLi64ELi4ELb0EfDF16_PKPKDF16_EviT5_lT_lS4_lS5_liPT4_,@function
_ZL28rocblas_dot_batched_4_kernelIlLi64ELi4ELb0EfDF16_PKPKDF16_EviT5_lT_lS4_lS5_liPT4_: ; @_ZL28rocblas_dot_batched_4_kernelIlLi64ELi4ELb0EfDF16_PKPKDF16_EviT5_lT_lS4_lS5_liPT4_
; %bb.0:
	s_load_dword s0, s[4:5], 0x48
	v_bfe_u32 v1, v0, 10, 10
	v_lshl_add_u32 v2, s6, 2, v1
	s_waitcnt lgkmcnt(0)
	v_cmp_gt_u32_e32 vcc, s0, v2
	s_and_saveexec_b64 s[0:1], vcc
	s_cbranch_execz .LBB417_7
; %bb.1:
	s_load_dword s14, s[4:5], 0x0
	s_load_dwordx2 s[8:9], s[4:5], 0x50
	v_mov_b32_e32 v3, 0
	v_and_b32_e32 v6, 0x3ff, v0
	v_mov_b32_e32 v7, v3
	s_waitcnt lgkmcnt(0)
	v_cmp_gt_i32_e32 vcc, s14, v6
	s_and_saveexec_b64 s[10:11], vcc
	s_cbranch_execz .LBB417_5
; %bb.2:
	s_load_dwordx2 s[6:7], s[4:5], 0x8
	s_load_dwordx2 s[12:13], s[4:5], 0x28
	v_lshlrev_b64 v[0:1], 3, v[2:3]
	s_load_dwordx4 s[0:3], s[4:5], 0x10
	s_waitcnt lgkmcnt(0)
	v_mov_b32_e32 v5, s7
	v_add_co_u32_e32 v4, vcc, s6, v0
	v_addc_co_u32_e32 v5, vcc, v5, v1, vcc
	global_load_dwordx2 v[4:5], v[4:5], off
	v_mov_b32_e32 v7, s13
	v_add_co_u32_e32 v0, vcc, s12, v0
	v_addc_co_u32_e32 v1, vcc, v7, v1, vcc
	global_load_dwordx2 v[10:11], v[0:1], off
	s_load_dwordx4 s[4:7], s[4:5], 0x30
	v_mad_u64_u32 v[0:1], s[16:17], s2, v6, 0
	v_mov_b32_e32 v14, v1
	s_lshl_b64 s[16:17], s[0:1], 1
	s_lshl_b64 s[0:1], s[2:3], 7
	s_waitcnt lgkmcnt(0)
	v_mad_u64_u32 v[12:13], s[18:19], s6, v6, 0
	v_mad_u64_u32 v[14:15], s[2:3], s3, v6, v[14:15]
	v_mov_b32_e32 v16, v13
	v_mov_b32_e32 v1, v14
	v_mad_u64_u32 v[16:17], s[2:3], s7, v6, v[16:17]
	v_lshlrev_b64 v[0:1], 1, v[0:1]
	v_mov_b32_e32 v18, s17
	v_mov_b32_e32 v13, v16
	v_add_co_u32_e32 v0, vcc, s16, v0
	s_lshl_b64 s[18:19], s[4:5], 1
	v_lshlrev_b64 v[12:13], 1, v[12:13]
	v_addc_co_u32_e32 v1, vcc, v1, v18, vcc
	v_mov_b32_e32 v19, s19
	v_add_co_u32_e32 v12, vcc, s18, v12
	v_addc_co_u32_e32 v13, vcc, v13, v19, vcc
	s_lshl_b64 s[4:5], s[6:7], 7
	s_mov_b64 s[12:13], 0
	v_mov_b32_e32 v7, 0
	v_mov_b32_e32 v8, s1
	;; [unrolled: 1-line block ×3, first 2 shown]
	s_waitcnt vmcnt(1)
	v_add_co_u32_e32 v0, vcc, v4, v0
	v_addc_co_u32_e32 v1, vcc, v5, v1, vcc
	s_waitcnt vmcnt(0)
	v_add_co_u32_e32 v4, vcc, v10, v12
	v_addc_co_u32_e32 v5, vcc, v11, v13, vcc
	v_mov_b32_e32 v10, v6
.LBB417_3:                              ; =>This Inner Loop Header: Depth=1
	global_load_ushort v11, v[0:1], off
	global_load_ushort v12, v[4:5], off
	v_add_co_u32_e32 v0, vcc, s0, v0
	v_addc_co_u32_e32 v1, vcc, v1, v8, vcc
	v_add_co_u32_e32 v4, vcc, s4, v4
	v_add_u32_e32 v10, 64, v10
	v_addc_co_u32_e32 v5, vcc, v5, v9, vcc
	v_cmp_le_i32_e32 vcc, s14, v10
	s_or_b64 s[12:13], vcc, s[12:13]
	s_waitcnt vmcnt(0)
	v_fma_mix_f32 v7, v11, v12, v7 op_sel_hi:[1,1,0]
	s_andn2_b64 exec, exec, s[12:13]
	s_cbranch_execnz .LBB417_3
; %bb.4:
	s_or_b64 exec, exec, s[12:13]
.LBB417_5:
	s_or_b64 exec, exec, s[10:11]
	v_mbcnt_lo_u32_b32 v0, -1, 0
	v_mbcnt_hi_u32_b32 v0, -1, v0
	v_and_b32_e32 v1, 63, v0
	v_cmp_gt_u32_e32 vcc, 32, v1
	v_cndmask_b32_e64 v4, 0, 1, vcc
	v_lshlrev_b32_e32 v4, 5, v4
	v_add_lshl_u32 v4, v4, v0, 2
	ds_bpermute_b32 v4, v4, v7
	v_cmp_gt_u32_e32 vcc, 48, v1
	v_cndmask_b32_e64 v5, 0, 1, vcc
	v_lshlrev_b32_e32 v5, 4, v5
	v_add_lshl_u32 v5, v5, v0, 2
	s_waitcnt lgkmcnt(0)
	v_add_f32_e32 v4, v7, v4
	ds_bpermute_b32 v5, v5, v4
	v_cmp_gt_u32_e32 vcc, 56, v1
	v_cndmask_b32_e64 v7, 0, 1, vcc
	v_lshlrev_b32_e32 v7, 3, v7
	v_cmp_gt_u32_e32 vcc, 60, v1
	s_waitcnt lgkmcnt(0)
	v_add_f32_e32 v4, v4, v5
	v_add_lshl_u32 v5, v7, v0, 2
	ds_bpermute_b32 v5, v5, v4
	v_cndmask_b32_e64 v7, 0, 1, vcc
	v_lshlrev_b32_e32 v7, 2, v7
	v_cmp_gt_u32_e32 vcc, 62, v1
	s_waitcnt lgkmcnt(0)
	v_add_f32_e32 v4, v4, v5
	v_add_lshl_u32 v5, v7, v0, 2
	ds_bpermute_b32 v5, v5, v4
	v_cndmask_b32_e64 v7, 0, 1, vcc
	v_lshlrev_b32_e32 v7, 1, v7
	v_cmp_ne_u32_e32 vcc, 63, v1
	v_addc_co_u32_e32 v1, vcc, 0, v0, vcc
	s_waitcnt lgkmcnt(0)
	v_add_f32_e32 v4, v4, v5
	v_add_lshl_u32 v5, v7, v0, 2
	ds_bpermute_b32 v5, v5, v4
	v_lshlrev_b32_e32 v1, 2, v1
	v_cmp_eq_u32_e32 vcc, 0, v6
	s_barrier
	s_waitcnt lgkmcnt(0)
	v_add_f32_e32 v0, v4, v5
	ds_bpermute_b32 v1, v1, v0
	s_and_b64 exec, exec, vcc
	s_cbranch_execz .LBB417_7
; %bb.6:
	s_waitcnt lgkmcnt(0)
	v_add_f32_e32 v0, v0, v1
	v_cvt_f16_f32_e32 v5, v0
	v_lshlrev_b64 v[2:3], 1, v[2:3]
	v_mov_b32_e32 v4, s9
	v_add_co_u32_e32 v0, vcc, s8, v2
	v_addc_co_u32_e32 v1, vcc, v4, v3, vcc
	global_store_short v[0:1], v5, off
.LBB417_7:
	s_endpgm
	.section	.rodata,"a",@progbits
	.p2align	6, 0x0
	.amdhsa_kernel _ZL28rocblas_dot_batched_4_kernelIlLi64ELi4ELb0EfDF16_PKPKDF16_EviT5_lT_lS4_lS5_liPT4_
		.amdhsa_group_segment_fixed_size 0
		.amdhsa_private_segment_fixed_size 0
		.amdhsa_kernarg_size 88
		.amdhsa_user_sgpr_count 6
		.amdhsa_user_sgpr_private_segment_buffer 1
		.amdhsa_user_sgpr_dispatch_ptr 0
		.amdhsa_user_sgpr_queue_ptr 0
		.amdhsa_user_sgpr_kernarg_segment_ptr 1
		.amdhsa_user_sgpr_dispatch_id 0
		.amdhsa_user_sgpr_flat_scratch_init 0
		.amdhsa_user_sgpr_kernarg_preload_length 0
		.amdhsa_user_sgpr_kernarg_preload_offset 0
		.amdhsa_user_sgpr_private_segment_size 0
		.amdhsa_uses_dynamic_stack 0
		.amdhsa_system_sgpr_private_segment_wavefront_offset 0
		.amdhsa_system_sgpr_workgroup_id_x 1
		.amdhsa_system_sgpr_workgroup_id_y 0
		.amdhsa_system_sgpr_workgroup_id_z 0
		.amdhsa_system_sgpr_workgroup_info 0
		.amdhsa_system_vgpr_workitem_id 1
		.amdhsa_next_free_vgpr 20
		.amdhsa_next_free_sgpr 20
		.amdhsa_accum_offset 20
		.amdhsa_reserve_vcc 1
		.amdhsa_reserve_flat_scratch 0
		.amdhsa_float_round_mode_32 0
		.amdhsa_float_round_mode_16_64 0
		.amdhsa_float_denorm_mode_32 3
		.amdhsa_float_denorm_mode_16_64 3
		.amdhsa_dx10_clamp 1
		.amdhsa_ieee_mode 1
		.amdhsa_fp16_overflow 0
		.amdhsa_tg_split 0
		.amdhsa_exception_fp_ieee_invalid_op 0
		.amdhsa_exception_fp_denorm_src 0
		.amdhsa_exception_fp_ieee_div_zero 0
		.amdhsa_exception_fp_ieee_overflow 0
		.amdhsa_exception_fp_ieee_underflow 0
		.amdhsa_exception_fp_ieee_inexact 0
		.amdhsa_exception_int_div_zero 0
	.end_amdhsa_kernel
	.section	.text._ZL28rocblas_dot_batched_4_kernelIlLi64ELi4ELb0EfDF16_PKPKDF16_EviT5_lT_lS4_lS5_liPT4_,"axG",@progbits,_ZL28rocblas_dot_batched_4_kernelIlLi64ELi4ELb0EfDF16_PKPKDF16_EviT5_lT_lS4_lS5_liPT4_,comdat
.Lfunc_end417:
	.size	_ZL28rocblas_dot_batched_4_kernelIlLi64ELi4ELb0EfDF16_PKPKDF16_EviT5_lT_lS4_lS5_liPT4_, .Lfunc_end417-_ZL28rocblas_dot_batched_4_kernelIlLi64ELi4ELb0EfDF16_PKPKDF16_EviT5_lT_lS4_lS5_liPT4_
                                        ; -- End function
	.section	.AMDGPU.csdata,"",@progbits
; Kernel info:
; codeLenInByte = 696
; NumSgprs: 24
; NumVgprs: 20
; NumAgprs: 0
; TotalNumVgprs: 20
; ScratchSize: 0
; MemoryBound: 0
; FloatMode: 240
; IeeeMode: 1
; LDSByteSize: 0 bytes/workgroup (compile time only)
; SGPRBlocks: 2
; VGPRBlocks: 2
; NumSGPRsForWavesPerEU: 24
; NumVGPRsForWavesPerEU: 20
; AccumOffset: 20
; Occupancy: 8
; WaveLimiterHint : 0
; COMPUTE_PGM_RSRC2:SCRATCH_EN: 0
; COMPUTE_PGM_RSRC2:USER_SGPR: 6
; COMPUTE_PGM_RSRC2:TRAP_HANDLER: 0
; COMPUTE_PGM_RSRC2:TGID_X_EN: 1
; COMPUTE_PGM_RSRC2:TGID_Y_EN: 0
; COMPUTE_PGM_RSRC2:TGID_Z_EN: 0
; COMPUTE_PGM_RSRC2:TIDIG_COMP_CNT: 1
; COMPUTE_PGM_RSRC3_GFX90A:ACCUM_OFFSET: 4
; COMPUTE_PGM_RSRC3_GFX90A:TG_SPLIT: 0
	.section	.text._ZL18rocblas_dot_kernelIlLb1ELi1024ELi32ELb0EDF16_PKPKDF16_fEviT5_lT_lS4_lS5_liPT6_PT4_,"axG",@progbits,_ZL18rocblas_dot_kernelIlLb1ELi1024ELi32ELb0EDF16_PKPKDF16_fEviT5_lT_lS4_lS5_liPT6_PT4_,comdat
	.globl	_ZL18rocblas_dot_kernelIlLb1ELi1024ELi32ELb0EDF16_PKPKDF16_fEviT5_lT_lS4_lS5_liPT6_PT4_ ; -- Begin function _ZL18rocblas_dot_kernelIlLb1ELi1024ELi32ELb0EDF16_PKPKDF16_fEviT5_lT_lS4_lS5_liPT6_PT4_
	.p2align	8
	.type	_ZL18rocblas_dot_kernelIlLb1ELi1024ELi32ELb0EDF16_PKPKDF16_fEviT5_lT_lS4_lS5_liPT6_PT4_,@function
_ZL18rocblas_dot_kernelIlLb1ELi1024ELi32ELb0EDF16_PKPKDF16_fEviT5_lT_lS4_lS5_liPT6_PT4_: ; @_ZL18rocblas_dot_kernelIlLb1ELi1024ELi32ELb0EDF16_PKPKDF16_fEviT5_lT_lS4_lS5_liPT6_PT4_
; %bb.0:
	s_load_dword s16, s[4:5], 0x0
	s_load_dwordx2 s[12:13], s[4:5], 0x58
	s_mov_b32 s6, s7
	s_mov_b32 s7, 0
	v_mov_b32_e32 v6, 0
	s_waitcnt lgkmcnt(0)
	v_cmp_gt_i32_e32 vcc, s16, v0
	s_and_saveexec_b64 s[14:15], vcc
	s_cbranch_execz .LBB418_4
; %bb.1:
	s_load_dwordx2 s[18:19], s[4:5], 0x8
	s_load_dwordx4 s[8:11], s[4:5], 0x10
	s_load_dwordx2 s[20:21], s[4:5], 0x28
	s_load_dwordx4 s[0:3], s[4:5], 0x30
	s_lshl_b64 s[22:23], s[6:7], 3
	s_waitcnt lgkmcnt(0)
	s_add_u32 s18, s18, s22
	s_addc_u32 s19, s19, s23
	s_load_dword s17, s[4:5], 0x60
	s_load_dwordx2 s[24:25], s[18:19], 0x0
	s_add_u32 s4, s20, s22
	s_addc_u32 s5, s21, s23
	s_load_dwordx2 s[18:19], s[4:5], 0x0
	v_mad_u64_u32 v[2:3], s[4:5], s10, v0, 0
	v_mov_b32_e32 v4, v3
	v_mad_u64_u32 v[4:5], s[4:5], s11, v0, v[4:5]
	s_waitcnt lgkmcnt(0)
	s_lshl_b32 s17, s17, 10
	s_lshl_b64 s[4:5], s[8:9], 1
	v_mov_b32_e32 v3, v4
	s_add_u32 s4, s24, s4
	v_lshlrev_b64 v[2:3], 1, v[2:3]
	s_addc_u32 s5, s25, s5
	s_ashr_i32 s20, s17, 31
	v_mov_b32_e32 v4, s5
	v_add_co_u32_e32 v2, vcc, s4, v2
	s_mul_i32 s4, s10, s20
	s_mul_hi_u32 s5, s10, s17
	v_addc_co_u32_e32 v3, vcc, v4, v3, vcc
	s_add_i32 s4, s5, s4
	s_mul_i32 s5, s11, s17
	v_mad_u64_u32 v[4:5], s[8:9], s2, v0, 0
	s_add_i32 s5, s4, s5
	s_mul_i32 s4, s10, s17
	v_mov_b32_e32 v6, v5
	s_lshl_b64 s[4:5], s[4:5], 1
	v_mad_u64_u32 v[6:7], s[8:9], s3, v0, v[6:7]
	s_lshl_b64 s[0:1], s[0:1], 1
	v_mov_b32_e32 v5, v6
	s_add_u32 s0, s18, s0
	v_lshlrev_b64 v[4:5], 1, v[4:5]
	s_addc_u32 s1, s19, s1
	v_mov_b32_e32 v6, s1
	v_add_co_u32_e32 v4, vcc, s0, v4
	s_mul_i32 s0, s2, s20
	s_mul_hi_u32 s1, s2, s17
	s_add_i32 s0, s1, s0
	s_mul_i32 s1, s3, s17
	s_add_i32 s1, s0, s1
	s_mul_i32 s0, s2, s17
	s_lshl_b64 s[8:9], s[0:1], 1
	v_or_b32_e32 v1, s17, v0
	v_addc_co_u32_e32 v5, vcc, v6, v5, vcc
	s_mov_b64 s[2:3], 0
	v_mov_b32_e32 v6, 0
	v_mov_b32_e32 v7, s5
	;; [unrolled: 1-line block ×3, first 2 shown]
	s_mov_b32 s5, s7
.LBB418_2:                              ; =>This Inner Loop Header: Depth=1
	global_load_ushort v9, v[4:5], off
	global_load_ushort v10, v[2:3], off
	v_add_co_u32_e64 v2, s[0:1], s4, v2
	v_addc_co_u32_e64 v3, s[0:1], v3, v7, s[0:1]
	s_add_i32 s9, s5, 1
	v_add_co_u32_e64 v4, s[0:1], s8, v4
	v_addc_co_u32_e64 v5, s[0:1], v5, v8, s[0:1]
	s_cmp_gt_u32 s5, 30
	v_cmp_le_i32_e32 vcc, s16, v1
	s_cselect_b64 s[0:1], -1, 0
	s_or_b64 s[0:1], s[0:1], vcc
	s_and_b64 s[0:1], exec, s[0:1]
	v_add_u32_e32 v1, s17, v1
	s_mov_b32 s5, s9
	s_or_b64 s[2:3], s[0:1], s[2:3]
	s_waitcnt vmcnt(0)
	v_fma_mix_f32 v6, v9, v10, v6 op_sel_hi:[1,1,0]
	s_andn2_b64 exec, exec, s[2:3]
	s_cbranch_execnz .LBB418_2
; %bb.3:
	s_or_b64 exec, exec, s[2:3]
.LBB418_4:
	s_or_b64 exec, exec, s[14:15]
	v_and_b32_e32 v2, 63, v0
	v_cmp_gt_u32_e32 vcc, 64, v0
	v_lshlrev_b32_e32 v1, 2, v2
	s_and_saveexec_b64 s[0:1], vcc
	s_cbranch_execz .LBB418_6
; %bb.5:
	v_mov_b32_e32 v3, 0
	ds_write_b32 v1, v3
.LBB418_6:
	s_or_b64 exec, exec, s[0:1]
	v_mbcnt_lo_u32_b32 v3, -1, 0
	v_mbcnt_hi_u32_b32 v7, -1, v3
	v_and_b32_e32 v8, 63, v7
	v_cmp_gt_u32_e64 s[0:1], 32, v8
	v_cndmask_b32_e64 v3, 0, 1, s[0:1]
	v_lshlrev_b32_e32 v3, 5, v3
	v_add_lshl_u32 v3, v3, v7, 2
	ds_bpermute_b32 v3, v3, v6
	v_cmp_gt_u32_e64 s[0:1], 48, v8
	v_cndmask_b32_e64 v4, 0, 1, s[0:1]
	v_lshlrev_b32_e32 v4, 4, v4
	v_add_lshl_u32 v4, v4, v7, 2
	s_waitcnt lgkmcnt(0)
	v_add_f32_e32 v3, v6, v3
	ds_bpermute_b32 v4, v4, v3
	v_cmp_gt_u32_e64 s[0:1], 56, v8
	v_cndmask_b32_e64 v5, 0, 1, s[0:1]
	v_lshlrev_b32_e32 v5, 3, v5
	v_cmp_gt_u32_e64 s[0:1], 60, v8
	s_waitcnt lgkmcnt(0)
	v_add_f32_e32 v4, v3, v4
	v_add_lshl_u32 v3, v5, v7, 2
	ds_bpermute_b32 v5, v3, v4
	v_cndmask_b32_e64 v6, 0, 1, s[0:1]
	v_lshlrev_b32_e32 v6, 2, v6
	v_cmp_gt_u32_e64 s[0:1], 62, v8
	v_cndmask_b32_e64 v9, 0, 1, s[0:1]
	s_waitcnt lgkmcnt(0)
	v_add_f32_e32 v5, v4, v5
	v_add_lshl_u32 v4, v6, v7, 2
	ds_bpermute_b32 v6, v4, v5
	v_lshlrev_b32_e32 v9, 1, v9
	v_cmp_ne_u32_e64 s[0:1], 63, v8
	v_addc_co_u32_e64 v8, s[0:1], 0, v7, s[0:1]
	s_waitcnt lgkmcnt(0)
	v_add_f32_e32 v6, v5, v6
	v_add_lshl_u32 v5, v9, v7, 2
	ds_bpermute_b32 v9, v5, v6
	v_cmp_eq_u32_e64 s[0:1], 0, v2
	s_waitcnt lgkmcnt(0)
	s_barrier
	v_add_f32_e32 v7, v6, v9
	v_lshlrev_b32_e32 v6, 2, v8
	ds_bpermute_b32 v8, v6, v7
	s_and_saveexec_b64 s[2:3], s[0:1]
	s_cbranch_execz .LBB418_8
; %bb.7:
	s_waitcnt lgkmcnt(0)
	v_add_f32_e32 v2, v7, v8
	v_lshrrev_b32_e32 v7, 4, v0
	v_and_b32_e32 v7, 60, v7
	ds_write_b32 v7, v2
.LBB418_8:
	s_or_b64 exec, exec, s[2:3]
	v_cmp_gt_u32_e64 s[0:1], 16, v0
	v_mov_b32_e32 v2, 0
	s_waitcnt lgkmcnt(0)
	s_barrier
	s_and_saveexec_b64 s[2:3], s[0:1]
	s_cbranch_execnz .LBB418_12
; %bb.9:
	s_or_b64 exec, exec, s[2:3]
	s_and_saveexec_b64 s[0:1], vcc
	s_cbranch_execnz .LBB418_13
.LBB418_10:
	s_or_b64 exec, exec, s[0:1]
	v_cmp_eq_u32_e32 vcc, 0, v0
	s_and_saveexec_b64 s[0:1], vcc
	s_cbranch_execnz .LBB418_14
.LBB418_11:
	s_endpgm
.LBB418_12:
	ds_read_b32 v2, v1
	s_or_b64 exec, exec, s[2:3]
	s_and_saveexec_b64 s[0:1], vcc
	s_cbranch_execz .LBB418_10
.LBB418_13:
	s_waitcnt lgkmcnt(0)
	ds_bpermute_b32 v1, v3, v2
	s_waitcnt lgkmcnt(0)
	v_add_f32_e32 v1, v2, v1
	ds_bpermute_b32 v2, v4, v1
	s_waitcnt lgkmcnt(0)
	v_add_f32_e32 v1, v1, v2
	;; [unrolled: 3-line block ×4, first 2 shown]
	s_or_b64 exec, exec, s[0:1]
	v_cmp_eq_u32_e32 vcc, 0, v0
	s_and_saveexec_b64 s[0:1], vcc
	s_cbranch_execz .LBB418_11
.LBB418_14:
	s_waitcnt lgkmcnt(0)
	v_cvt_f16_f32_e32 v0, v2
	s_lshl_b64 s[0:1], s[6:7], 1
	s_add_u32 s0, s12, s0
	s_addc_u32 s1, s13, s1
	v_mov_b32_e32 v1, 0
	global_store_short v1, v0, s[0:1]
	s_endpgm
	.section	.rodata,"a",@progbits
	.p2align	6, 0x0
	.amdhsa_kernel _ZL18rocblas_dot_kernelIlLb1ELi1024ELi32ELb0EDF16_PKPKDF16_fEviT5_lT_lS4_lS5_liPT6_PT4_
		.amdhsa_group_segment_fixed_size 256
		.amdhsa_private_segment_fixed_size 0
		.amdhsa_kernarg_size 352
		.amdhsa_user_sgpr_count 6
		.amdhsa_user_sgpr_private_segment_buffer 1
		.amdhsa_user_sgpr_dispatch_ptr 0
		.amdhsa_user_sgpr_queue_ptr 0
		.amdhsa_user_sgpr_kernarg_segment_ptr 1
		.amdhsa_user_sgpr_dispatch_id 0
		.amdhsa_user_sgpr_flat_scratch_init 0
		.amdhsa_user_sgpr_kernarg_preload_length 0
		.amdhsa_user_sgpr_kernarg_preload_offset 0
		.amdhsa_user_sgpr_private_segment_size 0
		.amdhsa_uses_dynamic_stack 0
		.amdhsa_system_sgpr_private_segment_wavefront_offset 0
		.amdhsa_system_sgpr_workgroup_id_x 1
		.amdhsa_system_sgpr_workgroup_id_y 0
		.amdhsa_system_sgpr_workgroup_id_z 1
		.amdhsa_system_sgpr_workgroup_info 0
		.amdhsa_system_vgpr_workitem_id 0
		.amdhsa_next_free_vgpr 11
		.amdhsa_next_free_sgpr 26
		.amdhsa_accum_offset 12
		.amdhsa_reserve_vcc 1
		.amdhsa_reserve_flat_scratch 0
		.amdhsa_float_round_mode_32 0
		.amdhsa_float_round_mode_16_64 0
		.amdhsa_float_denorm_mode_32 3
		.amdhsa_float_denorm_mode_16_64 3
		.amdhsa_dx10_clamp 1
		.amdhsa_ieee_mode 1
		.amdhsa_fp16_overflow 0
		.amdhsa_tg_split 0
		.amdhsa_exception_fp_ieee_invalid_op 0
		.amdhsa_exception_fp_denorm_src 0
		.amdhsa_exception_fp_ieee_div_zero 0
		.amdhsa_exception_fp_ieee_overflow 0
		.amdhsa_exception_fp_ieee_underflow 0
		.amdhsa_exception_fp_ieee_inexact 0
		.amdhsa_exception_int_div_zero 0
	.end_amdhsa_kernel
	.section	.text._ZL18rocblas_dot_kernelIlLb1ELi1024ELi32ELb0EDF16_PKPKDF16_fEviT5_lT_lS4_lS5_liPT6_PT4_,"axG",@progbits,_ZL18rocblas_dot_kernelIlLb1ELi1024ELi32ELb0EDF16_PKPKDF16_fEviT5_lT_lS4_lS5_liPT6_PT4_,comdat
.Lfunc_end418:
	.size	_ZL18rocblas_dot_kernelIlLb1ELi1024ELi32ELb0EDF16_PKPKDF16_fEviT5_lT_lS4_lS5_liPT6_PT4_, .Lfunc_end418-_ZL18rocblas_dot_kernelIlLb1ELi1024ELi32ELb0EDF16_PKPKDF16_fEviT5_lT_lS4_lS5_liPT6_PT4_
                                        ; -- End function
	.section	.AMDGPU.csdata,"",@progbits
; Kernel info:
; codeLenInByte = 992
; NumSgprs: 30
; NumVgprs: 11
; NumAgprs: 0
; TotalNumVgprs: 11
; ScratchSize: 0
; MemoryBound: 0
; FloatMode: 240
; IeeeMode: 1
; LDSByteSize: 256 bytes/workgroup (compile time only)
; SGPRBlocks: 3
; VGPRBlocks: 1
; NumSGPRsForWavesPerEU: 30
; NumVGPRsForWavesPerEU: 11
; AccumOffset: 12
; Occupancy: 8
; WaveLimiterHint : 0
; COMPUTE_PGM_RSRC2:SCRATCH_EN: 0
; COMPUTE_PGM_RSRC2:USER_SGPR: 6
; COMPUTE_PGM_RSRC2:TRAP_HANDLER: 0
; COMPUTE_PGM_RSRC2:TGID_X_EN: 1
; COMPUTE_PGM_RSRC2:TGID_Y_EN: 0
; COMPUTE_PGM_RSRC2:TGID_Z_EN: 1
; COMPUTE_PGM_RSRC2:TIDIG_COMP_CNT: 0
; COMPUTE_PGM_RSRC3_GFX90A:ACCUM_OFFSET: 2
; COMPUTE_PGM_RSRC3_GFX90A:TG_SPLIT: 0
	.section	.text._ZL24rocblas_dot_kernel_magsqIlLb1ELi1024ELi32ELb0EDF16_PKPKDF16_fEviT5_lT_liPT6_PT4_,"axG",@progbits,_ZL24rocblas_dot_kernel_magsqIlLb1ELi1024ELi32ELb0EDF16_PKPKDF16_fEviT5_lT_liPT6_PT4_,comdat
	.globl	_ZL24rocblas_dot_kernel_magsqIlLb1ELi1024ELi32ELb0EDF16_PKPKDF16_fEviT5_lT_liPT6_PT4_ ; -- Begin function _ZL24rocblas_dot_kernel_magsqIlLb1ELi1024ELi32ELb0EDF16_PKPKDF16_fEviT5_lT_liPT6_PT4_
	.p2align	8
	.type	_ZL24rocblas_dot_kernel_magsqIlLb1ELi1024ELi32ELb0EDF16_PKPKDF16_fEviT5_lT_liPT6_PT4_,@function
_ZL24rocblas_dot_kernel_magsqIlLb1ELi1024ELi32ELb0EDF16_PKPKDF16_fEviT5_lT_liPT6_PT4_: ; @_ZL24rocblas_dot_kernel_magsqIlLb1ELi1024ELi32ELb0EDF16_PKPKDF16_fEviT5_lT_liPT6_PT4_
; %bb.0:
	s_mov_b32 s2, s7
	s_load_dword s12, s[4:5], 0x0
	s_load_dwordx2 s[6:7], s[4:5], 0x38
	s_mov_b32 s3, 0
	v_mov_b32_e32 v1, 0
	s_waitcnt lgkmcnt(0)
	v_cmp_gt_i32_e32 vcc, s12, v0
	s_and_saveexec_b64 s[8:9], vcc
	s_cbranch_execz .LBB419_4
; %bb.1:
	s_load_dwordx2 s[0:1], s[4:5], 0x8
	s_load_dword s10, s[4:5], 0x40
	s_load_dwordx4 s[16:19], s[4:5], 0x10
	s_lshl_b64 s[4:5], s[2:3], 3
	s_waitcnt lgkmcnt(0)
	s_add_u32 s0, s0, s4
	s_addc_u32 s1, s1, s5
	s_load_dwordx2 s[0:1], s[0:1], 0x0
	v_mad_u64_u32 v[2:3], s[4:5], s18, v0, 0
	v_mov_b32_e32 v6, v3
	v_mad_u64_u32 v[6:7], s[4:5], s19, v0, v[6:7]
	s_lshl_b32 s13, s10, 10
	v_mov_b32_e32 v3, v6
	s_lshl_b64 s[4:5], s[16:17], 1
	v_lshlrev_b64 v[2:3], 1, v[2:3]
	s_waitcnt lgkmcnt(0)
	s_add_u32 s0, s0, s4
	s_addc_u32 s1, s1, s5
	v_add_co_u32_e32 v2, vcc, s0, v2
	s_ashr_i32 s0, s13, 31
	v_mov_b32_e32 v1, s1
	s_mul_i32 s0, s18, s0
	s_mul_hi_u32 s1, s18, s13
	s_add_i32 s0, s1, s0
	s_mul_i32 s1, s19, s13
	s_add_i32 s1, s0, s1
	s_mul_i32 s0, s18, s13
	s_lshl_b64 s[10:11], s[0:1], 1
	v_or_b32_e32 v4, s13, v0
	v_addc_co_u32_e32 v3, vcc, v1, v3, vcc
	s_mov_b64 s[4:5], 0
	v_mov_b32_e32 v1, 0
	v_mov_b32_e32 v5, s11
	s_mov_b32 s11, s3
.LBB419_2:                              ; =>This Inner Loop Header: Depth=1
	global_load_ushort v6, v[2:3], off
	s_add_i32 s14, s11, 1
	v_add_co_u32_e64 v2, s[0:1], s10, v2
	v_addc_co_u32_e64 v3, s[0:1], v3, v5, s[0:1]
	s_cmp_gt_u32 s11, 30
	v_cmp_le_i32_e32 vcc, s12, v4
	s_cselect_b64 s[0:1], -1, 0
	s_or_b64 s[0:1], s[0:1], vcc
	s_and_b64 s[0:1], exec, s[0:1]
	v_add_u32_e32 v4, s13, v4
	s_mov_b32 s11, s14
	s_or_b64 s[4:5], s[0:1], s[4:5]
	s_waitcnt vmcnt(0)
	v_fma_mix_f32 v1, v6, v6, v1 op_sel_hi:[1,1,0]
	s_andn2_b64 exec, exec, s[4:5]
	s_cbranch_execnz .LBB419_2
; %bb.3:
	s_or_b64 exec, exec, s[4:5]
.LBB419_4:
	s_or_b64 exec, exec, s[8:9]
	v_and_b32_e32 v3, 63, v0
	v_cmp_gt_u32_e32 vcc, 64, v0
	v_lshlrev_b32_e32 v2, 2, v3
	s_and_saveexec_b64 s[0:1], vcc
	s_cbranch_execz .LBB419_6
; %bb.5:
	v_mov_b32_e32 v4, 0
	ds_write_b32 v2, v4
.LBB419_6:
	s_or_b64 exec, exec, s[0:1]
	v_mbcnt_lo_u32_b32 v4, -1, 0
	v_mbcnt_hi_u32_b32 v6, -1, v4
	v_and_b32_e32 v7, 63, v6
	v_cmp_gt_u32_e64 s[0:1], 32, v7
	v_cndmask_b32_e64 v4, 0, 1, s[0:1]
	v_lshlrev_b32_e32 v4, 5, v4
	v_add_lshl_u32 v4, v4, v6, 2
	ds_bpermute_b32 v4, v4, v1
	v_cmp_gt_u32_e64 s[0:1], 48, v7
	v_cndmask_b32_e64 v5, 0, 1, s[0:1]
	v_lshlrev_b32_e32 v5, 4, v5
	v_cmp_gt_u32_e64 s[0:1], 56, v7
	s_waitcnt lgkmcnt(0)
	v_add_f32_e32 v1, v1, v4
	v_add_lshl_u32 v4, v5, v6, 2
	ds_bpermute_b32 v4, v4, v1
	v_cndmask_b32_e64 v5, 0, 1, s[0:1]
	v_lshlrev_b32_e32 v5, 3, v5
	v_cmp_gt_u32_e64 s[0:1], 60, v7
	v_cndmask_b32_e64 v8, 0, 1, s[0:1]
	s_waitcnt lgkmcnt(0)
	v_add_f32_e32 v4, v1, v4
	v_add_lshl_u32 v1, v5, v6, 2
	ds_bpermute_b32 v5, v1, v4
	v_lshlrev_b32_e32 v8, 2, v8
	v_cmp_gt_u32_e64 s[0:1], 62, v7
	v_cndmask_b32_e64 v9, 0, 1, s[0:1]
	v_lshlrev_b32_e32 v9, 1, v9
	s_waitcnt lgkmcnt(0)
	v_add_f32_e32 v5, v4, v5
	v_add_lshl_u32 v4, v8, v6, 2
	ds_bpermute_b32 v8, v4, v5
	v_cmp_ne_u32_e64 s[0:1], 63, v7
	s_waitcnt lgkmcnt(0)
	s_barrier
	v_add_f32_e32 v8, v5, v8
	v_add_lshl_u32 v5, v9, v6, 2
	ds_bpermute_b32 v9, v5, v8
	v_addc_co_u32_e64 v6, s[0:1], 0, v6, s[0:1]
	v_lshlrev_b32_e32 v6, 2, v6
	v_cmp_eq_u32_e64 s[0:1], 0, v3
	s_waitcnt lgkmcnt(0)
	v_add_f32_e32 v7, v8, v9
	ds_bpermute_b32 v8, v6, v7
	s_and_saveexec_b64 s[4:5], s[0:1]
	s_cbranch_execz .LBB419_8
; %bb.7:
	s_waitcnt lgkmcnt(0)
	v_add_f32_e32 v3, v7, v8
	v_lshrrev_b32_e32 v7, 4, v0
	v_and_b32_e32 v7, 60, v7
	ds_write_b32 v7, v3
.LBB419_8:
	s_or_b64 exec, exec, s[4:5]
	v_cmp_gt_u32_e64 s[0:1], 16, v0
	v_mov_b32_e32 v3, 0
	s_waitcnt lgkmcnt(0)
	s_barrier
	s_and_saveexec_b64 s[4:5], s[0:1]
	s_cbranch_execnz .LBB419_12
; %bb.9:
	s_or_b64 exec, exec, s[4:5]
	s_and_saveexec_b64 s[0:1], vcc
	s_cbranch_execnz .LBB419_13
.LBB419_10:
	s_or_b64 exec, exec, s[0:1]
	v_cmp_eq_u32_e32 vcc, 0, v0
	s_and_saveexec_b64 s[0:1], vcc
	s_cbranch_execnz .LBB419_14
.LBB419_11:
	s_endpgm
.LBB419_12:
	ds_read_b32 v3, v2
	s_or_b64 exec, exec, s[4:5]
	s_and_saveexec_b64 s[0:1], vcc
	s_cbranch_execz .LBB419_10
.LBB419_13:
	s_waitcnt lgkmcnt(0)
	ds_bpermute_b32 v1, v1, v3
	s_waitcnt lgkmcnt(0)
	v_add_f32_e32 v1, v3, v1
	ds_bpermute_b32 v2, v4, v1
	s_waitcnt lgkmcnt(0)
	v_add_f32_e32 v1, v1, v2
	;; [unrolled: 3-line block ×4, first 2 shown]
	s_or_b64 exec, exec, s[0:1]
	v_cmp_eq_u32_e32 vcc, 0, v0
	s_and_saveexec_b64 s[0:1], vcc
	s_cbranch_execz .LBB419_11
.LBB419_14:
	s_waitcnt lgkmcnt(0)
	v_cvt_f16_f32_e32 v0, v3
	s_lshl_b64 s[0:1], s[2:3], 1
	s_add_u32 s0, s6, s0
	s_addc_u32 s1, s7, s1
	v_mov_b32_e32 v1, 0
	global_store_short v1, v0, s[0:1]
	s_endpgm
	.section	.rodata,"a",@progbits
	.p2align	6, 0x0
	.amdhsa_kernel _ZL24rocblas_dot_kernel_magsqIlLb1ELi1024ELi32ELb0EDF16_PKPKDF16_fEviT5_lT_liPT6_PT4_
		.amdhsa_group_segment_fixed_size 256
		.amdhsa_private_segment_fixed_size 0
		.amdhsa_kernarg_size 320
		.amdhsa_user_sgpr_count 6
		.amdhsa_user_sgpr_private_segment_buffer 1
		.amdhsa_user_sgpr_dispatch_ptr 0
		.amdhsa_user_sgpr_queue_ptr 0
		.amdhsa_user_sgpr_kernarg_segment_ptr 1
		.amdhsa_user_sgpr_dispatch_id 0
		.amdhsa_user_sgpr_flat_scratch_init 0
		.amdhsa_user_sgpr_kernarg_preload_length 0
		.amdhsa_user_sgpr_kernarg_preload_offset 0
		.amdhsa_user_sgpr_private_segment_size 0
		.amdhsa_uses_dynamic_stack 0
		.amdhsa_system_sgpr_private_segment_wavefront_offset 0
		.amdhsa_system_sgpr_workgroup_id_x 1
		.amdhsa_system_sgpr_workgroup_id_y 0
		.amdhsa_system_sgpr_workgroup_id_z 1
		.amdhsa_system_sgpr_workgroup_info 0
		.amdhsa_system_vgpr_workitem_id 0
		.amdhsa_next_free_vgpr 10
		.amdhsa_next_free_sgpr 20
		.amdhsa_accum_offset 12
		.amdhsa_reserve_vcc 1
		.amdhsa_reserve_flat_scratch 0
		.amdhsa_float_round_mode_32 0
		.amdhsa_float_round_mode_16_64 0
		.amdhsa_float_denorm_mode_32 3
		.amdhsa_float_denorm_mode_16_64 3
		.amdhsa_dx10_clamp 1
		.amdhsa_ieee_mode 1
		.amdhsa_fp16_overflow 0
		.amdhsa_tg_split 0
		.amdhsa_exception_fp_ieee_invalid_op 0
		.amdhsa_exception_fp_denorm_src 0
		.amdhsa_exception_fp_ieee_div_zero 0
		.amdhsa_exception_fp_ieee_overflow 0
		.amdhsa_exception_fp_ieee_underflow 0
		.amdhsa_exception_fp_ieee_inexact 0
		.amdhsa_exception_int_div_zero 0
	.end_amdhsa_kernel
	.section	.text._ZL24rocblas_dot_kernel_magsqIlLb1ELi1024ELi32ELb0EDF16_PKPKDF16_fEviT5_lT_liPT6_PT4_,"axG",@progbits,_ZL24rocblas_dot_kernel_magsqIlLb1ELi1024ELi32ELb0EDF16_PKPKDF16_fEviT5_lT_liPT6_PT4_,comdat
.Lfunc_end419:
	.size	_ZL24rocblas_dot_kernel_magsqIlLb1ELi1024ELi32ELb0EDF16_PKPKDF16_fEviT5_lT_liPT6_PT4_, .Lfunc_end419-_ZL24rocblas_dot_kernel_magsqIlLb1ELi1024ELi32ELb0EDF16_PKPKDF16_fEviT5_lT_liPT6_PT4_
                                        ; -- End function
	.section	.AMDGPU.csdata,"",@progbits
; Kernel info:
; codeLenInByte = 848
; NumSgprs: 24
; NumVgprs: 10
; NumAgprs: 0
; TotalNumVgprs: 10
; ScratchSize: 0
; MemoryBound: 0
; FloatMode: 240
; IeeeMode: 1
; LDSByteSize: 256 bytes/workgroup (compile time only)
; SGPRBlocks: 2
; VGPRBlocks: 1
; NumSGPRsForWavesPerEU: 24
; NumVGPRsForWavesPerEU: 10
; AccumOffset: 12
; Occupancy: 8
; WaveLimiterHint : 0
; COMPUTE_PGM_RSRC2:SCRATCH_EN: 0
; COMPUTE_PGM_RSRC2:USER_SGPR: 6
; COMPUTE_PGM_RSRC2:TRAP_HANDLER: 0
; COMPUTE_PGM_RSRC2:TGID_X_EN: 1
; COMPUTE_PGM_RSRC2:TGID_Y_EN: 0
; COMPUTE_PGM_RSRC2:TGID_Z_EN: 1
; COMPUTE_PGM_RSRC2:TIDIG_COMP_CNT: 0
; COMPUTE_PGM_RSRC3_GFX90A:ACCUM_OFFSET: 2
; COMPUTE_PGM_RSRC3_GFX90A:TG_SPLIT: 0
	.section	.text._ZL38rocblas_dot_kernel_gfx942_float_doubleIlLi1024EDF16_PKPKDF16_fEviT2_lT_lS4_lS5_lPT3_PT1_,"axG",@progbits,_ZL38rocblas_dot_kernel_gfx942_float_doubleIlLi1024EDF16_PKPKDF16_fEviT2_lT_lS4_lS5_lPT3_PT1_,comdat
	.globl	_ZL38rocblas_dot_kernel_gfx942_float_doubleIlLi1024EDF16_PKPKDF16_fEviT2_lT_lS4_lS5_lPT3_PT1_ ; -- Begin function _ZL38rocblas_dot_kernel_gfx942_float_doubleIlLi1024EDF16_PKPKDF16_fEviT2_lT_lS4_lS5_lPT3_PT1_
	.p2align	8
	.type	_ZL38rocblas_dot_kernel_gfx942_float_doubleIlLi1024EDF16_PKPKDF16_fEviT2_lT_lS4_lS5_lPT3_PT1_,@function
_ZL38rocblas_dot_kernel_gfx942_float_doubleIlLi1024EDF16_PKPKDF16_fEviT2_lT_lS4_lS5_lPT3_PT1_: ; @_ZL38rocblas_dot_kernel_gfx942_float_doubleIlLi1024EDF16_PKPKDF16_fEviT2_lT_lS4_lS5_lPT3_PT1_
; %bb.0:
	s_endpgm
	.section	.rodata,"a",@progbits
	.p2align	6, 0x0
	.amdhsa_kernel _ZL38rocblas_dot_kernel_gfx942_float_doubleIlLi1024EDF16_PKPKDF16_fEviT2_lT_lS4_lS5_lPT3_PT1_
		.amdhsa_group_segment_fixed_size 0
		.amdhsa_private_segment_fixed_size 0
		.amdhsa_kernarg_size 88
		.amdhsa_user_sgpr_count 6
		.amdhsa_user_sgpr_private_segment_buffer 1
		.amdhsa_user_sgpr_dispatch_ptr 0
		.amdhsa_user_sgpr_queue_ptr 0
		.amdhsa_user_sgpr_kernarg_segment_ptr 1
		.amdhsa_user_sgpr_dispatch_id 0
		.amdhsa_user_sgpr_flat_scratch_init 0
		.amdhsa_user_sgpr_kernarg_preload_length 0
		.amdhsa_user_sgpr_kernarg_preload_offset 0
		.amdhsa_user_sgpr_private_segment_size 0
		.amdhsa_uses_dynamic_stack 0
		.amdhsa_system_sgpr_private_segment_wavefront_offset 0
		.amdhsa_system_sgpr_workgroup_id_x 1
		.amdhsa_system_sgpr_workgroup_id_y 0
		.amdhsa_system_sgpr_workgroup_id_z 0
		.amdhsa_system_sgpr_workgroup_info 0
		.amdhsa_system_vgpr_workitem_id 0
		.amdhsa_next_free_vgpr 1
		.amdhsa_next_free_sgpr 0
		.amdhsa_accum_offset 4
		.amdhsa_reserve_vcc 0
		.amdhsa_reserve_flat_scratch 0
		.amdhsa_float_round_mode_32 0
		.amdhsa_float_round_mode_16_64 0
		.amdhsa_float_denorm_mode_32 3
		.amdhsa_float_denorm_mode_16_64 3
		.amdhsa_dx10_clamp 1
		.amdhsa_ieee_mode 1
		.amdhsa_fp16_overflow 0
		.amdhsa_tg_split 0
		.amdhsa_exception_fp_ieee_invalid_op 0
		.amdhsa_exception_fp_denorm_src 0
		.amdhsa_exception_fp_ieee_div_zero 0
		.amdhsa_exception_fp_ieee_overflow 0
		.amdhsa_exception_fp_ieee_underflow 0
		.amdhsa_exception_fp_ieee_inexact 0
		.amdhsa_exception_int_div_zero 0
	.end_amdhsa_kernel
	.section	.text._ZL38rocblas_dot_kernel_gfx942_float_doubleIlLi1024EDF16_PKPKDF16_fEviT2_lT_lS4_lS5_lPT3_PT1_,"axG",@progbits,_ZL38rocblas_dot_kernel_gfx942_float_doubleIlLi1024EDF16_PKPKDF16_fEviT2_lT_lS4_lS5_lPT3_PT1_,comdat
.Lfunc_end420:
	.size	_ZL38rocblas_dot_kernel_gfx942_float_doubleIlLi1024EDF16_PKPKDF16_fEviT2_lT_lS4_lS5_lPT3_PT1_, .Lfunc_end420-_ZL38rocblas_dot_kernel_gfx942_float_doubleIlLi1024EDF16_PKPKDF16_fEviT2_lT_lS4_lS5_lPT3_PT1_
                                        ; -- End function
	.section	.AMDGPU.csdata,"",@progbits
; Kernel info:
; codeLenInByte = 4
; NumSgprs: 4
; NumVgprs: 0
; NumAgprs: 0
; TotalNumVgprs: 0
; ScratchSize: 0
; MemoryBound: 0
; FloatMode: 240
; IeeeMode: 1
; LDSByteSize: 0 bytes/workgroup (compile time only)
; SGPRBlocks: 0
; VGPRBlocks: 0
; NumSGPRsForWavesPerEU: 4
; NumVGPRsForWavesPerEU: 1
; AccumOffset: 4
; Occupancy: 8
; WaveLimiterHint : 0
; COMPUTE_PGM_RSRC2:SCRATCH_EN: 0
; COMPUTE_PGM_RSRC2:USER_SGPR: 6
; COMPUTE_PGM_RSRC2:TRAP_HANDLER: 0
; COMPUTE_PGM_RSRC2:TGID_X_EN: 1
; COMPUTE_PGM_RSRC2:TGID_Y_EN: 0
; COMPUTE_PGM_RSRC2:TGID_Z_EN: 0
; COMPUTE_PGM_RSRC2:TIDIG_COMP_CNT: 0
; COMPUTE_PGM_RSRC3_GFX90A:ACCUM_OFFSET: 0
; COMPUTE_PGM_RSRC3_GFX90A:TG_SPLIT: 0
	.section	.text._ZL18rocblas_dot_kernelIlLb0ELi512ELi8ELb0EDF16_PKPKDF16_fEviT5_lT_lS4_lS5_liPT6_PT4_,"axG",@progbits,_ZL18rocblas_dot_kernelIlLb0ELi512ELi8ELb0EDF16_PKPKDF16_fEviT5_lT_lS4_lS5_liPT6_PT4_,comdat
	.globl	_ZL18rocblas_dot_kernelIlLb0ELi512ELi8ELb0EDF16_PKPKDF16_fEviT5_lT_lS4_lS5_liPT6_PT4_ ; -- Begin function _ZL18rocblas_dot_kernelIlLb0ELi512ELi8ELb0EDF16_PKPKDF16_fEviT5_lT_lS4_lS5_liPT6_PT4_
	.p2align	8
	.type	_ZL18rocblas_dot_kernelIlLb0ELi512ELi8ELb0EDF16_PKPKDF16_fEviT5_lT_lS4_lS5_liPT6_PT4_,@function
_ZL18rocblas_dot_kernelIlLb0ELi512ELi8ELb0EDF16_PKPKDF16_fEviT5_lT_lS4_lS5_liPT6_PT4_: ; @_ZL18rocblas_dot_kernelIlLb0ELi512ELi8ELb0EDF16_PKPKDF16_fEviT5_lT_lS4_lS5_liPT6_PT4_
; %bb.0:
	s_mov_b32 s16, s7
	s_load_dword s20, s[4:5], 0x60
	s_load_dword s7, s[4:5], 0x0
	s_load_dwordx4 s[8:11], s[4:5], 0x50
	v_lshl_or_b32 v4, s6, 9, v0
	s_mov_b32 s17, 0
	v_mov_b32_e32 v6, 0
	s_waitcnt lgkmcnt(0)
	v_cmp_gt_i32_e32 vcc, s7, v4
	s_and_saveexec_b64 s[18:19], vcc
	s_cbranch_execz .LBB421_4
; %bb.1:
	s_load_dwordx2 s[22:23], s[4:5], 0x8
	s_load_dwordx4 s[12:15], s[4:5], 0x10
	s_load_dwordx2 s[24:25], s[4:5], 0x28
	s_load_dwordx4 s[0:3], s[4:5], 0x30
	s_lshl_b64 s[4:5], s[16:17], 3
	s_waitcnt lgkmcnt(0)
	s_add_u32 s22, s22, s4
	s_addc_u32 s23, s23, s5
	s_load_dwordx2 s[22:23], s[22:23], 0x0
	s_add_u32 s4, s24, s4
	s_addc_u32 s5, s25, s5
	s_load_dwordx2 s[24:25], s[4:5], 0x0
	v_ashrrev_i32_e32 v5, 31, v4
	v_mad_u64_u32 v[2:3], s[4:5], s14, v4, 0
	s_lshl_b32 s21, s20, 9
	v_mul_lo_u32 v6, s15, v4
	v_mul_lo_u32 v7, s14, v5
	s_lshl_b64 s[4:5], s[12:13], 1
	v_add3_u32 v3, v3, v7, v6
	s_waitcnt lgkmcnt(0)
	s_add_u32 s4, s22, s4
	v_lshlrev_b64 v[2:3], 1, v[2:3]
	s_addc_u32 s5, s23, s5
	s_ashr_i32 s22, s21, 31
	v_mov_b32_e32 v6, s5
	v_add_co_u32_e32 v2, vcc, s4, v2
	s_mul_i32 s4, s14, s22
	s_mul_hi_u32 s5, s14, s21
	s_add_i32 s4, s5, s4
	s_mul_i32 s5, s15, s21
	s_add_i32 s5, s4, s5
	s_mul_i32 s4, s14, s21
	v_add_u32_e32 v1, s21, v4
	v_addc_co_u32_e32 v3, vcc, v6, v3, vcc
	s_lshl_b64 s[4:5], s[4:5], 1
	v_mul_lo_u32 v6, s3, v4
	v_mul_lo_u32 v7, s2, v5
	v_mad_u64_u32 v[4:5], s[12:13], s2, v4, 0
	s_lshl_b64 s[0:1], s[0:1], 1
	v_add3_u32 v5, v5, v7, v6
	s_add_u32 s0, s24, s0
	v_lshlrev_b64 v[4:5], 1, v[4:5]
	s_addc_u32 s1, s25, s1
	v_mov_b32_e32 v6, s1
	v_add_co_u32_e32 v4, vcc, s0, v4
	s_mul_i32 s0, s2, s22
	s_mul_hi_u32 s1, s2, s21
	s_add_i32 s0, s1, s0
	s_mul_i32 s1, s3, s21
	s_add_i32 s1, s0, s1
	s_mul_i32 s0, s2, s21
	s_lshl_b64 s[12:13], s[0:1], 1
	v_addc_co_u32_e32 v5, vcc, v6, v5, vcc
	s_mov_b64 s[2:3], 0
	v_mov_b32_e32 v6, 0
	v_mov_b32_e32 v7, s5
	;; [unrolled: 1-line block ×3, first 2 shown]
	s_mov_b32 s5, s17
.LBB421_2:                              ; =>This Inner Loop Header: Depth=1
	global_load_ushort v9, v[4:5], off
	global_load_ushort v10, v[2:3], off
	v_add_co_u32_e64 v2, s[0:1], s4, v2
	v_addc_co_u32_e64 v3, s[0:1], v3, v7, s[0:1]
	s_add_i32 s13, s5, 1
	v_add_co_u32_e64 v4, s[0:1], s12, v4
	v_addc_co_u32_e64 v5, s[0:1], v5, v8, s[0:1]
	s_cmp_gt_u32 s5, 6
	v_cmp_le_i32_e32 vcc, s7, v1
	s_cselect_b64 s[0:1], -1, 0
	s_or_b64 s[0:1], s[0:1], vcc
	s_and_b64 s[0:1], exec, s[0:1]
	v_add_u32_e32 v1, s21, v1
	s_mov_b32 s5, s13
	s_or_b64 s[2:3], s[0:1], s[2:3]
	s_waitcnt vmcnt(0)
	v_fma_mix_f32 v6, v9, v10, v6 op_sel_hi:[1,1,0]
	s_andn2_b64 exec, exec, s[2:3]
	s_cbranch_execnz .LBB421_2
; %bb.3:
	s_or_b64 exec, exec, s[2:3]
.LBB421_4:
	s_or_b64 exec, exec, s[18:19]
	v_and_b32_e32 v2, 63, v0
	v_cmp_gt_u32_e32 vcc, 64, v0
	v_lshlrev_b32_e32 v1, 2, v2
	s_and_saveexec_b64 s[0:1], vcc
	s_cbranch_execz .LBB421_6
; %bb.5:
	v_mov_b32_e32 v3, 0
	ds_write_b32 v1, v3
.LBB421_6:
	s_or_b64 exec, exec, s[0:1]
	v_mbcnt_lo_u32_b32 v3, -1, 0
	v_mbcnt_hi_u32_b32 v5, -1, v3
	v_and_b32_e32 v7, 63, v5
	v_cmp_gt_u32_e64 s[0:1], 32, v7
	v_cndmask_b32_e64 v3, 0, 1, s[0:1]
	v_lshlrev_b32_e32 v3, 5, v3
	v_add_lshl_u32 v3, v3, v5, 2
	ds_bpermute_b32 v3, v3, v6
	v_cmp_gt_u32_e64 s[0:1], 48, v7
	v_cndmask_b32_e64 v4, 0, 1, s[0:1]
	v_lshlrev_b32_e32 v4, 4, v4
	v_add_lshl_u32 v4, v4, v5, 2
	s_waitcnt lgkmcnt(0)
	v_add_f32_e32 v3, v6, v3
	ds_bpermute_b32 v4, v4, v3
	v_cmp_gt_u32_e64 s[0:1], 56, v7
	v_cndmask_b32_e64 v6, 0, 1, s[0:1]
	v_lshlrev_b32_e32 v6, 3, v6
	v_cmp_gt_u32_e64 s[0:1], 60, v7
	s_waitcnt lgkmcnt(0)
	v_add_f32_e32 v3, v3, v4
	v_add_lshl_u32 v4, v6, v5, 2
	ds_bpermute_b32 v4, v4, v3
	v_cndmask_b32_e64 v6, 0, 1, s[0:1]
	v_lshlrev_b32_e32 v6, 2, v6
	v_cmp_gt_u32_e64 s[0:1], 62, v7
	v_cndmask_b32_e64 v8, 0, 1, s[0:1]
	s_waitcnt lgkmcnt(0)
	v_add_f32_e32 v4, v3, v4
	v_add_lshl_u32 v3, v6, v5, 2
	ds_bpermute_b32 v6, v3, v4
	v_lshlrev_b32_e32 v8, 1, v8
	v_cmp_ne_u32_e64 s[0:1], 63, v7
	s_waitcnt lgkmcnt(0)
	s_barrier
	v_add_f32_e32 v6, v4, v6
	v_add_lshl_u32 v4, v8, v5, 2
	ds_bpermute_b32 v8, v4, v6
	v_addc_co_u32_e64 v5, s[0:1], 0, v5, s[0:1]
	v_lshlrev_b32_e32 v5, 2, v5
	v_cmp_eq_u32_e64 s[0:1], 0, v2
	s_waitcnt lgkmcnt(0)
	v_add_f32_e32 v6, v6, v8
	ds_bpermute_b32 v7, v5, v6
	s_waitcnt lgkmcnt(0)
	s_and_saveexec_b64 s[2:3], s[0:1]
	s_cbranch_execz .LBB421_8
; %bb.7:
	v_add_f32_e32 v2, v6, v7
	v_lshrrev_b32_e32 v6, 4, v0
	v_and_b32_e32 v6, 28, v6
	ds_write_b32 v6, v2
.LBB421_8:
	s_or_b64 exec, exec, s[2:3]
	v_cmp_gt_u32_e64 s[0:1], 8, v0
	v_mov_b32_e32 v2, 0
	s_waitcnt lgkmcnt(0)
	s_barrier
	s_and_saveexec_b64 s[2:3], s[0:1]
	s_cbranch_execnz .LBB421_12
; %bb.9:
	s_or_b64 exec, exec, s[2:3]
	s_and_saveexec_b64 s[0:1], vcc
	s_cbranch_execnz .LBB421_13
.LBB421_10:
	s_or_b64 exec, exec, s[0:1]
	v_cmp_eq_u32_e32 vcc, 0, v0
	s_and_saveexec_b64 s[0:1], vcc
	s_cbranch_execnz .LBB421_14
.LBB421_11:
	s_endpgm
.LBB421_12:
	ds_read_b32 v2, v1
	s_or_b64 exec, exec, s[2:3]
	s_and_saveexec_b64 s[0:1], vcc
	s_cbranch_execz .LBB421_10
.LBB421_13:
	s_waitcnt lgkmcnt(0)
	ds_bpermute_b32 v1, v3, v2
	s_waitcnt lgkmcnt(0)
	v_add_f32_e32 v1, v2, v1
	ds_bpermute_b32 v2, v4, v1
	s_waitcnt lgkmcnt(0)
	v_add_f32_e32 v1, v1, v2
	;; [unrolled: 3-line block ×3, first 2 shown]
	s_or_b64 exec, exec, s[0:1]
	v_cmp_eq_u32_e32 vcc, 0, v0
	s_and_saveexec_b64 s[0:1], vcc
	s_cbranch_execz .LBB421_11
.LBB421_14:
	s_cmp_lg_u32 s20, 1
	s_mov_b64 s[0:1], -1
	s_cbranch_scc0 .LBB421_16
; %bb.15:
	s_mul_hi_u32 s1, s20, s16
	s_mul_i32 s0, s20, s16
	s_lshl_b64 s[0:1], s[0:1], 2
	s_mov_b32 s7, 0
	s_add_u32 s2, s8, s0
	s_addc_u32 s3, s9, s1
	s_lshl_b64 s[0:1], s[6:7], 2
	s_add_u32 s0, s2, s0
	s_addc_u32 s1, s3, s1
	v_mov_b32_e32 v0, 0
	s_waitcnt lgkmcnt(0)
	global_store_dword v0, v2, s[0:1]
	s_mov_b64 s[0:1], 0
.LBB421_16:
	s_andn2_b64 vcc, exec, s[0:1]
	s_cbranch_vccnz .LBB421_11
; %bb.17:
	s_waitcnt lgkmcnt(0)
	v_cvt_f16_f32_e32 v0, v2
	s_lshl_b64 s[0:1], s[16:17], 1
	s_add_u32 s0, s10, s0
	s_addc_u32 s1, s11, s1
	v_mov_b32_e32 v1, 0
	global_store_short v1, v0, s[0:1]
	s_endpgm
	.section	.rodata,"a",@progbits
	.p2align	6, 0x0
	.amdhsa_kernel _ZL18rocblas_dot_kernelIlLb0ELi512ELi8ELb0EDF16_PKPKDF16_fEviT5_lT_lS4_lS5_liPT6_PT4_
		.amdhsa_group_segment_fixed_size 256
		.amdhsa_private_segment_fixed_size 0
		.amdhsa_kernarg_size 352
		.amdhsa_user_sgpr_count 6
		.amdhsa_user_sgpr_private_segment_buffer 1
		.amdhsa_user_sgpr_dispatch_ptr 0
		.amdhsa_user_sgpr_queue_ptr 0
		.amdhsa_user_sgpr_kernarg_segment_ptr 1
		.amdhsa_user_sgpr_dispatch_id 0
		.amdhsa_user_sgpr_flat_scratch_init 0
		.amdhsa_user_sgpr_kernarg_preload_length 0
		.amdhsa_user_sgpr_kernarg_preload_offset 0
		.amdhsa_user_sgpr_private_segment_size 0
		.amdhsa_uses_dynamic_stack 0
		.amdhsa_system_sgpr_private_segment_wavefront_offset 0
		.amdhsa_system_sgpr_workgroup_id_x 1
		.amdhsa_system_sgpr_workgroup_id_y 0
		.amdhsa_system_sgpr_workgroup_id_z 1
		.amdhsa_system_sgpr_workgroup_info 0
		.amdhsa_system_vgpr_workitem_id 0
		.amdhsa_next_free_vgpr 11
		.amdhsa_next_free_sgpr 26
		.amdhsa_accum_offset 12
		.amdhsa_reserve_vcc 1
		.amdhsa_reserve_flat_scratch 0
		.amdhsa_float_round_mode_32 0
		.amdhsa_float_round_mode_16_64 0
		.amdhsa_float_denorm_mode_32 3
		.amdhsa_float_denorm_mode_16_64 3
		.amdhsa_dx10_clamp 1
		.amdhsa_ieee_mode 1
		.amdhsa_fp16_overflow 0
		.amdhsa_tg_split 0
		.amdhsa_exception_fp_ieee_invalid_op 0
		.amdhsa_exception_fp_denorm_src 0
		.amdhsa_exception_fp_ieee_div_zero 0
		.amdhsa_exception_fp_ieee_overflow 0
		.amdhsa_exception_fp_ieee_underflow 0
		.amdhsa_exception_fp_ieee_inexact 0
		.amdhsa_exception_int_div_zero 0
	.end_amdhsa_kernel
	.section	.text._ZL18rocblas_dot_kernelIlLb0ELi512ELi8ELb0EDF16_PKPKDF16_fEviT5_lT_lS4_lS5_liPT6_PT4_,"axG",@progbits,_ZL18rocblas_dot_kernelIlLb0ELi512ELi8ELb0EDF16_PKPKDF16_fEviT5_lT_lS4_lS5_liPT6_PT4_,comdat
.Lfunc_end421:
	.size	_ZL18rocblas_dot_kernelIlLb0ELi512ELi8ELb0EDF16_PKPKDF16_fEviT5_lT_lS4_lS5_liPT6_PT4_, .Lfunc_end421-_ZL18rocblas_dot_kernelIlLb0ELi512ELi8ELb0EDF16_PKPKDF16_fEviT5_lT_lS4_lS5_liPT6_PT4_
                                        ; -- End function
	.section	.AMDGPU.csdata,"",@progbits
; Kernel info:
; codeLenInByte = 1080
; NumSgprs: 30
; NumVgprs: 11
; NumAgprs: 0
; TotalNumVgprs: 11
; ScratchSize: 0
; MemoryBound: 0
; FloatMode: 240
; IeeeMode: 1
; LDSByteSize: 256 bytes/workgroup (compile time only)
; SGPRBlocks: 3
; VGPRBlocks: 1
; NumSGPRsForWavesPerEU: 30
; NumVGPRsForWavesPerEU: 11
; AccumOffset: 12
; Occupancy: 8
; WaveLimiterHint : 0
; COMPUTE_PGM_RSRC2:SCRATCH_EN: 0
; COMPUTE_PGM_RSRC2:USER_SGPR: 6
; COMPUTE_PGM_RSRC2:TRAP_HANDLER: 0
; COMPUTE_PGM_RSRC2:TGID_X_EN: 1
; COMPUTE_PGM_RSRC2:TGID_Y_EN: 0
; COMPUTE_PGM_RSRC2:TGID_Z_EN: 1
; COMPUTE_PGM_RSRC2:TIDIG_COMP_CNT: 0
; COMPUTE_PGM_RSRC3_GFX90A:ACCUM_OFFSET: 2
; COMPUTE_PGM_RSRC3_GFX90A:TG_SPLIT: 0
	.section	.text._ZL24rocblas_dot_kernel_magsqIlLb0ELi512ELi8ELb0EDF16_PKPKDF16_fEviT5_lT_liPT6_PT4_,"axG",@progbits,_ZL24rocblas_dot_kernel_magsqIlLb0ELi512ELi8ELb0EDF16_PKPKDF16_fEviT5_lT_liPT6_PT4_,comdat
	.globl	_ZL24rocblas_dot_kernel_magsqIlLb0ELi512ELi8ELb0EDF16_PKPKDF16_fEviT5_lT_liPT6_PT4_ ; -- Begin function _ZL24rocblas_dot_kernel_magsqIlLb0ELi512ELi8ELb0EDF16_PKPKDF16_fEviT5_lT_liPT6_PT4_
	.p2align	8
	.type	_ZL24rocblas_dot_kernel_magsqIlLb0ELi512ELi8ELb0EDF16_PKPKDF16_fEviT5_lT_liPT6_PT4_,@function
_ZL24rocblas_dot_kernel_magsqIlLb0ELi512ELi8ELb0EDF16_PKPKDF16_fEviT5_lT_liPT6_PT4_: ; @_ZL24rocblas_dot_kernel_magsqIlLb0ELi512ELi8ELb0EDF16_PKPKDF16_fEviT5_lT_liPT6_PT4_
; %bb.0:
	s_mov_b32 s2, s7
	s_load_dword s7, s[4:5], 0x0
	s_load_dwordx4 s[8:11], s[4:5], 0x30
	s_load_dword s16, s[4:5], 0x40
	v_lshl_or_b32 v2, s6, 9, v0
	s_mov_b32 s3, 0
	s_waitcnt lgkmcnt(0)
	v_cmp_gt_i32_e32 vcc, s7, v2
	v_mov_b32_e32 v1, 0
	s_and_saveexec_b64 s[12:13], vcc
	s_cbranch_execz .LBB422_4
; %bb.1:
	s_load_dwordx2 s[0:1], s[4:5], 0x8
	s_load_dwordx4 s[20:23], s[4:5], 0x10
	s_lshl_b64 s[4:5], s[2:3], 3
	v_ashrrev_i32_e32 v1, 31, v2
	s_waitcnt lgkmcnt(0)
	s_add_u32 s0, s0, s4
	s_addc_u32 s1, s1, s5
	s_load_dwordx2 s[0:1], s[0:1], 0x0
	s_lshl_b32 s17, s16, 9
	v_add_u32_e32 v4, s17, v2
	v_mul_lo_u32 v5, s23, v2
	v_mul_lo_u32 v1, s22, v1
	v_mad_u64_u32 v[2:3], s[4:5], s22, v2, 0
	v_add3_u32 v3, v3, v1, v5
	s_lshl_b64 s[4:5], s[20:21], 1
	v_lshlrev_b64 v[2:3], 1, v[2:3]
	s_waitcnt lgkmcnt(0)
	s_add_u32 s0, s0, s4
	s_addc_u32 s1, s1, s5
	v_add_co_u32_e32 v2, vcc, s0, v2
	s_ashr_i32 s0, s17, 31
	v_mov_b32_e32 v1, s1
	s_mul_i32 s0, s22, s0
	s_mul_hi_u32 s1, s22, s17
	s_add_i32 s0, s1, s0
	s_mul_i32 s1, s23, s17
	s_add_i32 s1, s0, s1
	s_mul_i32 s0, s22, s17
	s_lshl_b64 s[14:15], s[0:1], 1
	v_addc_co_u32_e32 v3, vcc, v1, v3, vcc
	s_mov_b64 s[4:5], 0
	v_mov_b32_e32 v1, 0
	v_mov_b32_e32 v5, s15
	s_mov_b32 s15, s3
.LBB422_2:                              ; =>This Inner Loop Header: Depth=1
	global_load_ushort v6, v[2:3], off
	s_add_i32 s18, s15, 1
	v_add_co_u32_e64 v2, s[0:1], s14, v2
	v_addc_co_u32_e64 v3, s[0:1], v3, v5, s[0:1]
	s_cmp_gt_u32 s15, 6
	v_cmp_le_i32_e32 vcc, s7, v4
	s_cselect_b64 s[0:1], -1, 0
	s_or_b64 s[0:1], s[0:1], vcc
	s_and_b64 s[0:1], exec, s[0:1]
	v_add_u32_e32 v4, s17, v4
	s_mov_b32 s15, s18
	s_or_b64 s[4:5], s[0:1], s[4:5]
	s_waitcnt vmcnt(0)
	v_fma_mix_f32 v1, v6, v6, v1 op_sel_hi:[1,1,0]
	s_andn2_b64 exec, exec, s[4:5]
	s_cbranch_execnz .LBB422_2
; %bb.3:
	s_or_b64 exec, exec, s[4:5]
.LBB422_4:
	s_or_b64 exec, exec, s[12:13]
	v_and_b32_e32 v3, 63, v0
	v_cmp_gt_u32_e32 vcc, 64, v0
	v_lshlrev_b32_e32 v2, 2, v3
	s_and_saveexec_b64 s[0:1], vcc
	s_cbranch_execz .LBB422_6
; %bb.5:
	v_mov_b32_e32 v4, 0
	ds_write_b32 v2, v4
.LBB422_6:
	s_or_b64 exec, exec, s[0:1]
	v_mbcnt_lo_u32_b32 v4, -1, 0
	v_mbcnt_hi_u32_b32 v6, -1, v4
	v_and_b32_e32 v7, 63, v6
	v_cmp_gt_u32_e64 s[0:1], 32, v7
	v_cndmask_b32_e64 v4, 0, 1, s[0:1]
	v_lshlrev_b32_e32 v4, 5, v4
	v_add_lshl_u32 v4, v4, v6, 2
	ds_bpermute_b32 v4, v4, v1
	v_cmp_gt_u32_e64 s[0:1], 48, v7
	v_cndmask_b32_e64 v5, 0, 1, s[0:1]
	v_lshlrev_b32_e32 v5, 4, v5
	v_cmp_gt_u32_e64 s[0:1], 56, v7
	s_waitcnt lgkmcnt(0)
	v_add_f32_e32 v1, v1, v4
	v_add_lshl_u32 v4, v5, v6, 2
	ds_bpermute_b32 v4, v4, v1
	v_cndmask_b32_e64 v5, 0, 1, s[0:1]
	v_lshlrev_b32_e32 v5, 3, v5
	v_cmp_gt_u32_e64 s[0:1], 60, v7
	s_waitcnt lgkmcnt(0)
	v_add_f32_e32 v1, v1, v4
	v_add_lshl_u32 v4, v5, v6, 2
	ds_bpermute_b32 v4, v4, v1
	v_cndmask_b32_e64 v5, 0, 1, s[0:1]
	v_lshlrev_b32_e32 v5, 2, v5
	v_cmp_gt_u32_e64 s[0:1], 62, v7
	v_cndmask_b32_e64 v8, 0, 1, s[0:1]
	s_waitcnt lgkmcnt(0)
	v_add_f32_e32 v1, v1, v4
	v_add_lshl_u32 v4, v5, v6, 2
	ds_bpermute_b32 v5, v4, v1
	v_lshlrev_b32_e32 v8, 1, v8
	v_cmp_ne_u32_e64 s[0:1], 63, v7
	s_barrier
	s_waitcnt lgkmcnt(0)
	v_add_f32_e32 v1, v1, v5
	v_add_lshl_u32 v5, v8, v6, 2
	ds_bpermute_b32 v8, v5, v1
	v_addc_co_u32_e64 v6, s[0:1], 0, v6, s[0:1]
	v_lshlrev_b32_e32 v6, 2, v6
	v_cmp_eq_u32_e64 s[0:1], 0, v3
	s_waitcnt lgkmcnt(0)
	v_add_f32_e32 v1, v1, v8
	ds_bpermute_b32 v7, v6, v1
	s_and_saveexec_b64 s[4:5], s[0:1]
	s_cbranch_execz .LBB422_8
; %bb.7:
	v_lshrrev_b32_e32 v3, 4, v0
	s_waitcnt lgkmcnt(0)
	v_add_f32_e32 v1, v1, v7
	v_and_b32_e32 v3, 28, v3
	ds_write_b32 v3, v1
.LBB422_8:
	s_or_b64 exec, exec, s[4:5]
	v_cmp_gt_u32_e64 s[0:1], 8, v0
	v_mov_b32_e32 v1, 0
	s_waitcnt lgkmcnt(0)
	s_barrier
	s_and_saveexec_b64 s[4:5], s[0:1]
	s_cbranch_execnz .LBB422_12
; %bb.9:
	s_or_b64 exec, exec, s[4:5]
	s_and_saveexec_b64 s[0:1], vcc
	s_cbranch_execnz .LBB422_13
.LBB422_10:
	s_or_b64 exec, exec, s[0:1]
	v_cmp_eq_u32_e32 vcc, 0, v0
	s_and_saveexec_b64 s[0:1], vcc
	s_cbranch_execnz .LBB422_14
.LBB422_11:
	s_endpgm
.LBB422_12:
	ds_read_b32 v1, v2
	s_or_b64 exec, exec, s[4:5]
	s_and_saveexec_b64 s[0:1], vcc
	s_cbranch_execz .LBB422_10
.LBB422_13:
	s_waitcnt lgkmcnt(0)
	ds_bpermute_b32 v2, v4, v1
	s_waitcnt lgkmcnt(0)
	v_add_f32_e32 v1, v1, v2
	ds_bpermute_b32 v2, v5, v1
	s_waitcnt lgkmcnt(0)
	v_add_f32_e32 v1, v1, v2
	ds_bpermute_b32 v2, v6, v1
	s_waitcnt lgkmcnt(0)
	v_add_f32_e32 v1, v1, v2
	s_or_b64 exec, exec, s[0:1]
	v_cmp_eq_u32_e32 vcc, 0, v0
	s_and_saveexec_b64 s[0:1], vcc
	s_cbranch_execz .LBB422_11
.LBB422_14:
	s_cmp_lg_u32 s16, 1
	s_mov_b64 s[0:1], -1
	s_cbranch_scc0 .LBB422_16
; %bb.15:
	s_mul_hi_u32 s1, s16, s2
	s_mul_i32 s0, s16, s2
	s_lshl_b64 s[0:1], s[0:1], 2
	s_mov_b32 s7, 0
	s_add_u32 s4, s8, s0
	s_addc_u32 s5, s9, s1
	s_lshl_b64 s[0:1], s[6:7], 2
	s_add_u32 s0, s4, s0
	s_addc_u32 s1, s5, s1
	v_mov_b32_e32 v0, 0
	s_waitcnt lgkmcnt(0)
	global_store_dword v0, v1, s[0:1]
	s_mov_b64 s[0:1], 0
.LBB422_16:
	s_andn2_b64 vcc, exec, s[0:1]
	s_cbranch_vccnz .LBB422_11
; %bb.17:
	s_waitcnt lgkmcnt(0)
	v_cvt_f16_f32_e32 v0, v1
	s_lshl_b64 s[0:1], s[2:3], 1
	s_add_u32 s0, s10, s0
	s_addc_u32 s1, s11, s1
	v_mov_b32_e32 v1, 0
	global_store_short v1, v0, s[0:1]
	s_endpgm
	.section	.rodata,"a",@progbits
	.p2align	6, 0x0
	.amdhsa_kernel _ZL24rocblas_dot_kernel_magsqIlLb0ELi512ELi8ELb0EDF16_PKPKDF16_fEviT5_lT_liPT6_PT4_
		.amdhsa_group_segment_fixed_size 256
		.amdhsa_private_segment_fixed_size 0
		.amdhsa_kernarg_size 320
		.amdhsa_user_sgpr_count 6
		.amdhsa_user_sgpr_private_segment_buffer 1
		.amdhsa_user_sgpr_dispatch_ptr 0
		.amdhsa_user_sgpr_queue_ptr 0
		.amdhsa_user_sgpr_kernarg_segment_ptr 1
		.amdhsa_user_sgpr_dispatch_id 0
		.amdhsa_user_sgpr_flat_scratch_init 0
		.amdhsa_user_sgpr_kernarg_preload_length 0
		.amdhsa_user_sgpr_kernarg_preload_offset 0
		.amdhsa_user_sgpr_private_segment_size 0
		.amdhsa_uses_dynamic_stack 0
		.amdhsa_system_sgpr_private_segment_wavefront_offset 0
		.amdhsa_system_sgpr_workgroup_id_x 1
		.amdhsa_system_sgpr_workgroup_id_y 0
		.amdhsa_system_sgpr_workgroup_id_z 1
		.amdhsa_system_sgpr_workgroup_info 0
		.amdhsa_system_vgpr_workitem_id 0
		.amdhsa_next_free_vgpr 9
		.amdhsa_next_free_sgpr 24
		.amdhsa_accum_offset 12
		.amdhsa_reserve_vcc 1
		.amdhsa_reserve_flat_scratch 0
		.amdhsa_float_round_mode_32 0
		.amdhsa_float_round_mode_16_64 0
		.amdhsa_float_denorm_mode_32 3
		.amdhsa_float_denorm_mode_16_64 3
		.amdhsa_dx10_clamp 1
		.amdhsa_ieee_mode 1
		.amdhsa_fp16_overflow 0
		.amdhsa_tg_split 0
		.amdhsa_exception_fp_ieee_invalid_op 0
		.amdhsa_exception_fp_denorm_src 0
		.amdhsa_exception_fp_ieee_div_zero 0
		.amdhsa_exception_fp_ieee_overflow 0
		.amdhsa_exception_fp_ieee_underflow 0
		.amdhsa_exception_fp_ieee_inexact 0
		.amdhsa_exception_int_div_zero 0
	.end_amdhsa_kernel
	.section	.text._ZL24rocblas_dot_kernel_magsqIlLb0ELi512ELi8ELb0EDF16_PKPKDF16_fEviT5_lT_liPT6_PT4_,"axG",@progbits,_ZL24rocblas_dot_kernel_magsqIlLb0ELi512ELi8ELb0EDF16_PKPKDF16_fEviT5_lT_liPT6_PT4_,comdat
.Lfunc_end422:
	.size	_ZL24rocblas_dot_kernel_magsqIlLb0ELi512ELi8ELb0EDF16_PKPKDF16_fEviT5_lT_liPT6_PT4_, .Lfunc_end422-_ZL24rocblas_dot_kernel_magsqIlLb0ELi512ELi8ELb0EDF16_PKPKDF16_fEviT5_lT_liPT6_PT4_
                                        ; -- End function
	.section	.AMDGPU.csdata,"",@progbits
; Kernel info:
; codeLenInByte = 928
; NumSgprs: 28
; NumVgprs: 9
; NumAgprs: 0
; TotalNumVgprs: 9
; ScratchSize: 0
; MemoryBound: 0
; FloatMode: 240
; IeeeMode: 1
; LDSByteSize: 256 bytes/workgroup (compile time only)
; SGPRBlocks: 3
; VGPRBlocks: 1
; NumSGPRsForWavesPerEU: 28
; NumVGPRsForWavesPerEU: 9
; AccumOffset: 12
; Occupancy: 8
; WaveLimiterHint : 0
; COMPUTE_PGM_RSRC2:SCRATCH_EN: 0
; COMPUTE_PGM_RSRC2:USER_SGPR: 6
; COMPUTE_PGM_RSRC2:TRAP_HANDLER: 0
; COMPUTE_PGM_RSRC2:TGID_X_EN: 1
; COMPUTE_PGM_RSRC2:TGID_Y_EN: 0
; COMPUTE_PGM_RSRC2:TGID_Z_EN: 1
; COMPUTE_PGM_RSRC2:TIDIG_COMP_CNT: 0
; COMPUTE_PGM_RSRC3_GFX90A:ACCUM_OFFSET: 2
; COMPUTE_PGM_RSRC3_GFX90A:TG_SPLIT: 0
	.section	.text._ZL28rocblas_dot_batched_4_kernelIiLi32ELi4ELb0EddPKfEviT5_lT_lS2_lS3_liPT4_,"axG",@progbits,_ZL28rocblas_dot_batched_4_kernelIiLi32ELi4ELb0EddPKfEviT5_lT_lS2_lS3_liPT4_,comdat
	.globl	_ZL28rocblas_dot_batched_4_kernelIiLi32ELi4ELb0EddPKfEviT5_lT_lS2_lS3_liPT4_ ; -- Begin function _ZL28rocblas_dot_batched_4_kernelIiLi32ELi4ELb0EddPKfEviT5_lT_lS2_lS3_liPT4_
	.p2align	8
	.type	_ZL28rocblas_dot_batched_4_kernelIiLi32ELi4ELb0EddPKfEviT5_lT_lS2_lS3_liPT4_,@function
_ZL28rocblas_dot_batched_4_kernelIiLi32ELi4ELb0EddPKfEviT5_lT_lS2_lS3_liPT4_: ; @_ZL28rocblas_dot_batched_4_kernelIiLi32ELi4ELb0EddPKfEviT5_lT_lS2_lS3_liPT4_
; %bb.0:
	s_load_dword s0, s[4:5], 0x48
	v_bfe_u32 v1, v0, 10, 10
	v_lshl_add_u32 v2, s6, 2, v1
	s_waitcnt lgkmcnt(0)
	v_cmp_gt_u32_e32 vcc, s0, v2
	s_and_saveexec_b64 s[0:1], vcc
	s_cbranch_execz .LBB423_7
; %bb.1:
	s_load_dword s10, s[4:5], 0x0
	s_load_dwordx2 s[0:1], s[4:5], 0x50
	v_and_b32_e32 v8, 0x3ff, v0
	v_mov_b32_e32 v3, 0
	v_pk_mov_b32 v[0:1], 0, 0
	s_waitcnt lgkmcnt(0)
	v_cmp_gt_i32_e32 vcc, s10, v8
	s_and_saveexec_b64 s[2:3], vcc
	s_cbranch_execz .LBB423_5
; %bb.2:
	s_load_dwordx4 s[12:15], s[4:5], 0x8
	s_load_dword s6, s[4:5], 0x18
	s_load_dword s8, s[4:5], 0x38
	s_load_dwordx4 s[16:19], s[4:5], 0x20
	s_load_dwordx2 s[20:21], s[4:5], 0x30
	s_load_dwordx2 s[22:23], s[4:5], 0x40
	s_waitcnt lgkmcnt(0)
	v_mad_i64_i32 v[0:1], s[4:5], s6, v8, 0
	v_mad_u64_u32 v[4:5], s[4:5], s16, v2, 0
	v_mov_b32_e32 v6, v5
	v_mad_u64_u32 v[6:7], s[4:5], s17, v2, v[6:7]
	v_mov_b32_e32 v5, v6
	s_ashr_i32 s7, s6, 31
	s_ashr_i32 s9, s8, 31
	v_lshlrev_b64 v[0:1], 2, v[0:1]
	v_lshlrev_b64 v[4:5], 2, v[4:5]
	s_lshl_b64 s[4:5], s[14:15], 2
	v_add_co_u32_e32 v0, vcc, v0, v4
	s_add_u32 s4, s12, s4
	v_addc_co_u32_e32 v1, vcc, v1, v5, vcc
	s_addc_u32 s5, s13, s5
	v_mov_b32_e32 v5, s5
	v_add_co_u32_e32 v4, vcc, s4, v0
	s_lshl_b64 s[4:5], s[6:7], 7
	v_mad_u64_u32 v[6:7], s[6:7], s22, v2, 0
	v_mov_b32_e32 v10, v7
	v_mad_u64_u32 v[10:11], s[6:7], s23, v2, v[10:11]
	v_addc_co_u32_e32 v5, vcc, v5, v1, vcc
	v_mad_i64_i32 v[0:1], s[6:7], s8, v8, 0
	v_mov_b32_e32 v7, v10
	v_lshlrev_b64 v[0:1], 2, v[0:1]
	v_lshlrev_b64 v[6:7], 2, v[6:7]
	s_lshl_b64 s[6:7], s[20:21], 2
	v_add_co_u32_e32 v0, vcc, v0, v6
	s_add_u32 s6, s18, s6
	v_addc_co_u32_e32 v1, vcc, v1, v7, vcc
	s_addc_u32 s7, s19, s7
	v_mov_b32_e32 v7, s7
	v_add_co_u32_e32 v6, vcc, s6, v0
	s_lshl_b64 s[8:9], s[8:9], 7
	v_addc_co_u32_e32 v7, vcc, v7, v1, vcc
	s_mov_b64 s[6:7], 0
	v_pk_mov_b32 v[0:1], 0, 0
	v_mov_b32_e32 v9, s5
	v_mov_b32_e32 v10, s9
	;; [unrolled: 1-line block ×3, first 2 shown]
.LBB423_3:                              ; =>This Inner Loop Header: Depth=1
	global_load_dword v12, v[4:5], off
	global_load_dword v14, v[6:7], off
	v_add_co_u32_e32 v4, vcc, s4, v4
	v_addc_co_u32_e32 v5, vcc, v5, v9, vcc
	v_add_co_u32_e32 v6, vcc, s8, v6
	v_add_u32_e32 v11, 32, v11
	v_addc_co_u32_e32 v7, vcc, v7, v10, vcc
	v_cmp_le_i32_e32 vcc, s10, v11
	s_or_b64 s[6:7], vcc, s[6:7]
	s_waitcnt vmcnt(1)
	v_cvt_f64_f32_e32 v[12:13], v12
	s_waitcnt vmcnt(0)
	v_cvt_f64_f32_e32 v[14:15], v14
	v_fmac_f64_e32 v[0:1], v[12:13], v[14:15]
	s_andn2_b64 exec, exec, s[6:7]
	s_cbranch_execnz .LBB423_3
; %bb.4:
	s_or_b64 exec, exec, s[6:7]
.LBB423_5:
	s_or_b64 exec, exec, s[2:3]
	v_mbcnt_lo_u32_b32 v4, -1, 0
	v_mbcnt_hi_u32_b32 v6, -1, v4
	v_and_b32_e32 v7, 63, v6
	v_cmp_gt_u32_e32 vcc, 48, v7
	v_cndmask_b32_e64 v4, 0, 1, vcc
	v_lshlrev_b32_e32 v4, 4, v4
	v_add_lshl_u32 v5, v4, v6, 2
	ds_bpermute_b32 v4, v5, v0
	ds_bpermute_b32 v5, v5, v1
	v_cmp_gt_u32_e32 vcc, 56, v7
	v_cndmask_b32_e64 v9, 0, 1, vcc
	v_cmp_gt_u32_e32 vcc, 60, v7
	s_waitcnt lgkmcnt(0)
	v_add_f64 v[0:1], v[0:1], v[4:5]
	v_lshlrev_b32_e32 v4, 3, v9
	v_add_lshl_u32 v5, v4, v6, 2
	ds_bpermute_b32 v4, v5, v0
	ds_bpermute_b32 v5, v5, v1
	s_barrier
	s_waitcnt lgkmcnt(0)
	v_add_f64 v[0:1], v[0:1], v[4:5]
	v_cndmask_b32_e64 v4, 0, 1, vcc
	v_lshlrev_b32_e32 v4, 2, v4
	v_add_lshl_u32 v5, v4, v6, 2
	ds_bpermute_b32 v4, v5, v0
	ds_bpermute_b32 v5, v5, v1
	v_cmp_gt_u32_e32 vcc, 62, v7
	s_waitcnt lgkmcnt(0)
	v_add_f64 v[0:1], v[0:1], v[4:5]
	v_cndmask_b32_e64 v4, 0, 1, vcc
	v_lshlrev_b32_e32 v4, 1, v4
	v_add_lshl_u32 v5, v4, v6, 2
	ds_bpermute_b32 v4, v5, v0
	ds_bpermute_b32 v5, v5, v1
	v_cmp_ne_u32_e32 vcc, 63, v7
	s_waitcnt lgkmcnt(0)
	v_add_f64 v[0:1], v[0:1], v[4:5]
	v_addc_co_u32_e32 v4, vcc, 0, v6, vcc
	v_lshlrev_b32_e32 v5, 2, v4
	ds_bpermute_b32 v4, v5, v0
	ds_bpermute_b32 v5, v5, v1
	v_cmp_eq_u32_e32 vcc, 0, v8
	s_and_b64 exec, exec, vcc
	s_cbranch_execz .LBB423_7
; %bb.6:
	v_lshlrev_b64 v[2:3], 3, v[2:3]
	v_mov_b32_e32 v6, s1
	v_add_co_u32_e32 v2, vcc, s0, v2
	v_addc_co_u32_e32 v3, vcc, v6, v3, vcc
	s_waitcnt lgkmcnt(0)
	v_add_f64 v[0:1], v[0:1], v[4:5]
	global_store_dwordx2 v[2:3], v[0:1], off
.LBB423_7:
	s_endpgm
	.section	.rodata,"a",@progbits
	.p2align	6, 0x0
	.amdhsa_kernel _ZL28rocblas_dot_batched_4_kernelIiLi32ELi4ELb0EddPKfEviT5_lT_lS2_lS3_liPT4_
		.amdhsa_group_segment_fixed_size 0
		.amdhsa_private_segment_fixed_size 0
		.amdhsa_kernarg_size 88
		.amdhsa_user_sgpr_count 6
		.amdhsa_user_sgpr_private_segment_buffer 1
		.amdhsa_user_sgpr_dispatch_ptr 0
		.amdhsa_user_sgpr_queue_ptr 0
		.amdhsa_user_sgpr_kernarg_segment_ptr 1
		.amdhsa_user_sgpr_dispatch_id 0
		.amdhsa_user_sgpr_flat_scratch_init 0
		.amdhsa_user_sgpr_kernarg_preload_length 0
		.amdhsa_user_sgpr_kernarg_preload_offset 0
		.amdhsa_user_sgpr_private_segment_size 0
		.amdhsa_uses_dynamic_stack 0
		.amdhsa_system_sgpr_private_segment_wavefront_offset 0
		.amdhsa_system_sgpr_workgroup_id_x 1
		.amdhsa_system_sgpr_workgroup_id_y 0
		.amdhsa_system_sgpr_workgroup_id_z 0
		.amdhsa_system_sgpr_workgroup_info 0
		.amdhsa_system_vgpr_workitem_id 1
		.amdhsa_next_free_vgpr 16
		.amdhsa_next_free_sgpr 24
		.amdhsa_accum_offset 16
		.amdhsa_reserve_vcc 1
		.amdhsa_reserve_flat_scratch 0
		.amdhsa_float_round_mode_32 0
		.amdhsa_float_round_mode_16_64 0
		.amdhsa_float_denorm_mode_32 3
		.amdhsa_float_denorm_mode_16_64 3
		.amdhsa_dx10_clamp 1
		.amdhsa_ieee_mode 1
		.amdhsa_fp16_overflow 0
		.amdhsa_tg_split 0
		.amdhsa_exception_fp_ieee_invalid_op 0
		.amdhsa_exception_fp_denorm_src 0
		.amdhsa_exception_fp_ieee_div_zero 0
		.amdhsa_exception_fp_ieee_overflow 0
		.amdhsa_exception_fp_ieee_underflow 0
		.amdhsa_exception_fp_ieee_inexact 0
		.amdhsa_exception_int_div_zero 0
	.end_amdhsa_kernel
	.section	.text._ZL28rocblas_dot_batched_4_kernelIiLi32ELi4ELb0EddPKfEviT5_lT_lS2_lS3_liPT4_,"axG",@progbits,_ZL28rocblas_dot_batched_4_kernelIiLi32ELi4ELb0EddPKfEviT5_lT_lS2_lS3_liPT4_,comdat
.Lfunc_end423:
	.size	_ZL28rocblas_dot_batched_4_kernelIiLi32ELi4ELb0EddPKfEviT5_lT_lS2_lS3_liPT4_, .Lfunc_end423-_ZL28rocblas_dot_batched_4_kernelIiLi32ELi4ELb0EddPKfEviT5_lT_lS2_lS3_liPT4_
                                        ; -- End function
	.section	.AMDGPU.csdata,"",@progbits
; Kernel info:
; codeLenInByte = 740
; NumSgprs: 28
; NumVgprs: 16
; NumAgprs: 0
; TotalNumVgprs: 16
; ScratchSize: 0
; MemoryBound: 0
; FloatMode: 240
; IeeeMode: 1
; LDSByteSize: 0 bytes/workgroup (compile time only)
; SGPRBlocks: 3
; VGPRBlocks: 1
; NumSGPRsForWavesPerEU: 28
; NumVGPRsForWavesPerEU: 16
; AccumOffset: 16
; Occupancy: 8
; WaveLimiterHint : 0
; COMPUTE_PGM_RSRC2:SCRATCH_EN: 0
; COMPUTE_PGM_RSRC2:USER_SGPR: 6
; COMPUTE_PGM_RSRC2:TRAP_HANDLER: 0
; COMPUTE_PGM_RSRC2:TGID_X_EN: 1
; COMPUTE_PGM_RSRC2:TGID_Y_EN: 0
; COMPUTE_PGM_RSRC2:TGID_Z_EN: 0
; COMPUTE_PGM_RSRC2:TIDIG_COMP_CNT: 1
; COMPUTE_PGM_RSRC3_GFX90A:ACCUM_OFFSET: 3
; COMPUTE_PGM_RSRC3_GFX90A:TG_SPLIT: 0
	.section	.text._ZL28rocblas_dot_batched_4_kernelIiLi64ELi4ELb0EddPKfEviT5_lT_lS2_lS3_liPT4_,"axG",@progbits,_ZL28rocblas_dot_batched_4_kernelIiLi64ELi4ELb0EddPKfEviT5_lT_lS2_lS3_liPT4_,comdat
	.globl	_ZL28rocblas_dot_batched_4_kernelIiLi64ELi4ELb0EddPKfEviT5_lT_lS2_lS3_liPT4_ ; -- Begin function _ZL28rocblas_dot_batched_4_kernelIiLi64ELi4ELb0EddPKfEviT5_lT_lS2_lS3_liPT4_
	.p2align	8
	.type	_ZL28rocblas_dot_batched_4_kernelIiLi64ELi4ELb0EddPKfEviT5_lT_lS2_lS3_liPT4_,@function
_ZL28rocblas_dot_batched_4_kernelIiLi64ELi4ELb0EddPKfEviT5_lT_lS2_lS3_liPT4_: ; @_ZL28rocblas_dot_batched_4_kernelIiLi64ELi4ELb0EddPKfEviT5_lT_lS2_lS3_liPT4_
; %bb.0:
	s_load_dword s0, s[4:5], 0x48
	v_bfe_u32 v1, v0, 10, 10
	v_lshl_add_u32 v2, s6, 2, v1
	s_waitcnt lgkmcnt(0)
	v_cmp_gt_u32_e32 vcc, s0, v2
	s_and_saveexec_b64 s[0:1], vcc
	s_cbranch_execz .LBB424_7
; %bb.1:
	s_load_dword s10, s[4:5], 0x0
	s_load_dwordx2 s[0:1], s[4:5], 0x50
	v_and_b32_e32 v8, 0x3ff, v0
	v_mov_b32_e32 v3, 0
	v_pk_mov_b32 v[0:1], 0, 0
	s_waitcnt lgkmcnt(0)
	v_cmp_gt_i32_e32 vcc, s10, v8
	s_and_saveexec_b64 s[2:3], vcc
	s_cbranch_execz .LBB424_5
; %bb.2:
	s_load_dwordx4 s[12:15], s[4:5], 0x8
	s_load_dword s6, s[4:5], 0x18
	s_load_dword s8, s[4:5], 0x38
	s_load_dwordx4 s[16:19], s[4:5], 0x20
	s_load_dwordx2 s[20:21], s[4:5], 0x30
	s_load_dwordx2 s[22:23], s[4:5], 0x40
	s_waitcnt lgkmcnt(0)
	v_mad_i64_i32 v[0:1], s[4:5], s6, v8, 0
	v_mad_u64_u32 v[4:5], s[4:5], s16, v2, 0
	v_mov_b32_e32 v6, v5
	v_mad_u64_u32 v[6:7], s[4:5], s17, v2, v[6:7]
	v_mov_b32_e32 v5, v6
	s_ashr_i32 s7, s6, 31
	s_ashr_i32 s9, s8, 31
	v_lshlrev_b64 v[0:1], 2, v[0:1]
	v_lshlrev_b64 v[4:5], 2, v[4:5]
	s_lshl_b64 s[4:5], s[14:15], 2
	v_add_co_u32_e32 v0, vcc, v0, v4
	s_add_u32 s4, s12, s4
	v_addc_co_u32_e32 v1, vcc, v1, v5, vcc
	s_addc_u32 s5, s13, s5
	v_mov_b32_e32 v5, s5
	v_add_co_u32_e32 v4, vcc, s4, v0
	s_lshl_b64 s[4:5], s[6:7], 8
	v_mad_u64_u32 v[6:7], s[6:7], s22, v2, 0
	v_mov_b32_e32 v10, v7
	v_mad_u64_u32 v[10:11], s[6:7], s23, v2, v[10:11]
	v_addc_co_u32_e32 v5, vcc, v5, v1, vcc
	v_mad_i64_i32 v[0:1], s[6:7], s8, v8, 0
	v_mov_b32_e32 v7, v10
	v_lshlrev_b64 v[0:1], 2, v[0:1]
	v_lshlrev_b64 v[6:7], 2, v[6:7]
	s_lshl_b64 s[6:7], s[20:21], 2
	v_add_co_u32_e32 v0, vcc, v0, v6
	s_add_u32 s6, s18, s6
	v_addc_co_u32_e32 v1, vcc, v1, v7, vcc
	s_addc_u32 s7, s19, s7
	v_mov_b32_e32 v7, s7
	v_add_co_u32_e32 v6, vcc, s6, v0
	s_lshl_b64 s[8:9], s[8:9], 8
	v_addc_co_u32_e32 v7, vcc, v7, v1, vcc
	s_mov_b64 s[6:7], 0
	v_pk_mov_b32 v[0:1], 0, 0
	v_mov_b32_e32 v9, s5
	v_mov_b32_e32 v10, s9
	;; [unrolled: 1-line block ×3, first 2 shown]
.LBB424_3:                              ; =>This Inner Loop Header: Depth=1
	global_load_dword v12, v[4:5], off
	global_load_dword v14, v[6:7], off
	v_add_co_u32_e32 v4, vcc, s4, v4
	v_addc_co_u32_e32 v5, vcc, v5, v9, vcc
	v_add_co_u32_e32 v6, vcc, s8, v6
	v_add_u32_e32 v11, 64, v11
	v_addc_co_u32_e32 v7, vcc, v7, v10, vcc
	v_cmp_le_i32_e32 vcc, s10, v11
	s_or_b64 s[6:7], vcc, s[6:7]
	s_waitcnt vmcnt(1)
	v_cvt_f64_f32_e32 v[12:13], v12
	s_waitcnt vmcnt(0)
	v_cvt_f64_f32_e32 v[14:15], v14
	v_fmac_f64_e32 v[0:1], v[12:13], v[14:15]
	s_andn2_b64 exec, exec, s[6:7]
	s_cbranch_execnz .LBB424_3
; %bb.4:
	s_or_b64 exec, exec, s[6:7]
.LBB424_5:
	s_or_b64 exec, exec, s[2:3]
	v_mbcnt_lo_u32_b32 v4, -1, 0
	v_mbcnt_hi_u32_b32 v6, -1, v4
	v_and_b32_e32 v7, 63, v6
	v_cmp_gt_u32_e32 vcc, 32, v7
	v_cndmask_b32_e64 v4, 0, 1, vcc
	v_lshlrev_b32_e32 v4, 5, v4
	v_add_lshl_u32 v5, v4, v6, 2
	ds_bpermute_b32 v4, v5, v0
	ds_bpermute_b32 v5, v5, v1
	v_cmp_gt_u32_e32 vcc, 48, v7
	v_cndmask_b32_e64 v9, 0, 1, vcc
	v_cmp_gt_u32_e32 vcc, 56, v7
	s_waitcnt lgkmcnt(0)
	v_add_f64 v[0:1], v[0:1], v[4:5]
	v_lshlrev_b32_e32 v4, 4, v9
	v_add_lshl_u32 v5, v4, v6, 2
	ds_bpermute_b32 v4, v5, v0
	ds_bpermute_b32 v5, v5, v1
	s_barrier
	s_waitcnt lgkmcnt(0)
	v_add_f64 v[0:1], v[0:1], v[4:5]
	v_cndmask_b32_e64 v4, 0, 1, vcc
	v_lshlrev_b32_e32 v4, 3, v4
	v_add_lshl_u32 v5, v4, v6, 2
	ds_bpermute_b32 v4, v5, v0
	ds_bpermute_b32 v5, v5, v1
	v_cmp_gt_u32_e32 vcc, 60, v7
	s_waitcnt lgkmcnt(0)
	v_add_f64 v[0:1], v[0:1], v[4:5]
	v_cndmask_b32_e64 v4, 0, 1, vcc
	v_lshlrev_b32_e32 v4, 2, v4
	v_add_lshl_u32 v5, v4, v6, 2
	ds_bpermute_b32 v4, v5, v0
	ds_bpermute_b32 v5, v5, v1
	v_cmp_gt_u32_e32 vcc, 62, v7
	s_waitcnt lgkmcnt(0)
	v_add_f64 v[0:1], v[0:1], v[4:5]
	v_cndmask_b32_e64 v4, 0, 1, vcc
	v_lshlrev_b32_e32 v4, 1, v4
	v_add_lshl_u32 v5, v4, v6, 2
	ds_bpermute_b32 v4, v5, v0
	ds_bpermute_b32 v5, v5, v1
	v_cmp_ne_u32_e32 vcc, 63, v7
	s_waitcnt lgkmcnt(0)
	v_add_f64 v[0:1], v[0:1], v[4:5]
	v_addc_co_u32_e32 v4, vcc, 0, v6, vcc
	v_lshlrev_b32_e32 v5, 2, v4
	ds_bpermute_b32 v4, v5, v0
	ds_bpermute_b32 v5, v5, v1
	v_cmp_eq_u32_e32 vcc, 0, v8
	s_and_b64 exec, exec, vcc
	s_cbranch_execz .LBB424_7
; %bb.6:
	v_lshlrev_b64 v[2:3], 3, v[2:3]
	v_mov_b32_e32 v6, s1
	v_add_co_u32_e32 v2, vcc, s0, v2
	v_addc_co_u32_e32 v3, vcc, v6, v3, vcc
	s_waitcnt lgkmcnt(0)
	v_add_f64 v[0:1], v[0:1], v[4:5]
	global_store_dwordx2 v[2:3], v[0:1], off
.LBB424_7:
	s_endpgm
	.section	.rodata,"a",@progbits
	.p2align	6, 0x0
	.amdhsa_kernel _ZL28rocblas_dot_batched_4_kernelIiLi64ELi4ELb0EddPKfEviT5_lT_lS2_lS3_liPT4_
		.amdhsa_group_segment_fixed_size 0
		.amdhsa_private_segment_fixed_size 0
		.amdhsa_kernarg_size 88
		.amdhsa_user_sgpr_count 6
		.amdhsa_user_sgpr_private_segment_buffer 1
		.amdhsa_user_sgpr_dispatch_ptr 0
		.amdhsa_user_sgpr_queue_ptr 0
		.amdhsa_user_sgpr_kernarg_segment_ptr 1
		.amdhsa_user_sgpr_dispatch_id 0
		.amdhsa_user_sgpr_flat_scratch_init 0
		.amdhsa_user_sgpr_kernarg_preload_length 0
		.amdhsa_user_sgpr_kernarg_preload_offset 0
		.amdhsa_user_sgpr_private_segment_size 0
		.amdhsa_uses_dynamic_stack 0
		.amdhsa_system_sgpr_private_segment_wavefront_offset 0
		.amdhsa_system_sgpr_workgroup_id_x 1
		.amdhsa_system_sgpr_workgroup_id_y 0
		.amdhsa_system_sgpr_workgroup_id_z 0
		.amdhsa_system_sgpr_workgroup_info 0
		.amdhsa_system_vgpr_workitem_id 1
		.amdhsa_next_free_vgpr 16
		.amdhsa_next_free_sgpr 24
		.amdhsa_accum_offset 16
		.amdhsa_reserve_vcc 1
		.amdhsa_reserve_flat_scratch 0
		.amdhsa_float_round_mode_32 0
		.amdhsa_float_round_mode_16_64 0
		.amdhsa_float_denorm_mode_32 3
		.amdhsa_float_denorm_mode_16_64 3
		.amdhsa_dx10_clamp 1
		.amdhsa_ieee_mode 1
		.amdhsa_fp16_overflow 0
		.amdhsa_tg_split 0
		.amdhsa_exception_fp_ieee_invalid_op 0
		.amdhsa_exception_fp_denorm_src 0
		.amdhsa_exception_fp_ieee_div_zero 0
		.amdhsa_exception_fp_ieee_overflow 0
		.amdhsa_exception_fp_ieee_underflow 0
		.amdhsa_exception_fp_ieee_inexact 0
		.amdhsa_exception_int_div_zero 0
	.end_amdhsa_kernel
	.section	.text._ZL28rocblas_dot_batched_4_kernelIiLi64ELi4ELb0EddPKfEviT5_lT_lS2_lS3_liPT4_,"axG",@progbits,_ZL28rocblas_dot_batched_4_kernelIiLi64ELi4ELb0EddPKfEviT5_lT_lS2_lS3_liPT4_,comdat
.Lfunc_end424:
	.size	_ZL28rocblas_dot_batched_4_kernelIiLi64ELi4ELb0EddPKfEviT5_lT_lS2_lS3_liPT4_, .Lfunc_end424-_ZL28rocblas_dot_batched_4_kernelIiLi64ELi4ELb0EddPKfEviT5_lT_lS2_lS3_liPT4_
                                        ; -- End function
	.section	.AMDGPU.csdata,"",@progbits
; Kernel info:
; codeLenInByte = 792
; NumSgprs: 28
; NumVgprs: 16
; NumAgprs: 0
; TotalNumVgprs: 16
; ScratchSize: 0
; MemoryBound: 0
; FloatMode: 240
; IeeeMode: 1
; LDSByteSize: 0 bytes/workgroup (compile time only)
; SGPRBlocks: 3
; VGPRBlocks: 1
; NumSGPRsForWavesPerEU: 28
; NumVGPRsForWavesPerEU: 16
; AccumOffset: 16
; Occupancy: 8
; WaveLimiterHint : 0
; COMPUTE_PGM_RSRC2:SCRATCH_EN: 0
; COMPUTE_PGM_RSRC2:USER_SGPR: 6
; COMPUTE_PGM_RSRC2:TRAP_HANDLER: 0
; COMPUTE_PGM_RSRC2:TGID_X_EN: 1
; COMPUTE_PGM_RSRC2:TGID_Y_EN: 0
; COMPUTE_PGM_RSRC2:TGID_Z_EN: 0
; COMPUTE_PGM_RSRC2:TIDIG_COMP_CNT: 1
; COMPUTE_PGM_RSRC3_GFX90A:ACCUM_OFFSET: 3
; COMPUTE_PGM_RSRC3_GFX90A:TG_SPLIT: 0
	.section	.text._ZL26rocblas_dot_kernel_inc1by2ILb1ELi1024ELi32ELb0EdPKfdEviT4_llS2_lliPT5_PT3_,"axG",@progbits,_ZL26rocblas_dot_kernel_inc1by2ILb1ELi1024ELi32ELb0EdPKfdEviT4_llS2_lliPT5_PT3_,comdat
	.globl	_ZL26rocblas_dot_kernel_inc1by2ILb1ELi1024ELi32ELb0EdPKfdEviT4_llS2_lliPT5_PT3_ ; -- Begin function _ZL26rocblas_dot_kernel_inc1by2ILb1ELi1024ELi32ELb0EdPKfdEviT4_llS2_lliPT5_PT3_
	.p2align	8
	.type	_ZL26rocblas_dot_kernel_inc1by2ILb1ELi1024ELi32ELb0EdPKfdEviT4_llS2_lliPT5_PT3_,@function
_ZL26rocblas_dot_kernel_inc1by2ILb1ELi1024ELi32ELb0EdPKfdEviT4_llS2_lliPT5_PT3_: ; @_ZL26rocblas_dot_kernel_inc1by2ILb1ELi1024ELi32ELb0EdPKfdEviT4_llS2_lliPT5_PT3_
; %bb.0:
	s_mov_b32 s2, s7
	s_load_dword s10, s[4:5], 0x0
	s_load_dwordx2 s[6:7], s[4:5], 0x48
	s_mov_b32 s3, 0
	v_pk_mov_b32 v[2:3], 0, 0
	s_waitcnt lgkmcnt(0)
	v_cmp_gt_i32_e32 vcc, s10, v0
	s_and_saveexec_b64 s[8:9], vcc
	s_cbranch_execz .LBB425_4
; %bb.1:
	s_load_dwordx4 s[12:15], s[4:5], 0x28
	s_load_dwordx2 s[0:1], s[4:5], 0x20
	s_load_dwordx2 s[20:21], s[4:5], 0x8
	s_load_dwordx4 s[16:19], s[4:5], 0x10
	v_lshlrev_b32_e32 v2, 2, v0
	s_waitcnt lgkmcnt(0)
	s_mul_i32 s4, s15, s2
	s_mul_hi_u32 s5, s14, s2
	s_add_i32 s5, s5, s4
	s_mul_i32 s4, s14, s2
	s_lshl_b64 s[4:5], s[4:5], 2
	s_lshl_b64 s[12:13], s[12:13], 2
	s_add_u32 s4, s4, s12
	s_addc_u32 s5, s5, s13
	s_add_u32 s0, s0, s4
	s_addc_u32 s1, s1, s5
	v_mov_b32_e32 v3, s1
	v_add_co_u32_e32 v4, vcc, s0, v2
	s_mul_i32 s0, s19, s2
	s_mul_hi_u32 s1, s18, s2
	s_add_i32 s1, s1, s0
	s_mul_i32 s0, s18, s2
	s_lshl_b64 s[0:1], s[0:1], 2
	s_lshl_b64 s[4:5], s[16:17], 2
	s_add_u32 s0, s0, s4
	s_addc_u32 s1, s1, s5
	s_add_u32 s0, s20, s0
	v_addc_co_u32_e32 v5, vcc, 0, v3, vcc
	s_addc_u32 s1, s21, s1
	v_mov_b32_e32 v3, s1
	v_add_co_u32_e32 v6, vcc, s0, v2
	v_or_b32_e32 v1, 0x400, v0
	v_addc_co_u32_e32 v7, vcc, 0, v3, vcc
	s_mov_b64 s[4:5], 0
	v_pk_mov_b32 v[2:3], 0, 0
	s_mov_b32 s11, s3
.LBB425_2:                              ; =>This Inner Loop Header: Depth=1
	global_load_dword v8, v[4:5], off
	global_load_dword v10, v[6:7], off
	s_add_i32 s12, s11, 1
	s_cmp_gt_u32 s11, 30
	v_cmp_le_i32_e64 s[0:1], s10, v1
	v_add_co_u32_e32 v4, vcc, 0x1000, v4
	s_mov_b32 s11, s12
	s_cselect_b64 s[12:13], -1, 0
	v_addc_co_u32_e32 v5, vcc, 0, v5, vcc
	s_or_b64 s[0:1], s[12:13], s[0:1]
	v_add_co_u32_e32 v6, vcc, 0x1000, v6
	s_and_b64 s[0:1], exec, s[0:1]
	v_add_u32_e32 v1, 0x400, v1
	v_addc_co_u32_e32 v7, vcc, 0, v7, vcc
	s_or_b64 s[4:5], s[0:1], s[4:5]
	s_waitcnt vmcnt(1)
	v_cvt_f64_f32_e32 v[8:9], v8
	s_waitcnt vmcnt(0)
	v_cvt_f64_f32_e32 v[10:11], v10
	v_fmac_f64_e32 v[2:3], v[8:9], v[10:11]
	s_andn2_b64 exec, exec, s[4:5]
	s_cbranch_execnz .LBB425_2
; %bb.3:
	s_or_b64 exec, exec, s[4:5]
.LBB425_4:
	s_or_b64 exec, exec, s[8:9]
	v_and_b32_e32 v6, 63, v0
	v_cmp_gt_u32_e32 vcc, 64, v0
	v_lshlrev_b32_e32 v1, 3, v6
	s_and_saveexec_b64 s[0:1], vcc
	s_cbranch_execz .LBB425_6
; %bb.5:
	v_mov_b32_e32 v4, 0
	v_mov_b32_e32 v5, v4
	ds_write_b64 v1, v[4:5]
.LBB425_6:
	s_or_b64 exec, exec, s[0:1]
	v_mbcnt_lo_u32_b32 v4, -1, 0
	v_mbcnt_hi_u32_b32 v10, -1, v4
	v_and_b32_e32 v11, 63, v10
	v_cmp_gt_u32_e64 s[0:1], 32, v11
	v_cndmask_b32_e64 v4, 0, 1, s[0:1]
	v_lshlrev_b32_e32 v4, 5, v4
	v_add_lshl_u32 v5, v4, v10, 2
	ds_bpermute_b32 v4, v5, v2
	ds_bpermute_b32 v5, v5, v3
	v_cmp_gt_u32_e64 s[0:1], 48, v11
	v_cndmask_b32_e64 v7, 0, 1, s[0:1]
	v_cmp_gt_u32_e64 s[0:1], 56, v11
	s_waitcnt lgkmcnt(0)
	v_add_f64 v[2:3], v[2:3], v[4:5]
	v_lshlrev_b32_e32 v4, 4, v7
	v_add_lshl_u32 v5, v4, v10, 2
	ds_bpermute_b32 v4, v5, v2
	ds_bpermute_b32 v5, v5, v3
	s_barrier
	s_waitcnt lgkmcnt(0)
	v_add_f64 v[2:3], v[2:3], v[4:5]
	v_cndmask_b32_e64 v4, 0, 1, s[0:1]
	v_lshlrev_b32_e32 v4, 3, v4
	v_add_lshl_u32 v7, v4, v10, 2
	ds_bpermute_b32 v4, v7, v2
	ds_bpermute_b32 v5, v7, v3
	v_cmp_gt_u32_e64 s[0:1], 60, v11
	s_waitcnt lgkmcnt(0)
	v_add_f64 v[2:3], v[2:3], v[4:5]
	v_cndmask_b32_e64 v4, 0, 1, s[0:1]
	v_lshlrev_b32_e32 v4, 2, v4
	v_add_lshl_u32 v8, v4, v10, 2
	ds_bpermute_b32 v4, v8, v2
	ds_bpermute_b32 v5, v8, v3
	v_cmp_gt_u32_e64 s[0:1], 62, v11
	s_waitcnt lgkmcnt(0)
	v_add_f64 v[2:3], v[2:3], v[4:5]
	v_cndmask_b32_e64 v4, 0, 1, s[0:1]
	v_lshlrev_b32_e32 v4, 1, v4
	v_add_lshl_u32 v9, v4, v10, 2
	ds_bpermute_b32 v4, v9, v2
	ds_bpermute_b32 v5, v9, v3
	v_cmp_ne_u32_e64 s[0:1], 63, v11
	s_waitcnt lgkmcnt(0)
	v_add_f64 v[2:3], v[2:3], v[4:5]
	v_addc_co_u32_e64 v4, s[0:1], 0, v10, s[0:1]
	v_lshlrev_b32_e32 v10, 2, v4
	ds_bpermute_b32 v4, v10, v2
	ds_bpermute_b32 v5, v10, v3
	v_cmp_eq_u32_e64 s[0:1], 0, v6
	s_and_saveexec_b64 s[4:5], s[0:1]
	s_cbranch_execz .LBB425_8
; %bb.7:
	s_waitcnt lgkmcnt(0)
	v_add_f64 v[2:3], v[2:3], v[4:5]
	v_lshrrev_b32_e32 v4, 3, v0
	v_and_b32_e32 v4, 0x78, v4
	ds_write_b64 v4, v[2:3]
.LBB425_8:
	s_or_b64 exec, exec, s[4:5]
	v_cmp_gt_u32_e64 s[0:1], 16, v0
	v_pk_mov_b32 v[2:3], 0, 0
	s_waitcnt lgkmcnt(0)
	s_barrier
	s_and_saveexec_b64 s[4:5], s[0:1]
	s_cbranch_execnz .LBB425_12
; %bb.9:
	s_or_b64 exec, exec, s[4:5]
	s_and_saveexec_b64 s[0:1], vcc
	s_cbranch_execnz .LBB425_13
.LBB425_10:
	s_or_b64 exec, exec, s[0:1]
	v_cmp_eq_u32_e32 vcc, 0, v0
	s_and_saveexec_b64 s[0:1], vcc
	s_cbranch_execnz .LBB425_14
.LBB425_11:
	s_endpgm
.LBB425_12:
	ds_read_b64 v[2:3], v1
	s_or_b64 exec, exec, s[4:5]
	s_and_saveexec_b64 s[0:1], vcc
	s_cbranch_execz .LBB425_10
.LBB425_13:
	s_waitcnt lgkmcnt(0)
	ds_bpermute_b32 v4, v7, v2
	ds_bpermute_b32 v5, v7, v3
	s_waitcnt lgkmcnt(0)
	v_add_f64 v[2:3], v[2:3], v[4:5]
	ds_bpermute_b32 v4, v8, v2
	ds_bpermute_b32 v5, v8, v3
	s_waitcnt lgkmcnt(0)
	v_add_f64 v[2:3], v[2:3], v[4:5]
	;; [unrolled: 4-line block ×4, first 2 shown]
	s_or_b64 exec, exec, s[0:1]
	v_cmp_eq_u32_e32 vcc, 0, v0
	s_and_saveexec_b64 s[0:1], vcc
	s_cbranch_execz .LBB425_11
.LBB425_14:
	s_lshl_b64 s[0:1], s[2:3], 3
	s_add_u32 s0, s6, s0
	s_addc_u32 s1, s7, s1
	v_mov_b32_e32 v0, 0
	s_waitcnt lgkmcnt(0)
	global_store_dwordx2 v0, v[2:3], s[0:1]
	s_endpgm
	.section	.rodata,"a",@progbits
	.p2align	6, 0x0
	.amdhsa_kernel _ZL26rocblas_dot_kernel_inc1by2ILb1ELi1024ELi32ELb0EdPKfdEviT4_llS2_lliPT5_PT3_
		.amdhsa_group_segment_fixed_size 512
		.amdhsa_private_segment_fixed_size 0
		.amdhsa_kernarg_size 80
		.amdhsa_user_sgpr_count 6
		.amdhsa_user_sgpr_private_segment_buffer 1
		.amdhsa_user_sgpr_dispatch_ptr 0
		.amdhsa_user_sgpr_queue_ptr 0
		.amdhsa_user_sgpr_kernarg_segment_ptr 1
		.amdhsa_user_sgpr_dispatch_id 0
		.amdhsa_user_sgpr_flat_scratch_init 0
		.amdhsa_user_sgpr_kernarg_preload_length 0
		.amdhsa_user_sgpr_kernarg_preload_offset 0
		.amdhsa_user_sgpr_private_segment_size 0
		.amdhsa_uses_dynamic_stack 0
		.amdhsa_system_sgpr_private_segment_wavefront_offset 0
		.amdhsa_system_sgpr_workgroup_id_x 1
		.amdhsa_system_sgpr_workgroup_id_y 0
		.amdhsa_system_sgpr_workgroup_id_z 1
		.amdhsa_system_sgpr_workgroup_info 0
		.amdhsa_system_vgpr_workitem_id 0
		.amdhsa_next_free_vgpr 12
		.amdhsa_next_free_sgpr 22
		.amdhsa_accum_offset 12
		.amdhsa_reserve_vcc 1
		.amdhsa_reserve_flat_scratch 0
		.amdhsa_float_round_mode_32 0
		.amdhsa_float_round_mode_16_64 0
		.amdhsa_float_denorm_mode_32 3
		.amdhsa_float_denorm_mode_16_64 3
		.amdhsa_dx10_clamp 1
		.amdhsa_ieee_mode 1
		.amdhsa_fp16_overflow 0
		.amdhsa_tg_split 0
		.amdhsa_exception_fp_ieee_invalid_op 0
		.amdhsa_exception_fp_denorm_src 0
		.amdhsa_exception_fp_ieee_div_zero 0
		.amdhsa_exception_fp_ieee_overflow 0
		.amdhsa_exception_fp_ieee_underflow 0
		.amdhsa_exception_fp_ieee_inexact 0
		.amdhsa_exception_int_div_zero 0
	.end_amdhsa_kernel
	.section	.text._ZL26rocblas_dot_kernel_inc1by2ILb1ELi1024ELi32ELb0EdPKfdEviT4_llS2_lliPT5_PT3_,"axG",@progbits,_ZL26rocblas_dot_kernel_inc1by2ILb1ELi1024ELi32ELb0EdPKfdEviT4_llS2_lliPT5_PT3_,comdat
.Lfunc_end425:
	.size	_ZL26rocblas_dot_kernel_inc1by2ILb1ELi1024ELi32ELb0EdPKfdEviT4_llS2_lliPT5_PT3_, .Lfunc_end425-_ZL26rocblas_dot_kernel_inc1by2ILb1ELi1024ELi32ELb0EdPKfdEviT4_llS2_lliPT5_PT3_
                                        ; -- End function
	.section	.AMDGPU.csdata,"",@progbits
; Kernel info:
; codeLenInByte = 1016
; NumSgprs: 26
; NumVgprs: 12
; NumAgprs: 0
; TotalNumVgprs: 12
; ScratchSize: 0
; MemoryBound: 0
; FloatMode: 240
; IeeeMode: 1
; LDSByteSize: 512 bytes/workgroup (compile time only)
; SGPRBlocks: 3
; VGPRBlocks: 1
; NumSGPRsForWavesPerEU: 26
; NumVGPRsForWavesPerEU: 12
; AccumOffset: 12
; Occupancy: 8
; WaveLimiterHint : 0
; COMPUTE_PGM_RSRC2:SCRATCH_EN: 0
; COMPUTE_PGM_RSRC2:USER_SGPR: 6
; COMPUTE_PGM_RSRC2:TRAP_HANDLER: 0
; COMPUTE_PGM_RSRC2:TGID_X_EN: 1
; COMPUTE_PGM_RSRC2:TGID_Y_EN: 0
; COMPUTE_PGM_RSRC2:TGID_Z_EN: 1
; COMPUTE_PGM_RSRC2:TIDIG_COMP_CNT: 0
; COMPUTE_PGM_RSRC3_GFX90A:ACCUM_OFFSET: 2
; COMPUTE_PGM_RSRC3_GFX90A:TG_SPLIT: 0
	.section	.text._ZL18rocblas_dot_kernelIiLb1ELi1024ELi32ELb0EdPKfdEviT5_lT_lS2_lS3_liPT6_PT4_,"axG",@progbits,_ZL18rocblas_dot_kernelIiLb1ELi1024ELi32ELb0EdPKfdEviT5_lT_lS2_lS3_liPT6_PT4_,comdat
	.globl	_ZL18rocblas_dot_kernelIiLb1ELi1024ELi32ELb0EdPKfdEviT5_lT_lS2_lS3_liPT6_PT4_ ; -- Begin function _ZL18rocblas_dot_kernelIiLb1ELi1024ELi32ELb0EdPKfdEviT5_lT_lS2_lS3_liPT6_PT4_
	.p2align	8
	.type	_ZL18rocblas_dot_kernelIiLb1ELi1024ELi32ELb0EdPKfdEviT5_lT_lS2_lS3_liPT6_PT4_,@function
_ZL18rocblas_dot_kernelIiLb1ELi1024ELi32ELb0EdPKfdEviT5_lT_lS2_lS3_liPT6_PT4_: ; @_ZL18rocblas_dot_kernelIiLb1ELi1024ELi32ELb0EdPKfdEviT5_lT_lS2_lS3_liPT6_PT4_
; %bb.0:
	s_load_dword s14, s[4:5], 0x0
	s_load_dwordx2 s[8:9], s[4:5], 0x58
	s_mov_b32 s6, s7
	s_mov_b32 s7, 0
	v_pk_mov_b32 v[2:3], 0, 0
	s_waitcnt lgkmcnt(0)
	v_cmp_gt_i32_e32 vcc, s14, v0
	s_and_saveexec_b64 s[10:11], vcc
	s_cbranch_execz .LBB426_4
; %bb.1:
	s_load_dword s22, s[4:5], 0x38
	s_load_dwordx2 s[12:13], s[4:5], 0x40
	s_load_dword s15, s[4:5], 0x60
	s_load_dwordx4 s[0:3], s[4:5], 0x20
	s_load_dwordx4 s[16:19], s[4:5], 0x8
	s_load_dword s23, s[4:5], 0x18
	s_load_dwordx2 s[20:21], s[4:5], 0x30
	s_waitcnt lgkmcnt(0)
	s_lshl_b32 s15, s15, 10
	s_mul_i32 s1, s1, s6
	s_mul_hi_u32 s4, s0, s6
	s_add_i32 s1, s4, s1
	s_mul_i32 s0, s0, s6
	v_mad_i64_i32 v[2:3], s[4:5], s23, v0, 0
	s_lshl_b64 s[0:1], s[0:1], 2
	s_lshl_b64 s[4:5], s[18:19], 2
	s_add_u32 s4, s16, s4
	s_addc_u32 s5, s17, s5
	s_add_u32 s0, s4, s0
	v_lshlrev_b64 v[2:3], 2, v[2:3]
	s_addc_u32 s1, s5, s1
	v_mov_b32_e32 v5, s1
	v_add_co_u32_e32 v4, vcc, s0, v2
	s_mul_hi_i32 s1, s23, s15
	s_mul_i32 s0, s23, s15
	s_lshl_b64 s[4:5], s[0:1], 2
	s_mul_i32 s0, s13, s6
	s_mul_hi_u32 s1, s12, s6
	v_addc_co_u32_e32 v5, vcc, v5, v3, vcc
	s_add_i32 s1, s1, s0
	s_mul_i32 s0, s12, s6
	v_mad_i64_i32 v[2:3], s[12:13], s22, v0, 0
	s_lshl_b64 s[0:1], s[0:1], 2
	s_lshl_b64 s[12:13], s[20:21], 2
	s_add_u32 s2, s2, s12
	s_addc_u32 s3, s3, s13
	s_add_u32 s0, s2, s0
	v_lshlrev_b64 v[2:3], 2, v[2:3]
	s_addc_u32 s1, s3, s1
	v_mov_b32_e32 v7, s1
	v_add_co_u32_e32 v6, vcc, s0, v2
	s_mul_hi_i32 s1, s22, s15
	s_mul_i32 s0, s22, s15
	s_lshl_b64 s[12:13], s[0:1], 2
	v_or_b32_e32 v1, s15, v0
	v_addc_co_u32_e32 v7, vcc, v7, v3, vcc
	s_mov_b64 s[2:3], 0
	v_pk_mov_b32 v[2:3], 0, 0
	v_mov_b32_e32 v8, s5
	v_mov_b32_e32 v9, s13
	s_mov_b32 s5, s7
.LBB426_2:                              ; =>This Inner Loop Header: Depth=1
	global_load_dword v10, v[6:7], off
	global_load_dword v12, v[4:5], off
	v_add_co_u32_e64 v4, s[0:1], s4, v4
	v_addc_co_u32_e64 v5, s[0:1], v5, v8, s[0:1]
	s_add_i32 s13, s5, 1
	v_add_co_u32_e64 v6, s[0:1], s12, v6
	v_addc_co_u32_e64 v7, s[0:1], v7, v9, s[0:1]
	s_cmp_gt_u32 s5, 30
	v_cmp_le_i32_e32 vcc, s14, v1
	s_cselect_b64 s[0:1], -1, 0
	s_or_b64 s[0:1], s[0:1], vcc
	s_and_b64 s[0:1], exec, s[0:1]
	v_add_u32_e32 v1, s15, v1
	s_mov_b32 s5, s13
	s_or_b64 s[2:3], s[0:1], s[2:3]
	s_waitcnt vmcnt(1)
	v_cvt_f64_f32_e32 v[10:11], v10
	s_waitcnt vmcnt(0)
	v_cvt_f64_f32_e32 v[12:13], v12
	v_fmac_f64_e32 v[2:3], v[10:11], v[12:13]
	s_andn2_b64 exec, exec, s[2:3]
	s_cbranch_execnz .LBB426_2
; %bb.3:
	s_or_b64 exec, exec, s[2:3]
.LBB426_4:
	s_or_b64 exec, exec, s[10:11]
	v_and_b32_e32 v6, 63, v0
	v_cmp_gt_u32_e32 vcc, 64, v0
	v_lshlrev_b32_e32 v1, 3, v6
	s_and_saveexec_b64 s[0:1], vcc
	s_cbranch_execz .LBB426_6
; %bb.5:
	v_mov_b32_e32 v4, 0
	v_mov_b32_e32 v5, v4
	ds_write_b64 v1, v[4:5]
.LBB426_6:
	s_or_b64 exec, exec, s[0:1]
	v_mbcnt_lo_u32_b32 v4, -1, 0
	v_mbcnt_hi_u32_b32 v10, -1, v4
	v_and_b32_e32 v11, 63, v10
	v_cmp_gt_u32_e64 s[0:1], 32, v11
	v_cndmask_b32_e64 v4, 0, 1, s[0:1]
	v_lshlrev_b32_e32 v4, 5, v4
	v_add_lshl_u32 v5, v4, v10, 2
	ds_bpermute_b32 v4, v5, v2
	ds_bpermute_b32 v5, v5, v3
	v_cmp_gt_u32_e64 s[0:1], 48, v11
	v_cndmask_b32_e64 v7, 0, 1, s[0:1]
	v_cmp_gt_u32_e64 s[0:1], 56, v11
	s_waitcnt lgkmcnt(0)
	v_add_f64 v[2:3], v[2:3], v[4:5]
	v_lshlrev_b32_e32 v4, 4, v7
	v_add_lshl_u32 v5, v4, v10, 2
	ds_bpermute_b32 v4, v5, v2
	ds_bpermute_b32 v5, v5, v3
	s_barrier
	s_waitcnt lgkmcnt(0)
	v_add_f64 v[2:3], v[2:3], v[4:5]
	v_cndmask_b32_e64 v4, 0, 1, s[0:1]
	v_lshlrev_b32_e32 v4, 3, v4
	v_add_lshl_u32 v7, v4, v10, 2
	ds_bpermute_b32 v4, v7, v2
	ds_bpermute_b32 v5, v7, v3
	v_cmp_gt_u32_e64 s[0:1], 60, v11
	s_waitcnt lgkmcnt(0)
	v_add_f64 v[2:3], v[2:3], v[4:5]
	v_cndmask_b32_e64 v4, 0, 1, s[0:1]
	v_lshlrev_b32_e32 v4, 2, v4
	v_add_lshl_u32 v8, v4, v10, 2
	ds_bpermute_b32 v4, v8, v2
	ds_bpermute_b32 v5, v8, v3
	v_cmp_gt_u32_e64 s[0:1], 62, v11
	s_waitcnt lgkmcnt(0)
	v_add_f64 v[2:3], v[2:3], v[4:5]
	v_cndmask_b32_e64 v4, 0, 1, s[0:1]
	v_lshlrev_b32_e32 v4, 1, v4
	v_add_lshl_u32 v9, v4, v10, 2
	ds_bpermute_b32 v4, v9, v2
	ds_bpermute_b32 v5, v9, v3
	v_cmp_ne_u32_e64 s[0:1], 63, v11
	s_waitcnt lgkmcnt(0)
	v_add_f64 v[2:3], v[2:3], v[4:5]
	v_addc_co_u32_e64 v4, s[0:1], 0, v10, s[0:1]
	v_lshlrev_b32_e32 v10, 2, v4
	ds_bpermute_b32 v4, v10, v2
	ds_bpermute_b32 v5, v10, v3
	v_cmp_eq_u32_e64 s[0:1], 0, v6
	s_and_saveexec_b64 s[2:3], s[0:1]
	s_cbranch_execz .LBB426_8
; %bb.7:
	s_waitcnt lgkmcnt(0)
	v_add_f64 v[2:3], v[2:3], v[4:5]
	v_lshrrev_b32_e32 v4, 3, v0
	v_and_b32_e32 v4, 0x78, v4
	ds_write_b64 v4, v[2:3]
.LBB426_8:
	s_or_b64 exec, exec, s[2:3]
	v_cmp_gt_u32_e64 s[0:1], 16, v0
	v_pk_mov_b32 v[2:3], 0, 0
	s_waitcnt lgkmcnt(0)
	s_barrier
	s_and_saveexec_b64 s[2:3], s[0:1]
	s_cbranch_execnz .LBB426_12
; %bb.9:
	s_or_b64 exec, exec, s[2:3]
	s_and_saveexec_b64 s[0:1], vcc
	s_cbranch_execnz .LBB426_13
.LBB426_10:
	s_or_b64 exec, exec, s[0:1]
	v_cmp_eq_u32_e32 vcc, 0, v0
	s_and_saveexec_b64 s[0:1], vcc
	s_cbranch_execnz .LBB426_14
.LBB426_11:
	s_endpgm
.LBB426_12:
	ds_read_b64 v[2:3], v1
	s_or_b64 exec, exec, s[2:3]
	s_and_saveexec_b64 s[0:1], vcc
	s_cbranch_execz .LBB426_10
.LBB426_13:
	s_waitcnt lgkmcnt(0)
	ds_bpermute_b32 v4, v7, v2
	ds_bpermute_b32 v5, v7, v3
	s_waitcnt lgkmcnt(0)
	v_add_f64 v[2:3], v[2:3], v[4:5]
	ds_bpermute_b32 v4, v8, v2
	ds_bpermute_b32 v5, v8, v3
	s_waitcnt lgkmcnt(0)
	v_add_f64 v[2:3], v[2:3], v[4:5]
	;; [unrolled: 4-line block ×4, first 2 shown]
	s_or_b64 exec, exec, s[0:1]
	v_cmp_eq_u32_e32 vcc, 0, v0
	s_and_saveexec_b64 s[0:1], vcc
	s_cbranch_execz .LBB426_11
.LBB426_14:
	s_lshl_b64 s[0:1], s[6:7], 3
	s_add_u32 s0, s8, s0
	s_addc_u32 s1, s9, s1
	v_mov_b32_e32 v0, 0
	s_waitcnt lgkmcnt(0)
	global_store_dwordx2 v0, v[2:3], s[0:1]
	s_endpgm
	.section	.rodata,"a",@progbits
	.p2align	6, 0x0
	.amdhsa_kernel _ZL18rocblas_dot_kernelIiLb1ELi1024ELi32ELb0EdPKfdEviT5_lT_lS2_lS3_liPT6_PT4_
		.amdhsa_group_segment_fixed_size 512
		.amdhsa_private_segment_fixed_size 0
		.amdhsa_kernarg_size 352
		.amdhsa_user_sgpr_count 6
		.amdhsa_user_sgpr_private_segment_buffer 1
		.amdhsa_user_sgpr_dispatch_ptr 0
		.amdhsa_user_sgpr_queue_ptr 0
		.amdhsa_user_sgpr_kernarg_segment_ptr 1
		.amdhsa_user_sgpr_dispatch_id 0
		.amdhsa_user_sgpr_flat_scratch_init 0
		.amdhsa_user_sgpr_kernarg_preload_length 0
		.amdhsa_user_sgpr_kernarg_preload_offset 0
		.amdhsa_user_sgpr_private_segment_size 0
		.amdhsa_uses_dynamic_stack 0
		.amdhsa_system_sgpr_private_segment_wavefront_offset 0
		.amdhsa_system_sgpr_workgroup_id_x 1
		.amdhsa_system_sgpr_workgroup_id_y 0
		.amdhsa_system_sgpr_workgroup_id_z 1
		.amdhsa_system_sgpr_workgroup_info 0
		.amdhsa_system_vgpr_workitem_id 0
		.amdhsa_next_free_vgpr 14
		.amdhsa_next_free_sgpr 24
		.amdhsa_accum_offset 16
		.amdhsa_reserve_vcc 1
		.amdhsa_reserve_flat_scratch 0
		.amdhsa_float_round_mode_32 0
		.amdhsa_float_round_mode_16_64 0
		.amdhsa_float_denorm_mode_32 3
		.amdhsa_float_denorm_mode_16_64 3
		.amdhsa_dx10_clamp 1
		.amdhsa_ieee_mode 1
		.amdhsa_fp16_overflow 0
		.amdhsa_tg_split 0
		.amdhsa_exception_fp_ieee_invalid_op 0
		.amdhsa_exception_fp_denorm_src 0
		.amdhsa_exception_fp_ieee_div_zero 0
		.amdhsa_exception_fp_ieee_overflow 0
		.amdhsa_exception_fp_ieee_underflow 0
		.amdhsa_exception_fp_ieee_inexact 0
		.amdhsa_exception_int_div_zero 0
	.end_amdhsa_kernel
	.section	.text._ZL18rocblas_dot_kernelIiLb1ELi1024ELi32ELb0EdPKfdEviT5_lT_lS2_lS3_liPT6_PT4_,"axG",@progbits,_ZL18rocblas_dot_kernelIiLb1ELi1024ELi32ELb0EdPKfdEviT5_lT_lS2_lS3_liPT6_PT4_,comdat
.Lfunc_end426:
	.size	_ZL18rocblas_dot_kernelIiLb1ELi1024ELi32ELb0EdPKfdEviT5_lT_lS2_lS3_liPT6_PT4_, .Lfunc_end426-_ZL18rocblas_dot_kernelIiLb1ELi1024ELi32ELb0EdPKfdEviT5_lT_lS2_lS3_liPT6_PT4_
                                        ; -- End function
	.section	.AMDGPU.csdata,"",@progbits
; Kernel info:
; codeLenInByte = 1100
; NumSgprs: 28
; NumVgprs: 14
; NumAgprs: 0
; TotalNumVgprs: 14
; ScratchSize: 0
; MemoryBound: 0
; FloatMode: 240
; IeeeMode: 1
; LDSByteSize: 512 bytes/workgroup (compile time only)
; SGPRBlocks: 3
; VGPRBlocks: 1
; NumSGPRsForWavesPerEU: 28
; NumVGPRsForWavesPerEU: 14
; AccumOffset: 16
; Occupancy: 8
; WaveLimiterHint : 0
; COMPUTE_PGM_RSRC2:SCRATCH_EN: 0
; COMPUTE_PGM_RSRC2:USER_SGPR: 6
; COMPUTE_PGM_RSRC2:TRAP_HANDLER: 0
; COMPUTE_PGM_RSRC2:TGID_X_EN: 1
; COMPUTE_PGM_RSRC2:TGID_Y_EN: 0
; COMPUTE_PGM_RSRC2:TGID_Z_EN: 1
; COMPUTE_PGM_RSRC2:TIDIG_COMP_CNT: 0
; COMPUTE_PGM_RSRC3_GFX90A:ACCUM_OFFSET: 3
; COMPUTE_PGM_RSRC3_GFX90A:TG_SPLIT: 0
	.section	.text._ZL24rocblas_dot_kernel_magsqIiLb1ELi1024ELi32ELb0EdPKfdEviT5_lT_liPT6_PT4_,"axG",@progbits,_ZL24rocblas_dot_kernel_magsqIiLb1ELi1024ELi32ELb0EdPKfdEviT5_lT_liPT6_PT4_,comdat
	.globl	_ZL24rocblas_dot_kernel_magsqIiLb1ELi1024ELi32ELb0EdPKfdEviT5_lT_liPT6_PT4_ ; -- Begin function _ZL24rocblas_dot_kernel_magsqIiLb1ELi1024ELi32ELb0EdPKfdEviT5_lT_liPT6_PT4_
	.p2align	8
	.type	_ZL24rocblas_dot_kernel_magsqIiLb1ELi1024ELi32ELb0EdPKfdEviT5_lT_liPT6_PT4_,@function
_ZL24rocblas_dot_kernel_magsqIiLb1ELi1024ELi32ELb0EdPKfdEviT5_lT_liPT6_PT4_: ; @_ZL24rocblas_dot_kernel_magsqIiLb1ELi1024ELi32ELb0EdPKfdEviT5_lT_liPT6_PT4_
; %bb.0:
	s_mov_b32 s2, s7
	s_load_dword s12, s[4:5], 0x0
	s_load_dwordx2 s[6:7], s[4:5], 0x38
	s_mov_b32 s3, 0
	v_pk_mov_b32 v[2:3], 0, 0
	s_waitcnt lgkmcnt(0)
	v_cmp_gt_i32_e32 vcc, s12, v0
	s_and_saveexec_b64 s[8:9], vcc
	s_cbranch_execz .LBB427_4
; %bb.1:
	s_load_dword s10, s[4:5], 0x40
	s_load_dwordx2 s[0:1], s[4:5], 0x20
	s_load_dwordx4 s[16:19], s[4:5], 0x8
	s_load_dword s11, s[4:5], 0x18
	s_waitcnt lgkmcnt(0)
	s_lshl_b32 s13, s10, 10
	s_mul_i32 s1, s1, s2
	s_mul_hi_u32 s4, s0, s2
	s_add_i32 s1, s4, s1
	s_mul_i32 s0, s0, s2
	v_mad_i64_i32 v[2:3], s[4:5], s11, v0, 0
	s_lshl_b64 s[0:1], s[0:1], 2
	s_lshl_b64 s[4:5], s[18:19], 2
	s_add_u32 s4, s16, s4
	s_addc_u32 s5, s17, s5
	s_add_u32 s0, s4, s0
	v_lshlrev_b64 v[2:3], 2, v[2:3]
	s_addc_u32 s1, s5, s1
	v_mov_b32_e32 v5, s1
	v_add_co_u32_e32 v4, vcc, s0, v2
	s_mul_hi_i32 s1, s11, s13
	s_mul_i32 s0, s11, s13
	s_lshl_b64 s[10:11], s[0:1], 2
	v_or_b32_e32 v1, s13, v0
	v_addc_co_u32_e32 v5, vcc, v5, v3, vcc
	s_mov_b64 s[4:5], 0
	v_pk_mov_b32 v[2:3], 0, 0
	v_mov_b32_e32 v6, s11
	s_mov_b32 s11, s3
.LBB427_2:                              ; =>This Inner Loop Header: Depth=1
	global_load_dword v7, v[4:5], off
	s_add_i32 s14, s11, 1
	v_add_co_u32_e64 v4, s[0:1], s10, v4
	v_addc_co_u32_e64 v5, s[0:1], v5, v6, s[0:1]
	s_cmp_gt_u32 s11, 30
	v_cmp_le_i32_e32 vcc, s12, v1
	s_cselect_b64 s[0:1], -1, 0
	s_or_b64 s[0:1], s[0:1], vcc
	s_and_b64 s[0:1], exec, s[0:1]
	v_add_u32_e32 v1, s13, v1
	s_mov_b32 s11, s14
	s_or_b64 s[4:5], s[0:1], s[4:5]
	s_waitcnt vmcnt(0)
	v_cvt_f64_f32_e32 v[8:9], v7
	v_fmac_f64_e32 v[2:3], v[8:9], v[8:9]
	s_andn2_b64 exec, exec, s[4:5]
	s_cbranch_execnz .LBB427_2
; %bb.3:
	s_or_b64 exec, exec, s[4:5]
.LBB427_4:
	s_or_b64 exec, exec, s[8:9]
	v_and_b32_e32 v6, 63, v0
	v_cmp_gt_u32_e32 vcc, 64, v0
	v_lshlrev_b32_e32 v1, 3, v6
	s_and_saveexec_b64 s[0:1], vcc
	s_cbranch_execz .LBB427_6
; %bb.5:
	v_mov_b32_e32 v4, 0
	v_mov_b32_e32 v5, v4
	ds_write_b64 v1, v[4:5]
.LBB427_6:
	s_or_b64 exec, exec, s[0:1]
	v_mbcnt_lo_u32_b32 v4, -1, 0
	v_mbcnt_hi_u32_b32 v10, -1, v4
	v_and_b32_e32 v11, 63, v10
	v_cmp_gt_u32_e64 s[0:1], 32, v11
	v_cndmask_b32_e64 v4, 0, 1, s[0:1]
	v_lshlrev_b32_e32 v4, 5, v4
	v_add_lshl_u32 v5, v4, v10, 2
	ds_bpermute_b32 v4, v5, v2
	ds_bpermute_b32 v5, v5, v3
	v_cmp_gt_u32_e64 s[0:1], 48, v11
	v_cndmask_b32_e64 v7, 0, 1, s[0:1]
	v_cmp_gt_u32_e64 s[0:1], 56, v11
	s_waitcnt lgkmcnt(0)
	v_add_f64 v[2:3], v[2:3], v[4:5]
	v_lshlrev_b32_e32 v4, 4, v7
	v_add_lshl_u32 v5, v4, v10, 2
	ds_bpermute_b32 v4, v5, v2
	ds_bpermute_b32 v5, v5, v3
	s_barrier
	s_waitcnt lgkmcnt(0)
	v_add_f64 v[2:3], v[2:3], v[4:5]
	v_cndmask_b32_e64 v4, 0, 1, s[0:1]
	v_lshlrev_b32_e32 v4, 3, v4
	v_add_lshl_u32 v7, v4, v10, 2
	ds_bpermute_b32 v4, v7, v2
	ds_bpermute_b32 v5, v7, v3
	v_cmp_gt_u32_e64 s[0:1], 60, v11
	s_waitcnt lgkmcnt(0)
	v_add_f64 v[2:3], v[2:3], v[4:5]
	v_cndmask_b32_e64 v4, 0, 1, s[0:1]
	v_lshlrev_b32_e32 v4, 2, v4
	v_add_lshl_u32 v8, v4, v10, 2
	ds_bpermute_b32 v4, v8, v2
	ds_bpermute_b32 v5, v8, v3
	v_cmp_gt_u32_e64 s[0:1], 62, v11
	s_waitcnt lgkmcnt(0)
	v_add_f64 v[2:3], v[2:3], v[4:5]
	v_cndmask_b32_e64 v4, 0, 1, s[0:1]
	v_lshlrev_b32_e32 v4, 1, v4
	v_add_lshl_u32 v9, v4, v10, 2
	ds_bpermute_b32 v4, v9, v2
	ds_bpermute_b32 v5, v9, v3
	v_cmp_ne_u32_e64 s[0:1], 63, v11
	s_waitcnt lgkmcnt(0)
	v_add_f64 v[2:3], v[2:3], v[4:5]
	v_addc_co_u32_e64 v4, s[0:1], 0, v10, s[0:1]
	v_lshlrev_b32_e32 v10, 2, v4
	ds_bpermute_b32 v4, v10, v2
	ds_bpermute_b32 v5, v10, v3
	v_cmp_eq_u32_e64 s[0:1], 0, v6
	s_and_saveexec_b64 s[4:5], s[0:1]
	s_cbranch_execz .LBB427_8
; %bb.7:
	s_waitcnt lgkmcnt(0)
	v_add_f64 v[2:3], v[2:3], v[4:5]
	v_lshrrev_b32_e32 v4, 3, v0
	v_and_b32_e32 v4, 0x78, v4
	ds_write_b64 v4, v[2:3]
.LBB427_8:
	s_or_b64 exec, exec, s[4:5]
	v_cmp_gt_u32_e64 s[0:1], 16, v0
	v_pk_mov_b32 v[2:3], 0, 0
	s_waitcnt lgkmcnt(0)
	s_barrier
	s_and_saveexec_b64 s[4:5], s[0:1]
	s_cbranch_execnz .LBB427_12
; %bb.9:
	s_or_b64 exec, exec, s[4:5]
	s_and_saveexec_b64 s[0:1], vcc
	s_cbranch_execnz .LBB427_13
.LBB427_10:
	s_or_b64 exec, exec, s[0:1]
	v_cmp_eq_u32_e32 vcc, 0, v0
	s_and_saveexec_b64 s[0:1], vcc
	s_cbranch_execnz .LBB427_14
.LBB427_11:
	s_endpgm
.LBB427_12:
	ds_read_b64 v[2:3], v1
	s_or_b64 exec, exec, s[4:5]
	s_and_saveexec_b64 s[0:1], vcc
	s_cbranch_execz .LBB427_10
.LBB427_13:
	s_waitcnt lgkmcnt(0)
	ds_bpermute_b32 v4, v7, v2
	ds_bpermute_b32 v5, v7, v3
	s_waitcnt lgkmcnt(0)
	v_add_f64 v[2:3], v[2:3], v[4:5]
	ds_bpermute_b32 v4, v8, v2
	ds_bpermute_b32 v5, v8, v3
	s_waitcnt lgkmcnt(0)
	v_add_f64 v[2:3], v[2:3], v[4:5]
	;; [unrolled: 4-line block ×4, first 2 shown]
	s_or_b64 exec, exec, s[0:1]
	v_cmp_eq_u32_e32 vcc, 0, v0
	s_and_saveexec_b64 s[0:1], vcc
	s_cbranch_execz .LBB427_11
.LBB427_14:
	s_lshl_b64 s[0:1], s[2:3], 3
	s_add_u32 s0, s6, s0
	s_addc_u32 s1, s7, s1
	v_mov_b32_e32 v0, 0
	s_waitcnt lgkmcnt(0)
	global_store_dwordx2 v0, v[2:3], s[0:1]
	s_endpgm
	.section	.rodata,"a",@progbits
	.p2align	6, 0x0
	.amdhsa_kernel _ZL24rocblas_dot_kernel_magsqIiLb1ELi1024ELi32ELb0EdPKfdEviT5_lT_liPT6_PT4_
		.amdhsa_group_segment_fixed_size 512
		.amdhsa_private_segment_fixed_size 0
		.amdhsa_kernarg_size 320
		.amdhsa_user_sgpr_count 6
		.amdhsa_user_sgpr_private_segment_buffer 1
		.amdhsa_user_sgpr_dispatch_ptr 0
		.amdhsa_user_sgpr_queue_ptr 0
		.amdhsa_user_sgpr_kernarg_segment_ptr 1
		.amdhsa_user_sgpr_dispatch_id 0
		.amdhsa_user_sgpr_flat_scratch_init 0
		.amdhsa_user_sgpr_kernarg_preload_length 0
		.amdhsa_user_sgpr_kernarg_preload_offset 0
		.amdhsa_user_sgpr_private_segment_size 0
		.amdhsa_uses_dynamic_stack 0
		.amdhsa_system_sgpr_private_segment_wavefront_offset 0
		.amdhsa_system_sgpr_workgroup_id_x 1
		.amdhsa_system_sgpr_workgroup_id_y 0
		.amdhsa_system_sgpr_workgroup_id_z 1
		.amdhsa_system_sgpr_workgroup_info 0
		.amdhsa_system_vgpr_workitem_id 0
		.amdhsa_next_free_vgpr 12
		.amdhsa_next_free_sgpr 20
		.amdhsa_accum_offset 12
		.amdhsa_reserve_vcc 1
		.amdhsa_reserve_flat_scratch 0
		.amdhsa_float_round_mode_32 0
		.amdhsa_float_round_mode_16_64 0
		.amdhsa_float_denorm_mode_32 3
		.amdhsa_float_denorm_mode_16_64 3
		.amdhsa_dx10_clamp 1
		.amdhsa_ieee_mode 1
		.amdhsa_fp16_overflow 0
		.amdhsa_tg_split 0
		.amdhsa_exception_fp_ieee_invalid_op 0
		.amdhsa_exception_fp_denorm_src 0
		.amdhsa_exception_fp_ieee_div_zero 0
		.amdhsa_exception_fp_ieee_overflow 0
		.amdhsa_exception_fp_ieee_underflow 0
		.amdhsa_exception_fp_ieee_inexact 0
		.amdhsa_exception_int_div_zero 0
	.end_amdhsa_kernel
	.section	.text._ZL24rocblas_dot_kernel_magsqIiLb1ELi1024ELi32ELb0EdPKfdEviT5_lT_liPT6_PT4_,"axG",@progbits,_ZL24rocblas_dot_kernel_magsqIiLb1ELi1024ELi32ELb0EdPKfdEviT5_lT_liPT6_PT4_,comdat
.Lfunc_end427:
	.size	_ZL24rocblas_dot_kernel_magsqIiLb1ELi1024ELi32ELb0EdPKfdEviT5_lT_liPT6_PT4_, .Lfunc_end427-_ZL24rocblas_dot_kernel_magsqIiLb1ELi1024ELi32ELb0EdPKfdEviT5_lT_liPT6_PT4_
                                        ; -- End function
	.section	.AMDGPU.csdata,"",@progbits
; Kernel info:
; codeLenInByte = 960
; NumSgprs: 24
; NumVgprs: 12
; NumAgprs: 0
; TotalNumVgprs: 12
; ScratchSize: 0
; MemoryBound: 0
; FloatMode: 240
; IeeeMode: 1
; LDSByteSize: 512 bytes/workgroup (compile time only)
; SGPRBlocks: 2
; VGPRBlocks: 1
; NumSGPRsForWavesPerEU: 24
; NumVGPRsForWavesPerEU: 12
; AccumOffset: 12
; Occupancy: 8
; WaveLimiterHint : 0
; COMPUTE_PGM_RSRC2:SCRATCH_EN: 0
; COMPUTE_PGM_RSRC2:USER_SGPR: 6
; COMPUTE_PGM_RSRC2:TRAP_HANDLER: 0
; COMPUTE_PGM_RSRC2:TGID_X_EN: 1
; COMPUTE_PGM_RSRC2:TGID_Y_EN: 0
; COMPUTE_PGM_RSRC2:TGID_Z_EN: 1
; COMPUTE_PGM_RSRC2:TIDIG_COMP_CNT: 0
; COMPUTE_PGM_RSRC3_GFX90A:ACCUM_OFFSET: 2
; COMPUTE_PGM_RSRC3_GFX90A:TG_SPLIT: 0
	.section	.text._ZL38rocblas_dot_kernel_gfx942_float_doubleIiLi1024EdPKfdEviT2_lT_lS2_lS3_lPT3_PT1_,"axG",@progbits,_ZL38rocblas_dot_kernel_gfx942_float_doubleIiLi1024EdPKfdEviT2_lT_lS2_lS3_lPT3_PT1_,comdat
	.globl	_ZL38rocblas_dot_kernel_gfx942_float_doubleIiLi1024EdPKfdEviT2_lT_lS2_lS3_lPT3_PT1_ ; -- Begin function _ZL38rocblas_dot_kernel_gfx942_float_doubleIiLi1024EdPKfdEviT2_lT_lS2_lS3_lPT3_PT1_
	.p2align	8
	.type	_ZL38rocblas_dot_kernel_gfx942_float_doubleIiLi1024EdPKfdEviT2_lT_lS2_lS3_lPT3_PT1_,@function
_ZL38rocblas_dot_kernel_gfx942_float_doubleIiLi1024EdPKfdEviT2_lT_lS2_lS3_lPT3_PT1_: ; @_ZL38rocblas_dot_kernel_gfx942_float_doubleIiLi1024EdPKfdEviT2_lT_lS2_lS3_lPT3_PT1_
; %bb.0:
	s_endpgm
	.section	.rodata,"a",@progbits
	.p2align	6, 0x0
	.amdhsa_kernel _ZL38rocblas_dot_kernel_gfx942_float_doubleIiLi1024EdPKfdEviT2_lT_lS2_lS3_lPT3_PT1_
		.amdhsa_group_segment_fixed_size 0
		.amdhsa_private_segment_fixed_size 0
		.amdhsa_kernarg_size 88
		.amdhsa_user_sgpr_count 6
		.amdhsa_user_sgpr_private_segment_buffer 1
		.amdhsa_user_sgpr_dispatch_ptr 0
		.amdhsa_user_sgpr_queue_ptr 0
		.amdhsa_user_sgpr_kernarg_segment_ptr 1
		.amdhsa_user_sgpr_dispatch_id 0
		.amdhsa_user_sgpr_flat_scratch_init 0
		.amdhsa_user_sgpr_kernarg_preload_length 0
		.amdhsa_user_sgpr_kernarg_preload_offset 0
		.amdhsa_user_sgpr_private_segment_size 0
		.amdhsa_uses_dynamic_stack 0
		.amdhsa_system_sgpr_private_segment_wavefront_offset 0
		.amdhsa_system_sgpr_workgroup_id_x 1
		.amdhsa_system_sgpr_workgroup_id_y 0
		.amdhsa_system_sgpr_workgroup_id_z 0
		.amdhsa_system_sgpr_workgroup_info 0
		.amdhsa_system_vgpr_workitem_id 0
		.amdhsa_next_free_vgpr 1
		.amdhsa_next_free_sgpr 0
		.amdhsa_accum_offset 4
		.amdhsa_reserve_vcc 0
		.amdhsa_reserve_flat_scratch 0
		.amdhsa_float_round_mode_32 0
		.amdhsa_float_round_mode_16_64 0
		.amdhsa_float_denorm_mode_32 3
		.amdhsa_float_denorm_mode_16_64 3
		.amdhsa_dx10_clamp 1
		.amdhsa_ieee_mode 1
		.amdhsa_fp16_overflow 0
		.amdhsa_tg_split 0
		.amdhsa_exception_fp_ieee_invalid_op 0
		.amdhsa_exception_fp_denorm_src 0
		.amdhsa_exception_fp_ieee_div_zero 0
		.amdhsa_exception_fp_ieee_overflow 0
		.amdhsa_exception_fp_ieee_underflow 0
		.amdhsa_exception_fp_ieee_inexact 0
		.amdhsa_exception_int_div_zero 0
	.end_amdhsa_kernel
	.section	.text._ZL38rocblas_dot_kernel_gfx942_float_doubleIiLi1024EdPKfdEviT2_lT_lS2_lS3_lPT3_PT1_,"axG",@progbits,_ZL38rocblas_dot_kernel_gfx942_float_doubleIiLi1024EdPKfdEviT2_lT_lS2_lS3_lPT3_PT1_,comdat
.Lfunc_end428:
	.size	_ZL38rocblas_dot_kernel_gfx942_float_doubleIiLi1024EdPKfdEviT2_lT_lS2_lS3_lPT3_PT1_, .Lfunc_end428-_ZL38rocblas_dot_kernel_gfx942_float_doubleIiLi1024EdPKfdEviT2_lT_lS2_lS3_lPT3_PT1_
                                        ; -- End function
	.section	.AMDGPU.csdata,"",@progbits
; Kernel info:
; codeLenInByte = 4
; NumSgprs: 4
; NumVgprs: 0
; NumAgprs: 0
; TotalNumVgprs: 0
; ScratchSize: 0
; MemoryBound: 0
; FloatMode: 240
; IeeeMode: 1
; LDSByteSize: 0 bytes/workgroup (compile time only)
; SGPRBlocks: 0
; VGPRBlocks: 0
; NumSGPRsForWavesPerEU: 4
; NumVGPRsForWavesPerEU: 1
; AccumOffset: 4
; Occupancy: 8
; WaveLimiterHint : 0
; COMPUTE_PGM_RSRC2:SCRATCH_EN: 0
; COMPUTE_PGM_RSRC2:USER_SGPR: 6
; COMPUTE_PGM_RSRC2:TRAP_HANDLER: 0
; COMPUTE_PGM_RSRC2:TGID_X_EN: 1
; COMPUTE_PGM_RSRC2:TGID_Y_EN: 0
; COMPUTE_PGM_RSRC2:TGID_Z_EN: 0
; COMPUTE_PGM_RSRC2:TIDIG_COMP_CNT: 0
; COMPUTE_PGM_RSRC3_GFX90A:ACCUM_OFFSET: 0
; COMPUTE_PGM_RSRC3_GFX90A:TG_SPLIT: 0
	.section	.text._ZL23rocblas_dot_kernel_inc1ILb0ELi512ELi2ELb0EdPKfdEviT4_llS2_lliPT5_PT3_,"axG",@progbits,_ZL23rocblas_dot_kernel_inc1ILb0ELi512ELi2ELb0EdPKfdEviT4_llS2_lliPT5_PT3_,comdat
	.globl	_ZL23rocblas_dot_kernel_inc1ILb0ELi512ELi2ELb0EdPKfdEviT4_llS2_lliPT5_PT3_ ; -- Begin function _ZL23rocblas_dot_kernel_inc1ILb0ELi512ELi2ELb0EdPKfdEviT4_llS2_lliPT5_PT3_
	.p2align	8
	.type	_ZL23rocblas_dot_kernel_inc1ILb0ELi512ELi2ELb0EdPKfdEviT4_llS2_lliPT5_PT3_,@function
_ZL23rocblas_dot_kernel_inc1ILb0ELi512ELi2ELb0EdPKfdEviT4_llS2_lliPT5_PT3_: ; @_ZL23rocblas_dot_kernel_inc1ILb0ELi512ELi2ELb0EdPKfdEviT4_llS2_lliPT5_PT3_
; %bb.0:
	s_mov_b32 s2, s7
	s_load_dword s7, s[4:5], 0x0
	s_load_dword s10, s[4:5], 0x50
	v_lshl_or_b32 v4, s6, 9, v0
	s_mov_b32 s3, 0
	v_pk_mov_b32 v[2:3], 0, 0
	s_waitcnt lgkmcnt(0)
	v_cmp_gt_i32_e32 vcc, s7, v4
	s_and_saveexec_b64 s[0:1], vcc
	s_cbranch_execz .LBB429_4
; %bb.1:
	s_load_dwordx4 s[12:15], s[4:5], 0x10
	s_load_dwordx2 s[8:9], s[4:5], 0x8
	s_load_dwordx2 s[20:21], s[4:5], 0x20
	s_load_dwordx4 s[16:19], s[4:5], 0x28
	v_ashrrev_i32_e32 v5, 31, v4
	s_waitcnt lgkmcnt(0)
	s_mul_i32 s11, s2, s15
	s_mul_hi_u32 s15, s2, s14
	s_add_i32 s15, s15, s11
	s_mul_i32 s14, s2, s14
	s_lshl_b64 s[14:15], s[14:15], 2
	s_add_u32 s11, s8, s14
	s_addc_u32 s14, s9, s15
	s_lshl_b64 s[8:9], s[12:13], 2
	s_add_u32 s11, s11, s8
	s_addc_u32 s12, s14, s9
	s_mul_i32 s8, s2, s19
	s_mul_hi_u32 s9, s2, s18
	s_add_i32 s9, s9, s8
	s_mul_i32 s8, s2, s18
	s_lshl_b64 s[8:9], s[8:9], 2
	s_add_u32 s13, s20, s8
	s_addc_u32 s14, s21, s9
	s_lshl_b64 s[8:9], s[16:17], 2
	s_add_u32 s13, s13, s8
	s_addc_u32 s14, s14, s9
	v_lshlrev_b64 v[2:3], 2, v[4:5]
	v_mov_b32_e32 v1, s14
	v_add_co_u32_e32 v4, vcc, s13, v2
	v_addc_co_u32_e32 v5, vcc, v1, v3, vcc
	v_mov_b32_e32 v1, s12
	v_add_co_u32_e32 v2, vcc, s11, v2
	v_addc_co_u32_e32 v3, vcc, v1, v3, vcc
	global_load_dword v1, v[2:3], off
	global_load_dword v6, v[4:5], off
	s_add_i32 s8, s6, s10
	v_lshl_or_b32 v4, s8, 9, v0
	v_cmp_gt_i32_e32 vcc, s7, v4
	s_waitcnt vmcnt(1)
	v_cvt_f64_f32_e32 v[2:3], v1
	s_waitcnt vmcnt(0)
	v_cvt_f64_f32_e32 v[6:7], v6
	v_fma_f64 v[2:3], v[6:7], v[2:3], 0
	s_and_saveexec_b64 s[8:9], vcc
	s_cbranch_execz .LBB429_3
; %bb.2:
	v_ashrrev_i32_e32 v5, 31, v4
	v_lshlrev_b64 v[4:5], 2, v[4:5]
	v_mov_b32_e32 v1, s14
	v_add_co_u32_e32 v6, vcc, s13, v4
	v_addc_co_u32_e32 v7, vcc, v1, v5, vcc
	global_load_dword v1, v[6:7], off
	v_mov_b32_e32 v6, s12
	v_add_co_u32_e32 v4, vcc, s11, v4
	v_addc_co_u32_e32 v5, vcc, v6, v5, vcc
	global_load_dword v6, v[4:5], off
	s_waitcnt vmcnt(1)
	v_cvt_f64_f32_e32 v[4:5], v1
	s_waitcnt vmcnt(0)
	v_cvt_f64_f32_e32 v[6:7], v6
	v_fmac_f64_e32 v[2:3], v[4:5], v[6:7]
.LBB429_3:
	s_or_b64 exec, exec, s[8:9]
.LBB429_4:
	s_or_b64 exec, exec, s[0:1]
	v_and_b32_e32 v6, 63, v0
	v_cmp_gt_u32_e32 vcc, 64, v0
	v_lshlrev_b32_e32 v1, 3, v6
	s_and_saveexec_b64 s[0:1], vcc
	s_cbranch_execz .LBB429_6
; %bb.5:
	v_mov_b32_e32 v4, 0
	v_mov_b32_e32 v5, v4
	ds_write_b64 v1, v[4:5]
.LBB429_6:
	s_or_b64 exec, exec, s[0:1]
	v_mbcnt_lo_u32_b32 v4, -1, 0
	v_mbcnt_hi_u32_b32 v9, -1, v4
	v_and_b32_e32 v10, 63, v9
	v_cmp_gt_u32_e64 s[0:1], 32, v10
	v_cndmask_b32_e64 v4, 0, 1, s[0:1]
	v_lshlrev_b32_e32 v4, 5, v4
	v_add_lshl_u32 v5, v4, v9, 2
	ds_bpermute_b32 v4, v5, v2
	ds_bpermute_b32 v5, v5, v3
	v_cmp_gt_u32_e64 s[0:1], 48, v10
	v_cndmask_b32_e64 v7, 0, 1, s[0:1]
	v_cmp_gt_u32_e64 s[0:1], 56, v10
	s_waitcnt lgkmcnt(0)
	v_add_f64 v[2:3], v[2:3], v[4:5]
	v_lshlrev_b32_e32 v4, 4, v7
	v_add_lshl_u32 v5, v4, v9, 2
	ds_bpermute_b32 v4, v5, v2
	ds_bpermute_b32 v5, v5, v3
	s_barrier
	s_waitcnt lgkmcnt(0)
	v_add_f64 v[2:3], v[2:3], v[4:5]
	v_cndmask_b32_e64 v4, 0, 1, s[0:1]
	v_lshlrev_b32_e32 v4, 3, v4
	v_add_lshl_u32 v5, v4, v9, 2
	ds_bpermute_b32 v4, v5, v2
	ds_bpermute_b32 v5, v5, v3
	v_cmp_gt_u32_e64 s[0:1], 60, v10
	s_waitcnt lgkmcnt(0)
	v_add_f64 v[2:3], v[2:3], v[4:5]
	v_cndmask_b32_e64 v4, 0, 1, s[0:1]
	v_lshlrev_b32_e32 v4, 2, v4
	v_add_lshl_u32 v7, v4, v9, 2
	ds_bpermute_b32 v4, v7, v2
	ds_bpermute_b32 v5, v7, v3
	v_cmp_gt_u32_e64 s[0:1], 62, v10
	s_waitcnt lgkmcnt(0)
	v_add_f64 v[2:3], v[2:3], v[4:5]
	v_cndmask_b32_e64 v4, 0, 1, s[0:1]
	v_lshlrev_b32_e32 v4, 1, v4
	v_add_lshl_u32 v8, v4, v9, 2
	ds_bpermute_b32 v4, v8, v2
	ds_bpermute_b32 v5, v8, v3
	v_cmp_ne_u32_e64 s[0:1], 63, v10
	s_waitcnt lgkmcnt(0)
	v_add_f64 v[2:3], v[2:3], v[4:5]
	v_addc_co_u32_e64 v4, s[0:1], 0, v9, s[0:1]
	v_lshlrev_b32_e32 v9, 2, v4
	ds_bpermute_b32 v4, v9, v2
	ds_bpermute_b32 v5, v9, v3
	v_cmp_eq_u32_e64 s[0:1], 0, v6
	s_and_saveexec_b64 s[8:9], s[0:1]
	s_cbranch_execz .LBB429_8
; %bb.7:
	s_waitcnt lgkmcnt(0)
	v_add_f64 v[2:3], v[2:3], v[4:5]
	v_lshrrev_b32_e32 v4, 3, v0
	v_and_b32_e32 v4, 56, v4
	ds_write_b64 v4, v[2:3]
.LBB429_8:
	s_or_b64 exec, exec, s[8:9]
	v_cmp_gt_u32_e64 s[0:1], 8, v0
	v_pk_mov_b32 v[2:3], 0, 0
	s_waitcnt lgkmcnt(0)
	s_barrier
	s_and_saveexec_b64 s[8:9], s[0:1]
	s_cbranch_execnz .LBB429_12
; %bb.9:
	s_or_b64 exec, exec, s[8:9]
	s_and_saveexec_b64 s[0:1], vcc
	s_cbranch_execnz .LBB429_13
.LBB429_10:
	s_or_b64 exec, exec, s[0:1]
	v_cmp_eq_u32_e32 vcc, 0, v0
	s_and_saveexec_b64 s[0:1], vcc
	s_cbranch_execnz .LBB429_14
.LBB429_11:
	s_endpgm
.LBB429_12:
	ds_read_b64 v[2:3], v1
	s_or_b64 exec, exec, s[8:9]
	s_and_saveexec_b64 s[0:1], vcc
	s_cbranch_execz .LBB429_10
.LBB429_13:
	s_waitcnt lgkmcnt(0)
	ds_bpermute_b32 v4, v7, v2
	ds_bpermute_b32 v5, v7, v3
	s_waitcnt lgkmcnt(0)
	v_add_f64 v[2:3], v[2:3], v[4:5]
	ds_bpermute_b32 v4, v8, v2
	ds_bpermute_b32 v5, v8, v3
	s_waitcnt lgkmcnt(0)
	v_add_f64 v[2:3], v[2:3], v[4:5]
	;; [unrolled: 4-line block ×3, first 2 shown]
	s_or_b64 exec, exec, s[0:1]
	v_cmp_eq_u32_e32 vcc, 0, v0
	s_and_saveexec_b64 s[0:1], vcc
	s_cbranch_execz .LBB429_11
.LBB429_14:
	s_cmp_lg_u32 s10, 1
	s_cbranch_scc0 .LBB429_16
; %bb.15:
	s_load_dwordx2 s[0:1], s[4:5], 0x40
	s_mul_hi_u32 s9, s10, s2
	s_mul_i32 s8, s10, s2
	s_lshl_b64 s[8:9], s[8:9], 3
	s_mov_b32 s7, 0
	s_waitcnt lgkmcnt(0)
	s_add_u32 s8, s0, s8
	s_addc_u32 s9, s1, s9
	s_lshl_b64 s[0:1], s[6:7], 3
	s_add_u32 s0, s8, s0
	s_addc_u32 s1, s9, s1
	s_cbranch_execz .LBB429_17
	s_branch .LBB429_18
.LBB429_16:
                                        ; implicit-def: $sgpr0_sgpr1
.LBB429_17:
	s_load_dwordx2 s[0:1], s[4:5], 0x48
	s_lshl_b64 s[2:3], s[2:3], 3
	s_waitcnt lgkmcnt(0)
	s_add_u32 s0, s0, s2
	s_addc_u32 s1, s1, s3
.LBB429_18:
	v_mov_b32_e32 v0, 0
	s_waitcnt lgkmcnt(0)
	global_store_dwordx2 v0, v[2:3], s[0:1]
	s_endpgm
	.section	.rodata,"a",@progbits
	.p2align	6, 0x0
	.amdhsa_kernel _ZL23rocblas_dot_kernel_inc1ILb0ELi512ELi2ELb0EdPKfdEviT4_llS2_lliPT5_PT3_
		.amdhsa_group_segment_fixed_size 512
		.amdhsa_private_segment_fixed_size 0
		.amdhsa_kernarg_size 336
		.amdhsa_user_sgpr_count 6
		.amdhsa_user_sgpr_private_segment_buffer 1
		.amdhsa_user_sgpr_dispatch_ptr 0
		.amdhsa_user_sgpr_queue_ptr 0
		.amdhsa_user_sgpr_kernarg_segment_ptr 1
		.amdhsa_user_sgpr_dispatch_id 0
		.amdhsa_user_sgpr_flat_scratch_init 0
		.amdhsa_user_sgpr_kernarg_preload_length 0
		.amdhsa_user_sgpr_kernarg_preload_offset 0
		.amdhsa_user_sgpr_private_segment_size 0
		.amdhsa_uses_dynamic_stack 0
		.amdhsa_system_sgpr_private_segment_wavefront_offset 0
		.amdhsa_system_sgpr_workgroup_id_x 1
		.amdhsa_system_sgpr_workgroup_id_y 0
		.amdhsa_system_sgpr_workgroup_id_z 1
		.amdhsa_system_sgpr_workgroup_info 0
		.amdhsa_system_vgpr_workitem_id 0
		.amdhsa_next_free_vgpr 11
		.amdhsa_next_free_sgpr 22
		.amdhsa_accum_offset 12
		.amdhsa_reserve_vcc 1
		.amdhsa_reserve_flat_scratch 0
		.amdhsa_float_round_mode_32 0
		.amdhsa_float_round_mode_16_64 0
		.amdhsa_float_denorm_mode_32 3
		.amdhsa_float_denorm_mode_16_64 3
		.amdhsa_dx10_clamp 1
		.amdhsa_ieee_mode 1
		.amdhsa_fp16_overflow 0
		.amdhsa_tg_split 0
		.amdhsa_exception_fp_ieee_invalid_op 0
		.amdhsa_exception_fp_denorm_src 0
		.amdhsa_exception_fp_ieee_div_zero 0
		.amdhsa_exception_fp_ieee_overflow 0
		.amdhsa_exception_fp_ieee_underflow 0
		.amdhsa_exception_fp_ieee_inexact 0
		.amdhsa_exception_int_div_zero 0
	.end_amdhsa_kernel
	.section	.text._ZL23rocblas_dot_kernel_inc1ILb0ELi512ELi2ELb0EdPKfdEviT4_llS2_lliPT5_PT3_,"axG",@progbits,_ZL23rocblas_dot_kernel_inc1ILb0ELi512ELi2ELb0EdPKfdEviT4_llS2_lliPT5_PT3_,comdat
.Lfunc_end429:
	.size	_ZL23rocblas_dot_kernel_inc1ILb0ELi512ELi2ELb0EdPKfdEviT4_llS2_lliPT5_PT3_, .Lfunc_end429-_ZL23rocblas_dot_kernel_inc1ILb0ELi512ELi2ELb0EdPKfdEviT4_llS2_lliPT5_PT3_
                                        ; -- End function
	.section	.AMDGPU.csdata,"",@progbits
; Kernel info:
; codeLenInByte = 1076
; NumSgprs: 26
; NumVgprs: 11
; NumAgprs: 0
; TotalNumVgprs: 11
; ScratchSize: 0
; MemoryBound: 0
; FloatMode: 240
; IeeeMode: 1
; LDSByteSize: 512 bytes/workgroup (compile time only)
; SGPRBlocks: 3
; VGPRBlocks: 1
; NumSGPRsForWavesPerEU: 26
; NumVGPRsForWavesPerEU: 11
; AccumOffset: 12
; Occupancy: 8
; WaveLimiterHint : 0
; COMPUTE_PGM_RSRC2:SCRATCH_EN: 0
; COMPUTE_PGM_RSRC2:USER_SGPR: 6
; COMPUTE_PGM_RSRC2:TRAP_HANDLER: 0
; COMPUTE_PGM_RSRC2:TGID_X_EN: 1
; COMPUTE_PGM_RSRC2:TGID_Y_EN: 0
; COMPUTE_PGM_RSRC2:TGID_Z_EN: 1
; COMPUTE_PGM_RSRC2:TIDIG_COMP_CNT: 0
; COMPUTE_PGM_RSRC3_GFX90A:ACCUM_OFFSET: 2
; COMPUTE_PGM_RSRC3_GFX90A:TG_SPLIT: 0
	.section	.text._ZL18rocblas_dot_kernelIiLb0ELi512ELi2ELb0EdPKfdEviT5_lT_lS2_lS3_liPT6_PT4_,"axG",@progbits,_ZL18rocblas_dot_kernelIiLb0ELi512ELi2ELb0EdPKfdEviT5_lT_lS2_lS3_liPT6_PT4_,comdat
	.globl	_ZL18rocblas_dot_kernelIiLb0ELi512ELi2ELb0EdPKfdEviT5_lT_lS2_lS3_liPT6_PT4_ ; -- Begin function _ZL18rocblas_dot_kernelIiLb0ELi512ELi2ELb0EdPKfdEviT5_lT_lS2_lS3_liPT6_PT4_
	.p2align	8
	.type	_ZL18rocblas_dot_kernelIiLb0ELi512ELi2ELb0EdPKfdEviT5_lT_lS2_lS3_liPT6_PT4_,@function
_ZL18rocblas_dot_kernelIiLb0ELi512ELi2ELb0EdPKfdEviT5_lT_lS2_lS3_liPT6_PT4_: ; @_ZL18rocblas_dot_kernelIiLb0ELi512ELi2ELb0EdPKfdEviT5_lT_lS2_lS3_liPT6_PT4_
; %bb.0:
	s_mov_b32 s2, s7
	s_load_dword s7, s[4:5], 0x0
	s_load_dword s10, s[4:5], 0x60
	v_lshl_or_b32 v1, s6, 9, v0
	s_mov_b32 s3, 0
	v_pk_mov_b32 v[2:3], 0, 0
	s_waitcnt lgkmcnt(0)
	v_cmp_gt_i32_e32 vcc, s7, v1
	s_and_saveexec_b64 s[0:1], vcc
	s_cbranch_execz .LBB430_4
; %bb.1:
	s_load_dwordx4 s[16:19], s[4:5], 0x20
	s_load_dwordx4 s[20:23], s[4:5], 0x8
	s_load_dword s11, s[4:5], 0x18
	s_load_dwordx2 s[8:9], s[4:5], 0x30
	s_load_dword s14, s[4:5], 0x38
	s_load_dwordx2 s[24:25], s[4:5], 0x40
	s_waitcnt lgkmcnt(0)
	s_mul_i32 s12, s2, s17
	s_mul_hi_u32 s13, s2, s16
	s_add_i32 s13, s13, s12
	s_mul_i32 s12, s2, s16
	s_lshl_b64 s[12:13], s[12:13], 2
	s_add_u32 s15, s20, s12
	s_addc_u32 s16, s21, s13
	s_lshl_b64 s[12:13], s[22:23], 2
	s_add_u32 s12, s15, s12
	s_addc_u32 s13, s16, s13
	s_mul_i32 s15, s2, s25
	s_mul_hi_u32 s16, s2, s24
	s_add_i32 s17, s16, s15
	s_mul_i32 s16, s2, s24
	s_lshl_b64 s[16:17], s[16:17], 2
	s_add_u32 s15, s18, s16
	s_addc_u32 s16, s19, s17
	s_lshl_b64 s[8:9], s[8:9], 2
	s_add_u32 s15, s15, s8
	s_addc_u32 s16, s16, s9
	v_mad_i64_i32 v[2:3], s[8:9], v1, s14, 0
	v_lshlrev_b64 v[2:3], 2, v[2:3]
	v_mov_b32_e32 v4, s16
	v_add_co_u32_e32 v2, vcc, s15, v2
	v_addc_co_u32_e32 v3, vcc, v4, v3, vcc
	v_mad_i64_i32 v[4:5], s[8:9], v1, s11, 0
	v_lshlrev_b64 v[4:5], 2, v[4:5]
	v_mov_b32_e32 v1, s13
	v_add_co_u32_e32 v4, vcc, s12, v4
	v_addc_co_u32_e32 v5, vcc, v1, v5, vcc
	global_load_dword v6, v[4:5], off
	global_load_dword v7, v[2:3], off
	s_add_i32 s8, s6, s10
	v_lshl_or_b32 v1, s8, 9, v0
	v_cmp_gt_i32_e32 vcc, s7, v1
	s_waitcnt vmcnt(1)
	v_cvt_f64_f32_e32 v[2:3], v6
	s_waitcnt vmcnt(0)
	v_cvt_f64_f32_e32 v[4:5], v7
	v_fma_f64 v[2:3], v[4:5], v[2:3], 0
	s_and_saveexec_b64 s[8:9], vcc
	s_cbranch_execz .LBB430_3
; %bb.2:
	v_mad_i64_i32 v[4:5], s[18:19], v1, s14, 0
	v_lshlrev_b64 v[4:5], 2, v[4:5]
	v_mov_b32_e32 v6, s16
	v_add_co_u32_e32 v4, vcc, s15, v4
	v_addc_co_u32_e32 v5, vcc, v6, v5, vcc
	global_load_dword v6, v[4:5], off
	v_mad_i64_i32 v[4:5], s[14:15], v1, s11, 0
	v_lshlrev_b64 v[4:5], 2, v[4:5]
	v_mov_b32_e32 v1, s13
	v_add_co_u32_e32 v4, vcc, s12, v4
	v_addc_co_u32_e32 v5, vcc, v1, v5, vcc
	global_load_dword v1, v[4:5], off
	s_waitcnt vmcnt(1)
	v_cvt_f64_f32_e32 v[4:5], v6
	s_waitcnt vmcnt(0)
	v_cvt_f64_f32_e32 v[6:7], v1
	v_fmac_f64_e32 v[2:3], v[4:5], v[6:7]
.LBB430_3:
	s_or_b64 exec, exec, s[8:9]
.LBB430_4:
	s_or_b64 exec, exec, s[0:1]
	v_and_b32_e32 v6, 63, v0
	v_cmp_gt_u32_e32 vcc, 64, v0
	v_lshlrev_b32_e32 v1, 3, v6
	s_and_saveexec_b64 s[0:1], vcc
	s_cbranch_execz .LBB430_6
; %bb.5:
	v_mov_b32_e32 v4, 0
	v_mov_b32_e32 v5, v4
	ds_write_b64 v1, v[4:5]
.LBB430_6:
	s_or_b64 exec, exec, s[0:1]
	v_mbcnt_lo_u32_b32 v4, -1, 0
	v_mbcnt_hi_u32_b32 v9, -1, v4
	v_and_b32_e32 v10, 63, v9
	v_cmp_gt_u32_e64 s[0:1], 32, v10
	v_cndmask_b32_e64 v4, 0, 1, s[0:1]
	v_lshlrev_b32_e32 v4, 5, v4
	v_add_lshl_u32 v5, v4, v9, 2
	ds_bpermute_b32 v4, v5, v2
	ds_bpermute_b32 v5, v5, v3
	v_cmp_gt_u32_e64 s[0:1], 48, v10
	v_cndmask_b32_e64 v7, 0, 1, s[0:1]
	v_cmp_gt_u32_e64 s[0:1], 56, v10
	s_waitcnt lgkmcnt(0)
	v_add_f64 v[2:3], v[2:3], v[4:5]
	v_lshlrev_b32_e32 v4, 4, v7
	v_add_lshl_u32 v5, v4, v9, 2
	ds_bpermute_b32 v4, v5, v2
	ds_bpermute_b32 v5, v5, v3
	s_barrier
	s_waitcnt lgkmcnt(0)
	v_add_f64 v[2:3], v[2:3], v[4:5]
	v_cndmask_b32_e64 v4, 0, 1, s[0:1]
	v_lshlrev_b32_e32 v4, 3, v4
	v_add_lshl_u32 v5, v4, v9, 2
	ds_bpermute_b32 v4, v5, v2
	ds_bpermute_b32 v5, v5, v3
	v_cmp_gt_u32_e64 s[0:1], 60, v10
	s_waitcnt lgkmcnt(0)
	v_add_f64 v[2:3], v[2:3], v[4:5]
	v_cndmask_b32_e64 v4, 0, 1, s[0:1]
	v_lshlrev_b32_e32 v4, 2, v4
	v_add_lshl_u32 v7, v4, v9, 2
	ds_bpermute_b32 v4, v7, v2
	ds_bpermute_b32 v5, v7, v3
	v_cmp_gt_u32_e64 s[0:1], 62, v10
	s_waitcnt lgkmcnt(0)
	v_add_f64 v[2:3], v[2:3], v[4:5]
	v_cndmask_b32_e64 v4, 0, 1, s[0:1]
	v_lshlrev_b32_e32 v4, 1, v4
	v_add_lshl_u32 v8, v4, v9, 2
	ds_bpermute_b32 v4, v8, v2
	ds_bpermute_b32 v5, v8, v3
	v_cmp_ne_u32_e64 s[0:1], 63, v10
	s_waitcnt lgkmcnt(0)
	v_add_f64 v[2:3], v[2:3], v[4:5]
	v_addc_co_u32_e64 v4, s[0:1], 0, v9, s[0:1]
	v_lshlrev_b32_e32 v9, 2, v4
	ds_bpermute_b32 v4, v9, v2
	ds_bpermute_b32 v5, v9, v3
	v_cmp_eq_u32_e64 s[0:1], 0, v6
	s_and_saveexec_b64 s[8:9], s[0:1]
	s_cbranch_execz .LBB430_8
; %bb.7:
	s_waitcnt lgkmcnt(0)
	v_add_f64 v[2:3], v[2:3], v[4:5]
	v_lshrrev_b32_e32 v4, 3, v0
	v_and_b32_e32 v4, 56, v4
	ds_write_b64 v4, v[2:3]
.LBB430_8:
	s_or_b64 exec, exec, s[8:9]
	v_cmp_gt_u32_e64 s[0:1], 8, v0
	v_pk_mov_b32 v[2:3], 0, 0
	s_waitcnt lgkmcnt(0)
	s_barrier
	s_and_saveexec_b64 s[8:9], s[0:1]
	s_cbranch_execnz .LBB430_12
; %bb.9:
	s_or_b64 exec, exec, s[8:9]
	s_and_saveexec_b64 s[0:1], vcc
	s_cbranch_execnz .LBB430_13
.LBB430_10:
	s_or_b64 exec, exec, s[0:1]
	v_cmp_eq_u32_e32 vcc, 0, v0
	s_and_saveexec_b64 s[0:1], vcc
	s_cbranch_execnz .LBB430_14
.LBB430_11:
	s_endpgm
.LBB430_12:
	ds_read_b64 v[2:3], v1
	s_or_b64 exec, exec, s[8:9]
	s_and_saveexec_b64 s[0:1], vcc
	s_cbranch_execz .LBB430_10
.LBB430_13:
	s_waitcnt lgkmcnt(0)
	ds_bpermute_b32 v4, v7, v2
	ds_bpermute_b32 v5, v7, v3
	s_waitcnt lgkmcnt(0)
	v_add_f64 v[2:3], v[2:3], v[4:5]
	ds_bpermute_b32 v4, v8, v2
	ds_bpermute_b32 v5, v8, v3
	s_waitcnt lgkmcnt(0)
	v_add_f64 v[2:3], v[2:3], v[4:5]
	;; [unrolled: 4-line block ×3, first 2 shown]
	s_or_b64 exec, exec, s[0:1]
	v_cmp_eq_u32_e32 vcc, 0, v0
	s_and_saveexec_b64 s[0:1], vcc
	s_cbranch_execz .LBB430_11
.LBB430_14:
	s_cmp_lg_u32 s10, 1
	s_cbranch_scc0 .LBB430_16
; %bb.15:
	s_load_dwordx2 s[0:1], s[4:5], 0x50
	s_mul_hi_u32 s9, s10, s2
	s_mul_i32 s8, s10, s2
	s_lshl_b64 s[8:9], s[8:9], 3
	s_mov_b32 s7, 0
	s_waitcnt lgkmcnt(0)
	s_add_u32 s8, s0, s8
	s_addc_u32 s9, s1, s9
	s_lshl_b64 s[0:1], s[6:7], 3
	s_add_u32 s0, s8, s0
	s_addc_u32 s1, s9, s1
	s_cbranch_execz .LBB430_17
	s_branch .LBB430_18
.LBB430_16:
                                        ; implicit-def: $sgpr0_sgpr1
.LBB430_17:
	s_load_dwordx2 s[0:1], s[4:5], 0x58
	s_lshl_b64 s[2:3], s[2:3], 3
	s_waitcnt lgkmcnt(0)
	s_add_u32 s0, s0, s2
	s_addc_u32 s1, s1, s3
.LBB430_18:
	v_mov_b32_e32 v0, 0
	s_waitcnt lgkmcnt(0)
	global_store_dwordx2 v0, v[2:3], s[0:1]
	s_endpgm
	.section	.rodata,"a",@progbits
	.p2align	6, 0x0
	.amdhsa_kernel _ZL18rocblas_dot_kernelIiLb0ELi512ELi2ELb0EdPKfdEviT5_lT_lS2_lS3_liPT6_PT4_
		.amdhsa_group_segment_fixed_size 512
		.amdhsa_private_segment_fixed_size 0
		.amdhsa_kernarg_size 352
		.amdhsa_user_sgpr_count 6
		.amdhsa_user_sgpr_private_segment_buffer 1
		.amdhsa_user_sgpr_dispatch_ptr 0
		.amdhsa_user_sgpr_queue_ptr 0
		.amdhsa_user_sgpr_kernarg_segment_ptr 1
		.amdhsa_user_sgpr_dispatch_id 0
		.amdhsa_user_sgpr_flat_scratch_init 0
		.amdhsa_user_sgpr_kernarg_preload_length 0
		.amdhsa_user_sgpr_kernarg_preload_offset 0
		.amdhsa_user_sgpr_private_segment_size 0
		.amdhsa_uses_dynamic_stack 0
		.amdhsa_system_sgpr_private_segment_wavefront_offset 0
		.amdhsa_system_sgpr_workgroup_id_x 1
		.amdhsa_system_sgpr_workgroup_id_y 0
		.amdhsa_system_sgpr_workgroup_id_z 1
		.amdhsa_system_sgpr_workgroup_info 0
		.amdhsa_system_vgpr_workitem_id 0
		.amdhsa_next_free_vgpr 11
		.amdhsa_next_free_sgpr 26
		.amdhsa_accum_offset 12
		.amdhsa_reserve_vcc 1
		.amdhsa_reserve_flat_scratch 0
		.amdhsa_float_round_mode_32 0
		.amdhsa_float_round_mode_16_64 0
		.amdhsa_float_denorm_mode_32 3
		.amdhsa_float_denorm_mode_16_64 3
		.amdhsa_dx10_clamp 1
		.amdhsa_ieee_mode 1
		.amdhsa_fp16_overflow 0
		.amdhsa_tg_split 0
		.amdhsa_exception_fp_ieee_invalid_op 0
		.amdhsa_exception_fp_denorm_src 0
		.amdhsa_exception_fp_ieee_div_zero 0
		.amdhsa_exception_fp_ieee_overflow 0
		.amdhsa_exception_fp_ieee_underflow 0
		.amdhsa_exception_fp_ieee_inexact 0
		.amdhsa_exception_int_div_zero 0
	.end_amdhsa_kernel
	.section	.text._ZL18rocblas_dot_kernelIiLb0ELi512ELi2ELb0EdPKfdEviT5_lT_lS2_lS3_liPT6_PT4_,"axG",@progbits,_ZL18rocblas_dot_kernelIiLb0ELi512ELi2ELb0EdPKfdEviT5_lT_lS2_lS3_liPT6_PT4_,comdat
.Lfunc_end430:
	.size	_ZL18rocblas_dot_kernelIiLb0ELi512ELi2ELb0EdPKfdEviT5_lT_lS2_lS3_liPT6_PT4_, .Lfunc_end430-_ZL18rocblas_dot_kernelIiLb0ELi512ELi2ELb0EdPKfdEviT5_lT_lS2_lS3_liPT6_PT4_
                                        ; -- End function
	.section	.AMDGPU.csdata,"",@progbits
; Kernel info:
; codeLenInByte = 1132
; NumSgprs: 30
; NumVgprs: 11
; NumAgprs: 0
; TotalNumVgprs: 11
; ScratchSize: 0
; MemoryBound: 0
; FloatMode: 240
; IeeeMode: 1
; LDSByteSize: 512 bytes/workgroup (compile time only)
; SGPRBlocks: 3
; VGPRBlocks: 1
; NumSGPRsForWavesPerEU: 30
; NumVGPRsForWavesPerEU: 11
; AccumOffset: 12
; Occupancy: 8
; WaveLimiterHint : 0
; COMPUTE_PGM_RSRC2:SCRATCH_EN: 0
; COMPUTE_PGM_RSRC2:USER_SGPR: 6
; COMPUTE_PGM_RSRC2:TRAP_HANDLER: 0
; COMPUTE_PGM_RSRC2:TGID_X_EN: 1
; COMPUTE_PGM_RSRC2:TGID_Y_EN: 0
; COMPUTE_PGM_RSRC2:TGID_Z_EN: 1
; COMPUTE_PGM_RSRC2:TIDIG_COMP_CNT: 0
; COMPUTE_PGM_RSRC3_GFX90A:ACCUM_OFFSET: 2
; COMPUTE_PGM_RSRC3_GFX90A:TG_SPLIT: 0
	.section	.text._ZL24rocblas_dot_kernel_magsqIiLb0ELi512ELi2ELb0EdPKfdEviT5_lT_liPT6_PT4_,"axG",@progbits,_ZL24rocblas_dot_kernel_magsqIiLb0ELi512ELi2ELb0EdPKfdEviT5_lT_liPT6_PT4_,comdat
	.globl	_ZL24rocblas_dot_kernel_magsqIiLb0ELi512ELi2ELb0EdPKfdEviT5_lT_liPT6_PT4_ ; -- Begin function _ZL24rocblas_dot_kernel_magsqIiLb0ELi512ELi2ELb0EdPKfdEviT5_lT_liPT6_PT4_
	.p2align	8
	.type	_ZL24rocblas_dot_kernel_magsqIiLb0ELi512ELi2ELb0EdPKfdEviT5_lT_liPT6_PT4_,@function
_ZL24rocblas_dot_kernel_magsqIiLb0ELi512ELi2ELb0EdPKfdEviT5_lT_liPT6_PT4_: ; @_ZL24rocblas_dot_kernel_magsqIiLb0ELi512ELi2ELb0EdPKfdEviT5_lT_liPT6_PT4_
; %bb.0:
	s_mov_b32 s2, s7
	s_load_dword s7, s[4:5], 0x0
	s_load_dword s10, s[4:5], 0x40
	v_lshl_or_b32 v1, s6, 9, v0
	s_mov_b32 s3, 0
	v_pk_mov_b32 v[2:3], 0, 0
	s_waitcnt lgkmcnt(0)
	v_cmp_gt_i32_e32 vcc, s7, v1
	s_and_saveexec_b64 s[0:1], vcc
	s_cbranch_execz .LBB431_4
; %bb.1:
	s_load_dwordx2 s[8:9], s[4:5], 0x20
	s_load_dwordx4 s[12:15], s[4:5], 0x8
	s_load_dword s11, s[4:5], 0x18
	s_waitcnt lgkmcnt(0)
	s_mul_i32 s9, s2, s9
	s_mul_hi_u32 s16, s2, s8
	s_mul_i32 s8, s2, s8
	s_add_i32 s9, s16, s9
	s_lshl_b64 s[8:9], s[8:9], 2
	s_add_u32 s12, s12, s8
	s_addc_u32 s13, s13, s9
	s_lshl_b64 s[8:9], s[14:15], 2
	s_add_u32 s12, s12, s8
	s_addc_u32 s13, s13, s9
	v_mad_i64_i32 v[2:3], s[8:9], v1, s11, 0
	v_lshlrev_b64 v[2:3], 2, v[2:3]
	v_mov_b32_e32 v1, s13
	v_add_co_u32_e32 v2, vcc, s12, v2
	v_addc_co_u32_e32 v3, vcc, v1, v3, vcc
	global_load_dword v2, v[2:3], off
	s_add_i32 s8, s6, s10
	v_lshl_or_b32 v1, s8, 9, v0
	v_cmp_gt_i32_e32 vcc, s7, v1
	s_waitcnt vmcnt(0)
	v_cvt_f64_f32_e32 v[2:3], v2
	v_mul_f64 v[2:3], v[2:3], v[2:3]
	s_and_saveexec_b64 s[8:9], vcc
	s_cbranch_execz .LBB431_3
; %bb.2:
	v_mad_i64_i32 v[4:5], s[14:15], v1, s11, 0
	v_lshlrev_b64 v[4:5], 2, v[4:5]
	v_mov_b32_e32 v1, s13
	v_add_co_u32_e32 v4, vcc, s12, v4
	v_addc_co_u32_e32 v5, vcc, v1, v5, vcc
	global_load_dword v1, v[4:5], off
	s_waitcnt vmcnt(0)
	v_cvt_f64_f32_e32 v[4:5], v1
	v_fmac_f64_e32 v[2:3], v[4:5], v[4:5]
.LBB431_3:
	s_or_b64 exec, exec, s[8:9]
.LBB431_4:
	s_or_b64 exec, exec, s[0:1]
	v_and_b32_e32 v6, 63, v0
	v_cmp_gt_u32_e32 vcc, 64, v0
	v_lshlrev_b32_e32 v1, 3, v6
	s_and_saveexec_b64 s[0:1], vcc
	s_cbranch_execz .LBB431_6
; %bb.5:
	v_mov_b32_e32 v4, 0
	v_mov_b32_e32 v5, v4
	ds_write_b64 v1, v[4:5]
.LBB431_6:
	s_or_b64 exec, exec, s[0:1]
	v_mbcnt_lo_u32_b32 v4, -1, 0
	v_mbcnt_hi_u32_b32 v9, -1, v4
	v_and_b32_e32 v10, 63, v9
	v_cmp_gt_u32_e64 s[0:1], 32, v10
	v_cndmask_b32_e64 v4, 0, 1, s[0:1]
	v_lshlrev_b32_e32 v4, 5, v4
	v_add_lshl_u32 v5, v4, v9, 2
	ds_bpermute_b32 v4, v5, v2
	ds_bpermute_b32 v5, v5, v3
	v_cmp_gt_u32_e64 s[0:1], 48, v10
	v_cndmask_b32_e64 v7, 0, 1, s[0:1]
	v_cmp_gt_u32_e64 s[0:1], 56, v10
	s_waitcnt lgkmcnt(0)
	v_add_f64 v[2:3], v[2:3], v[4:5]
	v_lshlrev_b32_e32 v4, 4, v7
	v_add_lshl_u32 v5, v4, v9, 2
	ds_bpermute_b32 v4, v5, v2
	ds_bpermute_b32 v5, v5, v3
	s_barrier
	s_waitcnt lgkmcnt(0)
	v_add_f64 v[2:3], v[2:3], v[4:5]
	v_cndmask_b32_e64 v4, 0, 1, s[0:1]
	v_lshlrev_b32_e32 v4, 3, v4
	v_add_lshl_u32 v5, v4, v9, 2
	ds_bpermute_b32 v4, v5, v2
	ds_bpermute_b32 v5, v5, v3
	v_cmp_gt_u32_e64 s[0:1], 60, v10
	s_waitcnt lgkmcnt(0)
	v_add_f64 v[2:3], v[2:3], v[4:5]
	v_cndmask_b32_e64 v4, 0, 1, s[0:1]
	v_lshlrev_b32_e32 v4, 2, v4
	v_add_lshl_u32 v7, v4, v9, 2
	ds_bpermute_b32 v4, v7, v2
	ds_bpermute_b32 v5, v7, v3
	v_cmp_gt_u32_e64 s[0:1], 62, v10
	s_waitcnt lgkmcnt(0)
	v_add_f64 v[2:3], v[2:3], v[4:5]
	v_cndmask_b32_e64 v4, 0, 1, s[0:1]
	v_lshlrev_b32_e32 v4, 1, v4
	v_add_lshl_u32 v8, v4, v9, 2
	ds_bpermute_b32 v4, v8, v2
	ds_bpermute_b32 v5, v8, v3
	v_cmp_ne_u32_e64 s[0:1], 63, v10
	s_waitcnt lgkmcnt(0)
	v_add_f64 v[2:3], v[2:3], v[4:5]
	v_addc_co_u32_e64 v4, s[0:1], 0, v9, s[0:1]
	v_lshlrev_b32_e32 v9, 2, v4
	ds_bpermute_b32 v4, v9, v2
	ds_bpermute_b32 v5, v9, v3
	v_cmp_eq_u32_e64 s[0:1], 0, v6
	s_and_saveexec_b64 s[8:9], s[0:1]
	s_cbranch_execz .LBB431_8
; %bb.7:
	s_waitcnt lgkmcnt(0)
	v_add_f64 v[2:3], v[2:3], v[4:5]
	v_lshrrev_b32_e32 v4, 3, v0
	v_and_b32_e32 v4, 56, v4
	ds_write_b64 v4, v[2:3]
.LBB431_8:
	s_or_b64 exec, exec, s[8:9]
	v_cmp_gt_u32_e64 s[0:1], 8, v0
	v_pk_mov_b32 v[2:3], 0, 0
	s_waitcnt lgkmcnt(0)
	s_barrier
	s_and_saveexec_b64 s[8:9], s[0:1]
	s_cbranch_execnz .LBB431_12
; %bb.9:
	s_or_b64 exec, exec, s[8:9]
	s_and_saveexec_b64 s[0:1], vcc
	s_cbranch_execnz .LBB431_13
.LBB431_10:
	s_or_b64 exec, exec, s[0:1]
	v_cmp_eq_u32_e32 vcc, 0, v0
	s_and_saveexec_b64 s[0:1], vcc
	s_cbranch_execnz .LBB431_14
.LBB431_11:
	s_endpgm
.LBB431_12:
	ds_read_b64 v[2:3], v1
	s_or_b64 exec, exec, s[8:9]
	s_and_saveexec_b64 s[0:1], vcc
	s_cbranch_execz .LBB431_10
.LBB431_13:
	s_waitcnt lgkmcnt(0)
	ds_bpermute_b32 v4, v7, v2
	ds_bpermute_b32 v5, v7, v3
	s_waitcnt lgkmcnt(0)
	v_add_f64 v[2:3], v[2:3], v[4:5]
	ds_bpermute_b32 v4, v8, v2
	ds_bpermute_b32 v5, v8, v3
	s_waitcnt lgkmcnt(0)
	v_add_f64 v[2:3], v[2:3], v[4:5]
	;; [unrolled: 4-line block ×3, first 2 shown]
	s_or_b64 exec, exec, s[0:1]
	v_cmp_eq_u32_e32 vcc, 0, v0
	s_and_saveexec_b64 s[0:1], vcc
	s_cbranch_execz .LBB431_11
.LBB431_14:
	s_cmp_lg_u32 s10, 1
	s_cbranch_scc0 .LBB431_16
; %bb.15:
	s_load_dwordx2 s[0:1], s[4:5], 0x30
	s_mul_hi_u32 s9, s10, s2
	s_mul_i32 s8, s10, s2
	s_lshl_b64 s[8:9], s[8:9], 3
	s_mov_b32 s7, 0
	s_waitcnt lgkmcnt(0)
	s_add_u32 s8, s0, s8
	s_addc_u32 s9, s1, s9
	s_lshl_b64 s[0:1], s[6:7], 3
	s_add_u32 s0, s8, s0
	s_addc_u32 s1, s9, s1
	s_cbranch_execz .LBB431_17
	s_branch .LBB431_18
.LBB431_16:
                                        ; implicit-def: $sgpr0_sgpr1
.LBB431_17:
	s_load_dwordx2 s[0:1], s[4:5], 0x38
	s_lshl_b64 s[2:3], s[2:3], 3
	s_waitcnt lgkmcnt(0)
	s_add_u32 s0, s0, s2
	s_addc_u32 s1, s1, s3
.LBB431_18:
	v_mov_b32_e32 v0, 0
	s_waitcnt lgkmcnt(0)
	global_store_dwordx2 v0, v[2:3], s[0:1]
	s_endpgm
	.section	.rodata,"a",@progbits
	.p2align	6, 0x0
	.amdhsa_kernel _ZL24rocblas_dot_kernel_magsqIiLb0ELi512ELi2ELb0EdPKfdEviT5_lT_liPT6_PT4_
		.amdhsa_group_segment_fixed_size 512
		.amdhsa_private_segment_fixed_size 0
		.amdhsa_kernarg_size 320
		.amdhsa_user_sgpr_count 6
		.amdhsa_user_sgpr_private_segment_buffer 1
		.amdhsa_user_sgpr_dispatch_ptr 0
		.amdhsa_user_sgpr_queue_ptr 0
		.amdhsa_user_sgpr_kernarg_segment_ptr 1
		.amdhsa_user_sgpr_dispatch_id 0
		.amdhsa_user_sgpr_flat_scratch_init 0
		.amdhsa_user_sgpr_kernarg_preload_length 0
		.amdhsa_user_sgpr_kernarg_preload_offset 0
		.amdhsa_user_sgpr_private_segment_size 0
		.amdhsa_uses_dynamic_stack 0
		.amdhsa_system_sgpr_private_segment_wavefront_offset 0
		.amdhsa_system_sgpr_workgroup_id_x 1
		.amdhsa_system_sgpr_workgroup_id_y 0
		.amdhsa_system_sgpr_workgroup_id_z 1
		.amdhsa_system_sgpr_workgroup_info 0
		.amdhsa_system_vgpr_workitem_id 0
		.amdhsa_next_free_vgpr 11
		.amdhsa_next_free_sgpr 17
		.amdhsa_accum_offset 12
		.amdhsa_reserve_vcc 1
		.amdhsa_reserve_flat_scratch 0
		.amdhsa_float_round_mode_32 0
		.amdhsa_float_round_mode_16_64 0
		.amdhsa_float_denorm_mode_32 3
		.amdhsa_float_denorm_mode_16_64 3
		.amdhsa_dx10_clamp 1
		.amdhsa_ieee_mode 1
		.amdhsa_fp16_overflow 0
		.amdhsa_tg_split 0
		.amdhsa_exception_fp_ieee_invalid_op 0
		.amdhsa_exception_fp_denorm_src 0
		.amdhsa_exception_fp_ieee_div_zero 0
		.amdhsa_exception_fp_ieee_overflow 0
		.amdhsa_exception_fp_ieee_underflow 0
		.amdhsa_exception_fp_ieee_inexact 0
		.amdhsa_exception_int_div_zero 0
	.end_amdhsa_kernel
	.section	.text._ZL24rocblas_dot_kernel_magsqIiLb0ELi512ELi2ELb0EdPKfdEviT5_lT_liPT6_PT4_,"axG",@progbits,_ZL24rocblas_dot_kernel_magsqIiLb0ELi512ELi2ELb0EdPKfdEviT5_lT_liPT6_PT4_,comdat
.Lfunc_end431:
	.size	_ZL24rocblas_dot_kernel_magsqIiLb0ELi512ELi2ELb0EdPKfdEviT5_lT_liPT6_PT4_, .Lfunc_end431-_ZL24rocblas_dot_kernel_magsqIiLb0ELi512ELi2ELb0EdPKfdEviT5_lT_liPT6_PT4_
                                        ; -- End function
	.section	.AMDGPU.csdata,"",@progbits
; Kernel info:
; codeLenInByte = 980
; NumSgprs: 21
; NumVgprs: 11
; NumAgprs: 0
; TotalNumVgprs: 11
; ScratchSize: 0
; MemoryBound: 0
; FloatMode: 240
; IeeeMode: 1
; LDSByteSize: 512 bytes/workgroup (compile time only)
; SGPRBlocks: 2
; VGPRBlocks: 1
; NumSGPRsForWavesPerEU: 21
; NumVGPRsForWavesPerEU: 11
; AccumOffset: 12
; Occupancy: 8
; WaveLimiterHint : 0
; COMPUTE_PGM_RSRC2:SCRATCH_EN: 0
; COMPUTE_PGM_RSRC2:USER_SGPR: 6
; COMPUTE_PGM_RSRC2:TRAP_HANDLER: 0
; COMPUTE_PGM_RSRC2:TGID_X_EN: 1
; COMPUTE_PGM_RSRC2:TGID_Y_EN: 0
; COMPUTE_PGM_RSRC2:TGID_Z_EN: 1
; COMPUTE_PGM_RSRC2:TIDIG_COMP_CNT: 0
; COMPUTE_PGM_RSRC3_GFX90A:ACCUM_OFFSET: 2
; COMPUTE_PGM_RSRC3_GFX90A:TG_SPLIT: 0
	.section	.text._ZL30rocblas_reduction_kernel_part2ILi512ELi2E25rocblas_finalize_identityddEviPT2_PT3_,"axG",@progbits,_ZL30rocblas_reduction_kernel_part2ILi512ELi2E25rocblas_finalize_identityddEviPT2_PT3_,comdat
	.globl	_ZL30rocblas_reduction_kernel_part2ILi512ELi2E25rocblas_finalize_identityddEviPT2_PT3_ ; -- Begin function _ZL30rocblas_reduction_kernel_part2ILi512ELi2E25rocblas_finalize_identityddEviPT2_PT3_
	.p2align	8
	.type	_ZL30rocblas_reduction_kernel_part2ILi512ELi2E25rocblas_finalize_identityddEviPT2_PT3_,@function
_ZL30rocblas_reduction_kernel_part2ILi512ELi2E25rocblas_finalize_identityddEviPT2_PT3_: ; @_ZL30rocblas_reduction_kernel_part2ILi512ELi2E25rocblas_finalize_identityddEviPT2_PT3_
; %bb.0:
	s_load_dword s12, s[4:5], 0x0
	s_load_dwordx4 s[0:3], s[4:5], 0x8
	v_lshlrev_b32_e32 v1, 1, v0
	s_mov_b32 s7, 0
	v_pk_mov_b32 v[2:3], 0, 0
	s_waitcnt lgkmcnt(0)
	s_lshr_b32 s8, s12, 31
	s_ashr_i32 s4, s12, 31
	s_add_i32 s8, s12, s8
	s_mul_hi_u32 s5, s12, s6
	s_mul_i32 s4, s4, s6
	s_and_b32 s13, s8, -2
	s_add_i32 s5, s5, s4
	s_mul_i32 s4, s12, s6
	v_cmp_gt_i32_e32 vcc, s13, v1
	s_and_saveexec_b64 s[8:9], vcc
	s_cbranch_execz .LBB432_4
; %bb.1:
	s_lshl_b64 s[10:11], s[4:5], 3
	s_add_u32 s10, s0, s10
	v_lshlrev_b32_e32 v2, 4, v0
	s_addc_u32 s11, s1, s11
	v_mov_b32_e32 v3, s11
	v_add_co_u32_e32 v2, vcc, s10, v2
	v_addc_co_u32_e32 v3, vcc, 0, v3, vcc
	v_add_co_u32_e32 v4, vcc, 8, v2
	v_addc_co_u32_e32 v5, vcc, 0, v3, vcc
	s_mov_b64 s[10:11], 0
	v_pk_mov_b32 v[2:3], 0, 0
.LBB432_2:                              ; =>This Inner Loop Header: Depth=1
	global_load_dwordx4 v[6:9], v[4:5], off offset:-8
	v_add_co_u32_e32 v4, vcc, 0x2000, v4
	v_add_u32_e32 v1, 0x400, v1
	v_addc_co_u32_e32 v5, vcc, 0, v5, vcc
	v_cmp_le_i32_e32 vcc, s13, v1
	s_or_b64 s[10:11], vcc, s[10:11]
	s_waitcnt vmcnt(0)
	v_add_f64 v[2:3], v[2:3], v[6:7]
	v_add_f64 v[2:3], v[2:3], v[8:9]
	s_andn2_b64 exec, exec, s[10:11]
	s_cbranch_execnz .LBB432_2
; %bb.3:
	s_or_b64 exec, exec, s[10:11]
.LBB432_4:
	s_or_b64 exec, exec, s[8:9]
	s_sub_i32 s8, s12, s13
	v_cmp_gt_u32_e32 vcc, s8, v0
	s_and_saveexec_b64 s[8:9], vcc
	s_cbranch_execz .LBB432_6
; %bb.5:
	s_lshl_b64 s[4:5], s[4:5], 3
	s_add_u32 s0, s0, s4
	v_xad_u32 v4, v0, -1, s12
	v_mov_b32_e32 v5, 0
	s_addc_u32 s1, s1, s5
	v_lshlrev_b64 v[4:5], 3, v[4:5]
	v_mov_b32_e32 v1, s1
	v_add_co_u32_e32 v4, vcc, s0, v4
	v_addc_co_u32_e32 v5, vcc, v1, v5, vcc
	global_load_dwordx2 v[4:5], v[4:5], off
	s_waitcnt vmcnt(0)
	v_add_f64 v[2:3], v[2:3], v[4:5]
.LBB432_6:
	s_or_b64 exec, exec, s[8:9]
	v_and_b32_e32 v6, 63, v0
	v_cmp_gt_u32_e32 vcc, 64, v0
	v_lshlrev_b32_e32 v1, 3, v6
	s_and_saveexec_b64 s[0:1], vcc
	s_cbranch_execz .LBB432_8
; %bb.7:
	v_mov_b32_e32 v4, 0
	v_mov_b32_e32 v5, v4
	ds_write_b64 v1, v[4:5]
.LBB432_8:
	s_or_b64 exec, exec, s[0:1]
	v_mbcnt_lo_u32_b32 v4, -1, 0
	v_mbcnt_hi_u32_b32 v9, -1, v4
	v_and_b32_e32 v10, 63, v9
	v_cmp_gt_u32_e64 s[0:1], 32, v10
	v_cndmask_b32_e64 v4, 0, 1, s[0:1]
	v_lshlrev_b32_e32 v4, 5, v4
	v_add_lshl_u32 v5, v4, v9, 2
	ds_bpermute_b32 v4, v5, v2
	ds_bpermute_b32 v5, v5, v3
	v_cmp_gt_u32_e64 s[0:1], 48, v10
	v_cndmask_b32_e64 v7, 0, 1, s[0:1]
	v_cmp_gt_u32_e64 s[0:1], 56, v10
	s_waitcnt lgkmcnt(0)
	v_add_f64 v[2:3], v[2:3], v[4:5]
	v_lshlrev_b32_e32 v4, 4, v7
	v_add_lshl_u32 v5, v4, v9, 2
	ds_bpermute_b32 v4, v5, v2
	ds_bpermute_b32 v5, v5, v3
	s_barrier
	s_waitcnt lgkmcnt(0)
	v_add_f64 v[2:3], v[2:3], v[4:5]
	v_cndmask_b32_e64 v4, 0, 1, s[0:1]
	v_lshlrev_b32_e32 v4, 3, v4
	v_add_lshl_u32 v5, v4, v9, 2
	ds_bpermute_b32 v4, v5, v2
	ds_bpermute_b32 v5, v5, v3
	v_cmp_gt_u32_e64 s[0:1], 60, v10
	s_waitcnt lgkmcnt(0)
	v_add_f64 v[2:3], v[2:3], v[4:5]
	v_cndmask_b32_e64 v4, 0, 1, s[0:1]
	v_lshlrev_b32_e32 v4, 2, v4
	v_add_lshl_u32 v7, v4, v9, 2
	ds_bpermute_b32 v4, v7, v2
	ds_bpermute_b32 v5, v7, v3
	v_cmp_gt_u32_e64 s[0:1], 62, v10
	s_waitcnt lgkmcnt(0)
	v_add_f64 v[2:3], v[2:3], v[4:5]
	v_cndmask_b32_e64 v4, 0, 1, s[0:1]
	v_lshlrev_b32_e32 v4, 1, v4
	v_add_lshl_u32 v8, v4, v9, 2
	ds_bpermute_b32 v4, v8, v2
	ds_bpermute_b32 v5, v8, v3
	v_cmp_ne_u32_e64 s[0:1], 63, v10
	s_waitcnt lgkmcnt(0)
	v_add_f64 v[2:3], v[2:3], v[4:5]
	v_addc_co_u32_e64 v4, s[0:1], 0, v9, s[0:1]
	v_lshlrev_b32_e32 v9, 2, v4
	ds_bpermute_b32 v4, v9, v2
	ds_bpermute_b32 v5, v9, v3
	v_cmp_eq_u32_e64 s[0:1], 0, v6
	s_and_saveexec_b64 s[4:5], s[0:1]
	s_cbranch_execz .LBB432_10
; %bb.9:
	s_waitcnt lgkmcnt(0)
	v_add_f64 v[2:3], v[2:3], v[4:5]
	v_lshrrev_b32_e32 v4, 3, v0
	v_and_b32_e32 v4, 56, v4
	ds_write_b64 v4, v[2:3]
.LBB432_10:
	s_or_b64 exec, exec, s[4:5]
	v_cmp_gt_u32_e64 s[0:1], 8, v0
	v_pk_mov_b32 v[2:3], 0, 0
	s_waitcnt lgkmcnt(0)
	s_barrier
	s_and_saveexec_b64 s[4:5], s[0:1]
	s_cbranch_execnz .LBB432_14
; %bb.11:
	s_or_b64 exec, exec, s[4:5]
	s_and_saveexec_b64 s[0:1], vcc
	s_cbranch_execnz .LBB432_15
.LBB432_12:
	s_or_b64 exec, exec, s[0:1]
	v_cmp_eq_u32_e32 vcc, 0, v0
	s_and_saveexec_b64 s[0:1], vcc
	s_cbranch_execnz .LBB432_16
.LBB432_13:
	s_endpgm
.LBB432_14:
	ds_read_b64 v[2:3], v1
	s_or_b64 exec, exec, s[4:5]
	s_and_saveexec_b64 s[0:1], vcc
	s_cbranch_execz .LBB432_12
.LBB432_15:
	s_waitcnt lgkmcnt(0)
	ds_bpermute_b32 v4, v7, v2
	ds_bpermute_b32 v5, v7, v3
	s_waitcnt lgkmcnt(0)
	v_add_f64 v[2:3], v[2:3], v[4:5]
	ds_bpermute_b32 v4, v8, v2
	ds_bpermute_b32 v5, v8, v3
	s_waitcnt lgkmcnt(0)
	v_add_f64 v[2:3], v[2:3], v[4:5]
	;; [unrolled: 4-line block ×3, first 2 shown]
	s_or_b64 exec, exec, s[0:1]
	v_cmp_eq_u32_e32 vcc, 0, v0
	s_and_saveexec_b64 s[0:1], vcc
	s_cbranch_execz .LBB432_13
.LBB432_16:
	s_lshl_b64 s[0:1], s[6:7], 3
	s_add_u32 s0, s2, s0
	s_addc_u32 s1, s3, s1
	v_mov_b32_e32 v0, 0
	s_waitcnt lgkmcnt(0)
	global_store_dwordx2 v0, v[2:3], s[0:1]
	s_endpgm
	.section	.rodata,"a",@progbits
	.p2align	6, 0x0
	.amdhsa_kernel _ZL30rocblas_reduction_kernel_part2ILi512ELi2E25rocblas_finalize_identityddEviPT2_PT3_
		.amdhsa_group_segment_fixed_size 512
		.amdhsa_private_segment_fixed_size 0
		.amdhsa_kernarg_size 24
		.amdhsa_user_sgpr_count 6
		.amdhsa_user_sgpr_private_segment_buffer 1
		.amdhsa_user_sgpr_dispatch_ptr 0
		.amdhsa_user_sgpr_queue_ptr 0
		.amdhsa_user_sgpr_kernarg_segment_ptr 1
		.amdhsa_user_sgpr_dispatch_id 0
		.amdhsa_user_sgpr_flat_scratch_init 0
		.amdhsa_user_sgpr_kernarg_preload_length 0
		.amdhsa_user_sgpr_kernarg_preload_offset 0
		.amdhsa_user_sgpr_private_segment_size 0
		.amdhsa_uses_dynamic_stack 0
		.amdhsa_system_sgpr_private_segment_wavefront_offset 0
		.amdhsa_system_sgpr_workgroup_id_x 1
		.amdhsa_system_sgpr_workgroup_id_y 0
		.amdhsa_system_sgpr_workgroup_id_z 0
		.amdhsa_system_sgpr_workgroup_info 0
		.amdhsa_system_vgpr_workitem_id 0
		.amdhsa_next_free_vgpr 11
		.amdhsa_next_free_sgpr 14
		.amdhsa_accum_offset 12
		.amdhsa_reserve_vcc 1
		.amdhsa_reserve_flat_scratch 0
		.amdhsa_float_round_mode_32 0
		.amdhsa_float_round_mode_16_64 0
		.amdhsa_float_denorm_mode_32 3
		.amdhsa_float_denorm_mode_16_64 3
		.amdhsa_dx10_clamp 1
		.amdhsa_ieee_mode 1
		.amdhsa_fp16_overflow 0
		.amdhsa_tg_split 0
		.amdhsa_exception_fp_ieee_invalid_op 0
		.amdhsa_exception_fp_denorm_src 0
		.amdhsa_exception_fp_ieee_div_zero 0
		.amdhsa_exception_fp_ieee_overflow 0
		.amdhsa_exception_fp_ieee_underflow 0
		.amdhsa_exception_fp_ieee_inexact 0
		.amdhsa_exception_int_div_zero 0
	.end_amdhsa_kernel
	.section	.text._ZL30rocblas_reduction_kernel_part2ILi512ELi2E25rocblas_finalize_identityddEviPT2_PT3_,"axG",@progbits,_ZL30rocblas_reduction_kernel_part2ILi512ELi2E25rocblas_finalize_identityddEviPT2_PT3_,comdat
.Lfunc_end432:
	.size	_ZL30rocblas_reduction_kernel_part2ILi512ELi2E25rocblas_finalize_identityddEviPT2_PT3_, .Lfunc_end432-_ZL30rocblas_reduction_kernel_part2ILi512ELi2E25rocblas_finalize_identityddEviPT2_PT3_
                                        ; -- End function
	.section	.AMDGPU.csdata,"",@progbits
; Kernel info:
; codeLenInByte = 932
; NumSgprs: 18
; NumVgprs: 11
; NumAgprs: 0
; TotalNumVgprs: 11
; ScratchSize: 0
; MemoryBound: 0
; FloatMode: 240
; IeeeMode: 1
; LDSByteSize: 512 bytes/workgroup (compile time only)
; SGPRBlocks: 2
; VGPRBlocks: 1
; NumSGPRsForWavesPerEU: 18
; NumVGPRsForWavesPerEU: 11
; AccumOffset: 12
; Occupancy: 8
; WaveLimiterHint : 0
; COMPUTE_PGM_RSRC2:SCRATCH_EN: 0
; COMPUTE_PGM_RSRC2:USER_SGPR: 6
; COMPUTE_PGM_RSRC2:TRAP_HANDLER: 0
; COMPUTE_PGM_RSRC2:TGID_X_EN: 1
; COMPUTE_PGM_RSRC2:TGID_Y_EN: 0
; COMPUTE_PGM_RSRC2:TGID_Z_EN: 0
; COMPUTE_PGM_RSRC2:TIDIG_COMP_CNT: 0
; COMPUTE_PGM_RSRC3_GFX90A:ACCUM_OFFSET: 2
; COMPUTE_PGM_RSRC3_GFX90A:TG_SPLIT: 0
	.section	.text._ZL28rocblas_dot_batched_4_kernelIlLi32ELi4ELb0EddPKfEviT5_lT_lS2_lS3_liPT4_,"axG",@progbits,_ZL28rocblas_dot_batched_4_kernelIlLi32ELi4ELb0EddPKfEviT5_lT_lS2_lS3_liPT4_,comdat
	.globl	_ZL28rocblas_dot_batched_4_kernelIlLi32ELi4ELb0EddPKfEviT5_lT_lS2_lS3_liPT4_ ; -- Begin function _ZL28rocblas_dot_batched_4_kernelIlLi32ELi4ELb0EddPKfEviT5_lT_lS2_lS3_liPT4_
	.p2align	8
	.type	_ZL28rocblas_dot_batched_4_kernelIlLi32ELi4ELb0EddPKfEviT5_lT_lS2_lS3_liPT4_,@function
_ZL28rocblas_dot_batched_4_kernelIlLi32ELi4ELb0EddPKfEviT5_lT_lS2_lS3_liPT4_: ; @_ZL28rocblas_dot_batched_4_kernelIlLi32ELi4ELb0EddPKfEviT5_lT_lS2_lS3_liPT4_
; %bb.0:
	s_load_dword s0, s[4:5], 0x48
	v_bfe_u32 v1, v0, 10, 10
	v_lshl_add_u32 v2, s6, 2, v1
	s_waitcnt lgkmcnt(0)
	v_cmp_gt_u32_e32 vcc, s0, v2
	s_and_saveexec_b64 s[0:1], vcc
	s_cbranch_execz .LBB433_7
; %bb.1:
	s_load_dword s16, s[4:5], 0x0
	s_load_dwordx2 s[0:1], s[4:5], 0x50
	v_and_b32_e32 v8, 0x3ff, v0
	v_mov_b32_e32 v3, 0
	v_pk_mov_b32 v[0:1], 0, 0
	s_waitcnt lgkmcnt(0)
	v_cmp_gt_i32_e32 vcc, s16, v8
	s_and_saveexec_b64 s[2:3], vcc
	s_cbranch_execz .LBB433_5
; %bb.2:
	s_load_dwordx4 s[20:23], s[4:5], 0x10
	s_load_dwordx2 s[6:7], s[4:5], 0x8
	s_load_dwordx8 s[8:15], s[4:5], 0x20
	s_load_dwordx2 s[18:19], s[4:5], 0x40
	s_waitcnt lgkmcnt(0)
	v_mad_u64_u32 v[0:1], s[4:5], s22, v8, 0
	v_mov_b32_e32 v4, v1
	v_mad_u64_u32 v[4:5], s[4:5], s23, v8, v[4:5]
	v_mov_b32_e32 v1, v4
	;; [unrolled: 2-line block ×4, first 2 shown]
	v_lshlrev_b64 v[0:1], 2, v[0:1]
	v_lshlrev_b64 v[4:5], 2, v[4:5]
	s_lshl_b64 s[4:5], s[20:21], 2
	v_add_co_u32_e32 v0, vcc, v0, v4
	s_add_u32 s4, s6, s4
	v_addc_co_u32_e32 v1, vcc, v1, v5, vcc
	s_addc_u32 s5, s7, s5
	v_mov_b32_e32 v5, s5
	v_add_co_u32_e32 v4, vcc, s4, v0
	v_addc_co_u32_e32 v5, vcc, v5, v1, vcc
	v_mad_u64_u32 v[0:1], s[6:7], s14, v8, 0
	v_mov_b32_e32 v6, v1
	v_mad_u64_u32 v[6:7], s[6:7], s15, v8, v[6:7]
	v_mov_b32_e32 v1, v6
	;; [unrolled: 2-line block ×4, first 2 shown]
	s_lshl_b64 s[4:5], s[22:23], 7
	v_lshlrev_b64 v[0:1], 2, v[0:1]
	v_lshlrev_b64 v[6:7], 2, v[6:7]
	s_lshl_b64 s[6:7], s[12:13], 2
	v_add_co_u32_e32 v0, vcc, v0, v6
	s_add_u32 s6, s10, s6
	v_addc_co_u32_e32 v1, vcc, v1, v7, vcc
	s_addc_u32 s7, s11, s7
	v_mov_b32_e32 v7, s7
	v_add_co_u32_e32 v6, vcc, s6, v0
	s_lshl_b64 s[8:9], s[14:15], 7
	v_addc_co_u32_e32 v7, vcc, v7, v1, vcc
	s_mov_b64 s[6:7], 0
	v_pk_mov_b32 v[0:1], 0, 0
	v_mov_b32_e32 v9, s5
	v_mov_b32_e32 v10, s9
	;; [unrolled: 1-line block ×3, first 2 shown]
.LBB433_3:                              ; =>This Inner Loop Header: Depth=1
	global_load_dword v12, v[4:5], off
	global_load_dword v14, v[6:7], off
	v_add_co_u32_e32 v4, vcc, s4, v4
	v_addc_co_u32_e32 v5, vcc, v5, v9, vcc
	v_add_co_u32_e32 v6, vcc, s8, v6
	v_add_u32_e32 v11, 32, v11
	v_addc_co_u32_e32 v7, vcc, v7, v10, vcc
	v_cmp_le_i32_e32 vcc, s16, v11
	s_or_b64 s[6:7], vcc, s[6:7]
	s_waitcnt vmcnt(1)
	v_cvt_f64_f32_e32 v[12:13], v12
	s_waitcnt vmcnt(0)
	v_cvt_f64_f32_e32 v[14:15], v14
	v_fmac_f64_e32 v[0:1], v[12:13], v[14:15]
	s_andn2_b64 exec, exec, s[6:7]
	s_cbranch_execnz .LBB433_3
; %bb.4:
	s_or_b64 exec, exec, s[6:7]
.LBB433_5:
	s_or_b64 exec, exec, s[2:3]
	v_mbcnt_lo_u32_b32 v4, -1, 0
	v_mbcnt_hi_u32_b32 v6, -1, v4
	v_and_b32_e32 v7, 63, v6
	v_cmp_gt_u32_e32 vcc, 48, v7
	v_cndmask_b32_e64 v4, 0, 1, vcc
	v_lshlrev_b32_e32 v4, 4, v4
	v_add_lshl_u32 v5, v4, v6, 2
	ds_bpermute_b32 v4, v5, v0
	ds_bpermute_b32 v5, v5, v1
	v_cmp_gt_u32_e32 vcc, 56, v7
	v_cndmask_b32_e64 v9, 0, 1, vcc
	v_cmp_gt_u32_e32 vcc, 60, v7
	s_waitcnt lgkmcnt(0)
	v_add_f64 v[0:1], v[0:1], v[4:5]
	v_lshlrev_b32_e32 v4, 3, v9
	v_add_lshl_u32 v5, v4, v6, 2
	ds_bpermute_b32 v4, v5, v0
	ds_bpermute_b32 v5, v5, v1
	s_barrier
	s_waitcnt lgkmcnt(0)
	v_add_f64 v[0:1], v[0:1], v[4:5]
	v_cndmask_b32_e64 v4, 0, 1, vcc
	v_lshlrev_b32_e32 v4, 2, v4
	v_add_lshl_u32 v5, v4, v6, 2
	ds_bpermute_b32 v4, v5, v0
	ds_bpermute_b32 v5, v5, v1
	v_cmp_gt_u32_e32 vcc, 62, v7
	s_waitcnt lgkmcnt(0)
	v_add_f64 v[0:1], v[0:1], v[4:5]
	v_cndmask_b32_e64 v4, 0, 1, vcc
	v_lshlrev_b32_e32 v4, 1, v4
	v_add_lshl_u32 v5, v4, v6, 2
	ds_bpermute_b32 v4, v5, v0
	ds_bpermute_b32 v5, v5, v1
	v_cmp_ne_u32_e32 vcc, 63, v7
	s_waitcnt lgkmcnt(0)
	v_add_f64 v[0:1], v[0:1], v[4:5]
	v_addc_co_u32_e32 v4, vcc, 0, v6, vcc
	v_lshlrev_b32_e32 v5, 2, v4
	ds_bpermute_b32 v4, v5, v0
	ds_bpermute_b32 v5, v5, v1
	v_cmp_eq_u32_e32 vcc, 0, v8
	s_and_b64 exec, exec, vcc
	s_cbranch_execz .LBB433_7
; %bb.6:
	v_lshlrev_b64 v[2:3], 3, v[2:3]
	v_mov_b32_e32 v6, s1
	v_add_co_u32_e32 v2, vcc, s0, v2
	v_addc_co_u32_e32 v3, vcc, v6, v3, vcc
	s_waitcnt lgkmcnt(0)
	v_add_f64 v[0:1], v[0:1], v[4:5]
	global_store_dwordx2 v[2:3], v[0:1], off
.LBB433_7:
	s_endpgm
	.section	.rodata,"a",@progbits
	.p2align	6, 0x0
	.amdhsa_kernel _ZL28rocblas_dot_batched_4_kernelIlLi32ELi4ELb0EddPKfEviT5_lT_lS2_lS3_liPT4_
		.amdhsa_group_segment_fixed_size 0
		.amdhsa_private_segment_fixed_size 0
		.amdhsa_kernarg_size 88
		.amdhsa_user_sgpr_count 6
		.amdhsa_user_sgpr_private_segment_buffer 1
		.amdhsa_user_sgpr_dispatch_ptr 0
		.amdhsa_user_sgpr_queue_ptr 0
		.amdhsa_user_sgpr_kernarg_segment_ptr 1
		.amdhsa_user_sgpr_dispatch_id 0
		.amdhsa_user_sgpr_flat_scratch_init 0
		.amdhsa_user_sgpr_kernarg_preload_length 0
		.amdhsa_user_sgpr_kernarg_preload_offset 0
		.amdhsa_user_sgpr_private_segment_size 0
		.amdhsa_uses_dynamic_stack 0
		.amdhsa_system_sgpr_private_segment_wavefront_offset 0
		.amdhsa_system_sgpr_workgroup_id_x 1
		.amdhsa_system_sgpr_workgroup_id_y 0
		.amdhsa_system_sgpr_workgroup_id_z 0
		.amdhsa_system_sgpr_workgroup_info 0
		.amdhsa_system_vgpr_workitem_id 1
		.amdhsa_next_free_vgpr 16
		.amdhsa_next_free_sgpr 24
		.amdhsa_accum_offset 16
		.amdhsa_reserve_vcc 1
		.amdhsa_reserve_flat_scratch 0
		.amdhsa_float_round_mode_32 0
		.amdhsa_float_round_mode_16_64 0
		.amdhsa_float_denorm_mode_32 3
		.amdhsa_float_denorm_mode_16_64 3
		.amdhsa_dx10_clamp 1
		.amdhsa_ieee_mode 1
		.amdhsa_fp16_overflow 0
		.amdhsa_tg_split 0
		.amdhsa_exception_fp_ieee_invalid_op 0
		.amdhsa_exception_fp_denorm_src 0
		.amdhsa_exception_fp_ieee_div_zero 0
		.amdhsa_exception_fp_ieee_overflow 0
		.amdhsa_exception_fp_ieee_underflow 0
		.amdhsa_exception_fp_ieee_inexact 0
		.amdhsa_exception_int_div_zero 0
	.end_amdhsa_kernel
	.section	.text._ZL28rocblas_dot_batched_4_kernelIlLi32ELi4ELb0EddPKfEviT5_lT_lS2_lS3_liPT4_,"axG",@progbits,_ZL28rocblas_dot_batched_4_kernelIlLi32ELi4ELb0EddPKfEviT5_lT_lS2_lS3_liPT4_,comdat
.Lfunc_end433:
	.size	_ZL28rocblas_dot_batched_4_kernelIlLi32ELi4ELb0EddPKfEviT5_lT_lS2_lS3_liPT4_, .Lfunc_end433-_ZL28rocblas_dot_batched_4_kernelIlLi32ELi4ELb0EddPKfEviT5_lT_lS2_lS3_liPT4_
                                        ; -- End function
	.section	.AMDGPU.csdata,"",@progbits
; Kernel info:
; codeLenInByte = 748
; NumSgprs: 28
; NumVgprs: 16
; NumAgprs: 0
; TotalNumVgprs: 16
; ScratchSize: 0
; MemoryBound: 0
; FloatMode: 240
; IeeeMode: 1
; LDSByteSize: 0 bytes/workgroup (compile time only)
; SGPRBlocks: 3
; VGPRBlocks: 1
; NumSGPRsForWavesPerEU: 28
; NumVGPRsForWavesPerEU: 16
; AccumOffset: 16
; Occupancy: 8
; WaveLimiterHint : 0
; COMPUTE_PGM_RSRC2:SCRATCH_EN: 0
; COMPUTE_PGM_RSRC2:USER_SGPR: 6
; COMPUTE_PGM_RSRC2:TRAP_HANDLER: 0
; COMPUTE_PGM_RSRC2:TGID_X_EN: 1
; COMPUTE_PGM_RSRC2:TGID_Y_EN: 0
; COMPUTE_PGM_RSRC2:TGID_Z_EN: 0
; COMPUTE_PGM_RSRC2:TIDIG_COMP_CNT: 1
; COMPUTE_PGM_RSRC3_GFX90A:ACCUM_OFFSET: 3
; COMPUTE_PGM_RSRC3_GFX90A:TG_SPLIT: 0
	.section	.text._ZL28rocblas_dot_batched_4_kernelIlLi64ELi4ELb0EddPKfEviT5_lT_lS2_lS3_liPT4_,"axG",@progbits,_ZL28rocblas_dot_batched_4_kernelIlLi64ELi4ELb0EddPKfEviT5_lT_lS2_lS3_liPT4_,comdat
	.globl	_ZL28rocblas_dot_batched_4_kernelIlLi64ELi4ELb0EddPKfEviT5_lT_lS2_lS3_liPT4_ ; -- Begin function _ZL28rocblas_dot_batched_4_kernelIlLi64ELi4ELb0EddPKfEviT5_lT_lS2_lS3_liPT4_
	.p2align	8
	.type	_ZL28rocblas_dot_batched_4_kernelIlLi64ELi4ELb0EddPKfEviT5_lT_lS2_lS3_liPT4_,@function
_ZL28rocblas_dot_batched_4_kernelIlLi64ELi4ELb0EddPKfEviT5_lT_lS2_lS3_liPT4_: ; @_ZL28rocblas_dot_batched_4_kernelIlLi64ELi4ELb0EddPKfEviT5_lT_lS2_lS3_liPT4_
; %bb.0:
	s_load_dword s0, s[4:5], 0x48
	v_bfe_u32 v1, v0, 10, 10
	v_lshl_add_u32 v2, s6, 2, v1
	s_waitcnt lgkmcnt(0)
	v_cmp_gt_u32_e32 vcc, s0, v2
	s_and_saveexec_b64 s[0:1], vcc
	s_cbranch_execz .LBB434_7
; %bb.1:
	s_load_dword s16, s[4:5], 0x0
	s_load_dwordx2 s[0:1], s[4:5], 0x50
	v_and_b32_e32 v8, 0x3ff, v0
	v_mov_b32_e32 v3, 0
	v_pk_mov_b32 v[0:1], 0, 0
	s_waitcnt lgkmcnt(0)
	v_cmp_gt_i32_e32 vcc, s16, v8
	s_and_saveexec_b64 s[2:3], vcc
	s_cbranch_execz .LBB434_5
; %bb.2:
	s_load_dwordx4 s[20:23], s[4:5], 0x10
	s_load_dwordx2 s[6:7], s[4:5], 0x8
	s_load_dwordx8 s[8:15], s[4:5], 0x20
	s_load_dwordx2 s[18:19], s[4:5], 0x40
	s_waitcnt lgkmcnt(0)
	v_mad_u64_u32 v[0:1], s[4:5], s22, v8, 0
	v_mov_b32_e32 v4, v1
	v_mad_u64_u32 v[4:5], s[4:5], s23, v8, v[4:5]
	v_mov_b32_e32 v1, v4
	;; [unrolled: 2-line block ×4, first 2 shown]
	v_lshlrev_b64 v[0:1], 2, v[0:1]
	v_lshlrev_b64 v[4:5], 2, v[4:5]
	s_lshl_b64 s[4:5], s[20:21], 2
	v_add_co_u32_e32 v0, vcc, v0, v4
	s_add_u32 s4, s6, s4
	v_addc_co_u32_e32 v1, vcc, v1, v5, vcc
	s_addc_u32 s5, s7, s5
	v_mov_b32_e32 v5, s5
	v_add_co_u32_e32 v4, vcc, s4, v0
	v_addc_co_u32_e32 v5, vcc, v5, v1, vcc
	v_mad_u64_u32 v[0:1], s[6:7], s14, v8, 0
	v_mov_b32_e32 v6, v1
	v_mad_u64_u32 v[6:7], s[6:7], s15, v8, v[6:7]
	v_mov_b32_e32 v1, v6
	;; [unrolled: 2-line block ×4, first 2 shown]
	s_lshl_b64 s[4:5], s[22:23], 8
	v_lshlrev_b64 v[0:1], 2, v[0:1]
	v_lshlrev_b64 v[6:7], 2, v[6:7]
	s_lshl_b64 s[6:7], s[12:13], 2
	v_add_co_u32_e32 v0, vcc, v0, v6
	s_add_u32 s6, s10, s6
	v_addc_co_u32_e32 v1, vcc, v1, v7, vcc
	s_addc_u32 s7, s11, s7
	v_mov_b32_e32 v7, s7
	v_add_co_u32_e32 v6, vcc, s6, v0
	s_lshl_b64 s[8:9], s[14:15], 8
	v_addc_co_u32_e32 v7, vcc, v7, v1, vcc
	s_mov_b64 s[6:7], 0
	v_pk_mov_b32 v[0:1], 0, 0
	v_mov_b32_e32 v9, s5
	v_mov_b32_e32 v10, s9
	;; [unrolled: 1-line block ×3, first 2 shown]
.LBB434_3:                              ; =>This Inner Loop Header: Depth=1
	global_load_dword v12, v[4:5], off
	global_load_dword v14, v[6:7], off
	v_add_co_u32_e32 v4, vcc, s4, v4
	v_addc_co_u32_e32 v5, vcc, v5, v9, vcc
	v_add_co_u32_e32 v6, vcc, s8, v6
	v_add_u32_e32 v11, 64, v11
	v_addc_co_u32_e32 v7, vcc, v7, v10, vcc
	v_cmp_le_i32_e32 vcc, s16, v11
	s_or_b64 s[6:7], vcc, s[6:7]
	s_waitcnt vmcnt(1)
	v_cvt_f64_f32_e32 v[12:13], v12
	s_waitcnt vmcnt(0)
	v_cvt_f64_f32_e32 v[14:15], v14
	v_fmac_f64_e32 v[0:1], v[12:13], v[14:15]
	s_andn2_b64 exec, exec, s[6:7]
	s_cbranch_execnz .LBB434_3
; %bb.4:
	s_or_b64 exec, exec, s[6:7]
.LBB434_5:
	s_or_b64 exec, exec, s[2:3]
	v_mbcnt_lo_u32_b32 v4, -1, 0
	v_mbcnt_hi_u32_b32 v6, -1, v4
	v_and_b32_e32 v7, 63, v6
	v_cmp_gt_u32_e32 vcc, 32, v7
	v_cndmask_b32_e64 v4, 0, 1, vcc
	v_lshlrev_b32_e32 v4, 5, v4
	v_add_lshl_u32 v5, v4, v6, 2
	ds_bpermute_b32 v4, v5, v0
	ds_bpermute_b32 v5, v5, v1
	v_cmp_gt_u32_e32 vcc, 48, v7
	v_cndmask_b32_e64 v9, 0, 1, vcc
	v_cmp_gt_u32_e32 vcc, 56, v7
	s_waitcnt lgkmcnt(0)
	v_add_f64 v[0:1], v[0:1], v[4:5]
	v_lshlrev_b32_e32 v4, 4, v9
	v_add_lshl_u32 v5, v4, v6, 2
	ds_bpermute_b32 v4, v5, v0
	ds_bpermute_b32 v5, v5, v1
	s_barrier
	s_waitcnt lgkmcnt(0)
	v_add_f64 v[0:1], v[0:1], v[4:5]
	v_cndmask_b32_e64 v4, 0, 1, vcc
	v_lshlrev_b32_e32 v4, 3, v4
	v_add_lshl_u32 v5, v4, v6, 2
	ds_bpermute_b32 v4, v5, v0
	ds_bpermute_b32 v5, v5, v1
	v_cmp_gt_u32_e32 vcc, 60, v7
	s_waitcnt lgkmcnt(0)
	v_add_f64 v[0:1], v[0:1], v[4:5]
	v_cndmask_b32_e64 v4, 0, 1, vcc
	v_lshlrev_b32_e32 v4, 2, v4
	v_add_lshl_u32 v5, v4, v6, 2
	ds_bpermute_b32 v4, v5, v0
	ds_bpermute_b32 v5, v5, v1
	v_cmp_gt_u32_e32 vcc, 62, v7
	s_waitcnt lgkmcnt(0)
	v_add_f64 v[0:1], v[0:1], v[4:5]
	v_cndmask_b32_e64 v4, 0, 1, vcc
	v_lshlrev_b32_e32 v4, 1, v4
	v_add_lshl_u32 v5, v4, v6, 2
	ds_bpermute_b32 v4, v5, v0
	ds_bpermute_b32 v5, v5, v1
	v_cmp_ne_u32_e32 vcc, 63, v7
	s_waitcnt lgkmcnt(0)
	v_add_f64 v[0:1], v[0:1], v[4:5]
	v_addc_co_u32_e32 v4, vcc, 0, v6, vcc
	v_lshlrev_b32_e32 v5, 2, v4
	ds_bpermute_b32 v4, v5, v0
	ds_bpermute_b32 v5, v5, v1
	v_cmp_eq_u32_e32 vcc, 0, v8
	s_and_b64 exec, exec, vcc
	s_cbranch_execz .LBB434_7
; %bb.6:
	v_lshlrev_b64 v[2:3], 3, v[2:3]
	v_mov_b32_e32 v6, s1
	v_add_co_u32_e32 v2, vcc, s0, v2
	v_addc_co_u32_e32 v3, vcc, v6, v3, vcc
	s_waitcnt lgkmcnt(0)
	v_add_f64 v[0:1], v[0:1], v[4:5]
	global_store_dwordx2 v[2:3], v[0:1], off
.LBB434_7:
	s_endpgm
	.section	.rodata,"a",@progbits
	.p2align	6, 0x0
	.amdhsa_kernel _ZL28rocblas_dot_batched_4_kernelIlLi64ELi4ELb0EddPKfEviT5_lT_lS2_lS3_liPT4_
		.amdhsa_group_segment_fixed_size 0
		.amdhsa_private_segment_fixed_size 0
		.amdhsa_kernarg_size 88
		.amdhsa_user_sgpr_count 6
		.amdhsa_user_sgpr_private_segment_buffer 1
		.amdhsa_user_sgpr_dispatch_ptr 0
		.amdhsa_user_sgpr_queue_ptr 0
		.amdhsa_user_sgpr_kernarg_segment_ptr 1
		.amdhsa_user_sgpr_dispatch_id 0
		.amdhsa_user_sgpr_flat_scratch_init 0
		.amdhsa_user_sgpr_kernarg_preload_length 0
		.amdhsa_user_sgpr_kernarg_preload_offset 0
		.amdhsa_user_sgpr_private_segment_size 0
		.amdhsa_uses_dynamic_stack 0
		.amdhsa_system_sgpr_private_segment_wavefront_offset 0
		.amdhsa_system_sgpr_workgroup_id_x 1
		.amdhsa_system_sgpr_workgroup_id_y 0
		.amdhsa_system_sgpr_workgroup_id_z 0
		.amdhsa_system_sgpr_workgroup_info 0
		.amdhsa_system_vgpr_workitem_id 1
		.amdhsa_next_free_vgpr 16
		.amdhsa_next_free_sgpr 24
		.amdhsa_accum_offset 16
		.amdhsa_reserve_vcc 1
		.amdhsa_reserve_flat_scratch 0
		.amdhsa_float_round_mode_32 0
		.amdhsa_float_round_mode_16_64 0
		.amdhsa_float_denorm_mode_32 3
		.amdhsa_float_denorm_mode_16_64 3
		.amdhsa_dx10_clamp 1
		.amdhsa_ieee_mode 1
		.amdhsa_fp16_overflow 0
		.amdhsa_tg_split 0
		.amdhsa_exception_fp_ieee_invalid_op 0
		.amdhsa_exception_fp_denorm_src 0
		.amdhsa_exception_fp_ieee_div_zero 0
		.amdhsa_exception_fp_ieee_overflow 0
		.amdhsa_exception_fp_ieee_underflow 0
		.amdhsa_exception_fp_ieee_inexact 0
		.amdhsa_exception_int_div_zero 0
	.end_amdhsa_kernel
	.section	.text._ZL28rocblas_dot_batched_4_kernelIlLi64ELi4ELb0EddPKfEviT5_lT_lS2_lS3_liPT4_,"axG",@progbits,_ZL28rocblas_dot_batched_4_kernelIlLi64ELi4ELb0EddPKfEviT5_lT_lS2_lS3_liPT4_,comdat
.Lfunc_end434:
	.size	_ZL28rocblas_dot_batched_4_kernelIlLi64ELi4ELb0EddPKfEviT5_lT_lS2_lS3_liPT4_, .Lfunc_end434-_ZL28rocblas_dot_batched_4_kernelIlLi64ELi4ELb0EddPKfEviT5_lT_lS2_lS3_liPT4_
                                        ; -- End function
	.section	.AMDGPU.csdata,"",@progbits
; Kernel info:
; codeLenInByte = 800
; NumSgprs: 28
; NumVgprs: 16
; NumAgprs: 0
; TotalNumVgprs: 16
; ScratchSize: 0
; MemoryBound: 0
; FloatMode: 240
; IeeeMode: 1
; LDSByteSize: 0 bytes/workgroup (compile time only)
; SGPRBlocks: 3
; VGPRBlocks: 1
; NumSGPRsForWavesPerEU: 28
; NumVGPRsForWavesPerEU: 16
; AccumOffset: 16
; Occupancy: 8
; WaveLimiterHint : 0
; COMPUTE_PGM_RSRC2:SCRATCH_EN: 0
; COMPUTE_PGM_RSRC2:USER_SGPR: 6
; COMPUTE_PGM_RSRC2:TRAP_HANDLER: 0
; COMPUTE_PGM_RSRC2:TGID_X_EN: 1
; COMPUTE_PGM_RSRC2:TGID_Y_EN: 0
; COMPUTE_PGM_RSRC2:TGID_Z_EN: 0
; COMPUTE_PGM_RSRC2:TIDIG_COMP_CNT: 1
; COMPUTE_PGM_RSRC3_GFX90A:ACCUM_OFFSET: 3
; COMPUTE_PGM_RSRC3_GFX90A:TG_SPLIT: 0
	.section	.text._ZL18rocblas_dot_kernelIlLb1ELi1024ELi32ELb0EdPKfdEviT5_lT_lS2_lS3_liPT6_PT4_,"axG",@progbits,_ZL18rocblas_dot_kernelIlLb1ELi1024ELi32ELb0EdPKfdEviT5_lT_lS2_lS3_liPT6_PT4_,comdat
	.globl	_ZL18rocblas_dot_kernelIlLb1ELi1024ELi32ELb0EdPKfdEviT5_lT_lS2_lS3_liPT6_PT4_ ; -- Begin function _ZL18rocblas_dot_kernelIlLb1ELi1024ELi32ELb0EdPKfdEviT5_lT_lS2_lS3_liPT6_PT4_
	.p2align	8
	.type	_ZL18rocblas_dot_kernelIlLb1ELi1024ELi32ELb0EdPKfdEviT5_lT_lS2_lS3_liPT6_PT4_,@function
_ZL18rocblas_dot_kernelIlLb1ELi1024ELi32ELb0EdPKfdEviT5_lT_lS2_lS3_liPT6_PT4_: ; @_ZL18rocblas_dot_kernelIlLb1ELi1024ELi32ELb0EdPKfdEviT5_lT_lS2_lS3_liPT6_PT4_
; %bb.0:
	s_mov_b32 s2, s7
	s_load_dword s18, s[4:5], 0x0
	s_load_dwordx2 s[6:7], s[4:5], 0x58
	s_mov_b32 s3, 0
	v_pk_mov_b32 v[2:3], 0, 0
	s_waitcnt lgkmcnt(0)
	v_cmp_gt_i32_e32 vcc, s18, v0
	s_and_saveexec_b64 s[16:17], vcc
	s_cbranch_execz .LBB435_4
; %bb.1:
	s_load_dword s19, s[4:5], 0x60
	s_load_dwordx2 s[0:1], s[4:5], 0x40
	s_load_dwordx8 s[8:15], s[4:5], 0x20
	s_load_dwordx2 s[24:25], s[4:5], 0x8
	s_load_dwordx4 s[20:23], s[4:5], 0x10
	s_waitcnt lgkmcnt(0)
	s_lshl_b32 s19, s19, 10
	s_mul_i32 s1, s1, s2
	s_mul_i32 s4, s9, s2
	s_mul_hi_u32 s5, s8, s2
	s_add_i32 s5, s5, s4
	s_mul_i32 s4, s8, s2
	v_mad_u64_u32 v[2:3], s[8:9], s22, v0, 0
	v_mov_b32_e32 v4, v3
	v_mad_u64_u32 v[4:5], s[8:9], s23, v0, v[4:5]
	s_lshl_b64 s[4:5], s[4:5], 2
	s_lshl_b64 s[8:9], s[20:21], 2
	s_add_u32 s8, s24, s8
	s_addc_u32 s9, s25, s9
	v_mov_b32_e32 v3, v4
	s_add_u32 s4, s8, s4
	v_lshlrev_b64 v[2:3], 2, v[2:3]
	s_addc_u32 s5, s9, s5
	v_mov_b32_e32 v5, s5
	v_add_co_u32_e32 v4, vcc, s4, v2
	s_ashr_i32 s20, s19, 31
	s_mul_hi_u32 s8, s0, s2
	v_addc_co_u32_e32 v5, vcc, v5, v3, vcc
	s_mul_i32 s4, s22, s20
	s_mul_hi_u32 s5, s22, s19
	s_add_i32 s1, s8, s1
	v_mad_u64_u32 v[2:3], s[8:9], s14, v0, 0
	s_add_i32 s4, s5, s4
	s_mul_i32 s5, s23, s19
	v_mov_b32_e32 v6, v3
	s_add_i32 s5, s4, s5
	s_mul_i32 s4, s22, s19
	s_mul_i32 s0, s0, s2
	v_mad_u64_u32 v[6:7], s[8:9], s15, v0, v[6:7]
	s_lshl_b64 s[4:5], s[4:5], 2
	s_lshl_b64 s[0:1], s[0:1], 2
	;; [unrolled: 1-line block ×3, first 2 shown]
	s_add_u32 s8, s10, s8
	s_addc_u32 s9, s11, s9
	v_mov_b32_e32 v3, v6
	s_add_u32 s0, s8, s0
	v_lshlrev_b64 v[2:3], 2, v[2:3]
	s_addc_u32 s1, s9, s1
	v_mov_b32_e32 v7, s1
	v_add_co_u32_e32 v6, vcc, s0, v2
	s_mul_i32 s0, s14, s20
	s_mul_hi_u32 s1, s14, s19
	s_add_i32 s0, s1, s0
	s_mul_i32 s1, s15, s19
	s_add_i32 s1, s0, s1
	s_mul_i32 s0, s14, s19
	s_lshl_b64 s[10:11], s[0:1], 2
	v_or_b32_e32 v1, s19, v0
	v_addc_co_u32_e32 v7, vcc, v7, v3, vcc
	s_mov_b64 s[8:9], 0
	v_pk_mov_b32 v[2:3], 0, 0
	v_mov_b32_e32 v8, s5
	v_mov_b32_e32 v9, s11
	s_mov_b32 s5, s3
.LBB435_2:                              ; =>This Inner Loop Header: Depth=1
	global_load_dword v10, v[6:7], off
	global_load_dword v12, v[4:5], off
	v_add_co_u32_e64 v4, s[0:1], s4, v4
	v_addc_co_u32_e64 v5, s[0:1], v5, v8, s[0:1]
	s_add_i32 s11, s5, 1
	v_add_co_u32_e64 v6, s[0:1], s10, v6
	v_addc_co_u32_e64 v7, s[0:1], v7, v9, s[0:1]
	s_cmp_gt_u32 s5, 30
	v_cmp_le_i32_e32 vcc, s18, v1
	s_cselect_b64 s[0:1], -1, 0
	s_or_b64 s[0:1], s[0:1], vcc
	s_and_b64 s[0:1], exec, s[0:1]
	v_add_u32_e32 v1, s19, v1
	s_mov_b32 s5, s11
	s_or_b64 s[8:9], s[0:1], s[8:9]
	s_waitcnt vmcnt(1)
	v_cvt_f64_f32_e32 v[10:11], v10
	s_waitcnt vmcnt(0)
	v_cvt_f64_f32_e32 v[12:13], v12
	v_fmac_f64_e32 v[2:3], v[10:11], v[12:13]
	s_andn2_b64 exec, exec, s[8:9]
	s_cbranch_execnz .LBB435_2
; %bb.3:
	s_or_b64 exec, exec, s[8:9]
.LBB435_4:
	s_or_b64 exec, exec, s[16:17]
	v_and_b32_e32 v6, 63, v0
	v_cmp_gt_u32_e32 vcc, 64, v0
	v_lshlrev_b32_e32 v1, 3, v6
	s_and_saveexec_b64 s[0:1], vcc
	s_cbranch_execz .LBB435_6
; %bb.5:
	v_mov_b32_e32 v4, 0
	v_mov_b32_e32 v5, v4
	ds_write_b64 v1, v[4:5]
.LBB435_6:
	s_or_b64 exec, exec, s[0:1]
	v_mbcnt_lo_u32_b32 v4, -1, 0
	v_mbcnt_hi_u32_b32 v10, -1, v4
	v_and_b32_e32 v11, 63, v10
	v_cmp_gt_u32_e64 s[0:1], 32, v11
	v_cndmask_b32_e64 v4, 0, 1, s[0:1]
	v_lshlrev_b32_e32 v4, 5, v4
	v_add_lshl_u32 v5, v4, v10, 2
	ds_bpermute_b32 v4, v5, v2
	ds_bpermute_b32 v5, v5, v3
	v_cmp_gt_u32_e64 s[0:1], 48, v11
	v_cndmask_b32_e64 v7, 0, 1, s[0:1]
	v_cmp_gt_u32_e64 s[0:1], 56, v11
	s_waitcnt lgkmcnt(0)
	v_add_f64 v[2:3], v[2:3], v[4:5]
	v_lshlrev_b32_e32 v4, 4, v7
	v_add_lshl_u32 v5, v4, v10, 2
	ds_bpermute_b32 v4, v5, v2
	ds_bpermute_b32 v5, v5, v3
	s_barrier
	s_waitcnt lgkmcnt(0)
	v_add_f64 v[2:3], v[2:3], v[4:5]
	v_cndmask_b32_e64 v4, 0, 1, s[0:1]
	v_lshlrev_b32_e32 v4, 3, v4
	v_add_lshl_u32 v7, v4, v10, 2
	ds_bpermute_b32 v4, v7, v2
	ds_bpermute_b32 v5, v7, v3
	v_cmp_gt_u32_e64 s[0:1], 60, v11
	s_waitcnt lgkmcnt(0)
	v_add_f64 v[2:3], v[2:3], v[4:5]
	v_cndmask_b32_e64 v4, 0, 1, s[0:1]
	v_lshlrev_b32_e32 v4, 2, v4
	v_add_lshl_u32 v8, v4, v10, 2
	ds_bpermute_b32 v4, v8, v2
	ds_bpermute_b32 v5, v8, v3
	v_cmp_gt_u32_e64 s[0:1], 62, v11
	s_waitcnt lgkmcnt(0)
	v_add_f64 v[2:3], v[2:3], v[4:5]
	v_cndmask_b32_e64 v4, 0, 1, s[0:1]
	v_lshlrev_b32_e32 v4, 1, v4
	v_add_lshl_u32 v9, v4, v10, 2
	ds_bpermute_b32 v4, v9, v2
	ds_bpermute_b32 v5, v9, v3
	v_cmp_ne_u32_e64 s[0:1], 63, v11
	s_waitcnt lgkmcnt(0)
	v_add_f64 v[2:3], v[2:3], v[4:5]
	v_addc_co_u32_e64 v4, s[0:1], 0, v10, s[0:1]
	v_lshlrev_b32_e32 v10, 2, v4
	ds_bpermute_b32 v4, v10, v2
	ds_bpermute_b32 v5, v10, v3
	v_cmp_eq_u32_e64 s[0:1], 0, v6
	s_and_saveexec_b64 s[4:5], s[0:1]
	s_cbranch_execz .LBB435_8
; %bb.7:
	s_waitcnt lgkmcnt(0)
	v_add_f64 v[2:3], v[2:3], v[4:5]
	v_lshrrev_b32_e32 v4, 3, v0
	v_and_b32_e32 v4, 0x78, v4
	ds_write_b64 v4, v[2:3]
.LBB435_8:
	s_or_b64 exec, exec, s[4:5]
	v_cmp_gt_u32_e64 s[0:1], 16, v0
	v_pk_mov_b32 v[2:3], 0, 0
	s_waitcnt lgkmcnt(0)
	s_barrier
	s_and_saveexec_b64 s[4:5], s[0:1]
	s_cbranch_execnz .LBB435_12
; %bb.9:
	s_or_b64 exec, exec, s[4:5]
	s_and_saveexec_b64 s[0:1], vcc
	s_cbranch_execnz .LBB435_13
.LBB435_10:
	s_or_b64 exec, exec, s[0:1]
	v_cmp_eq_u32_e32 vcc, 0, v0
	s_and_saveexec_b64 s[0:1], vcc
	s_cbranch_execnz .LBB435_14
.LBB435_11:
	s_endpgm
.LBB435_12:
	ds_read_b64 v[2:3], v1
	s_or_b64 exec, exec, s[4:5]
	s_and_saveexec_b64 s[0:1], vcc
	s_cbranch_execz .LBB435_10
.LBB435_13:
	s_waitcnt lgkmcnt(0)
	ds_bpermute_b32 v4, v7, v2
	ds_bpermute_b32 v5, v7, v3
	s_waitcnt lgkmcnt(0)
	v_add_f64 v[2:3], v[2:3], v[4:5]
	ds_bpermute_b32 v4, v8, v2
	ds_bpermute_b32 v5, v8, v3
	s_waitcnt lgkmcnt(0)
	v_add_f64 v[2:3], v[2:3], v[4:5]
	;; [unrolled: 4-line block ×4, first 2 shown]
	s_or_b64 exec, exec, s[0:1]
	v_cmp_eq_u32_e32 vcc, 0, v0
	s_and_saveexec_b64 s[0:1], vcc
	s_cbranch_execz .LBB435_11
.LBB435_14:
	s_lshl_b64 s[0:1], s[2:3], 3
	s_add_u32 s0, s6, s0
	s_addc_u32 s1, s7, s1
	v_mov_b32_e32 v0, 0
	s_waitcnt lgkmcnt(0)
	global_store_dwordx2 v0, v[2:3], s[0:1]
	s_endpgm
	.section	.rodata,"a",@progbits
	.p2align	6, 0x0
	.amdhsa_kernel _ZL18rocblas_dot_kernelIlLb1ELi1024ELi32ELb0EdPKfdEviT5_lT_lS2_lS3_liPT6_PT4_
		.amdhsa_group_segment_fixed_size 512
		.amdhsa_private_segment_fixed_size 0
		.amdhsa_kernarg_size 352
		.amdhsa_user_sgpr_count 6
		.amdhsa_user_sgpr_private_segment_buffer 1
		.amdhsa_user_sgpr_dispatch_ptr 0
		.amdhsa_user_sgpr_queue_ptr 0
		.amdhsa_user_sgpr_kernarg_segment_ptr 1
		.amdhsa_user_sgpr_dispatch_id 0
		.amdhsa_user_sgpr_flat_scratch_init 0
		.amdhsa_user_sgpr_kernarg_preload_length 0
		.amdhsa_user_sgpr_kernarg_preload_offset 0
		.amdhsa_user_sgpr_private_segment_size 0
		.amdhsa_uses_dynamic_stack 0
		.amdhsa_system_sgpr_private_segment_wavefront_offset 0
		.amdhsa_system_sgpr_workgroup_id_x 1
		.amdhsa_system_sgpr_workgroup_id_y 0
		.amdhsa_system_sgpr_workgroup_id_z 1
		.amdhsa_system_sgpr_workgroup_info 0
		.amdhsa_system_vgpr_workitem_id 0
		.amdhsa_next_free_vgpr 14
		.amdhsa_next_free_sgpr 26
		.amdhsa_accum_offset 16
		.amdhsa_reserve_vcc 1
		.amdhsa_reserve_flat_scratch 0
		.amdhsa_float_round_mode_32 0
		.amdhsa_float_round_mode_16_64 0
		.amdhsa_float_denorm_mode_32 3
		.amdhsa_float_denorm_mode_16_64 3
		.amdhsa_dx10_clamp 1
		.amdhsa_ieee_mode 1
		.amdhsa_fp16_overflow 0
		.amdhsa_tg_split 0
		.amdhsa_exception_fp_ieee_invalid_op 0
		.amdhsa_exception_fp_denorm_src 0
		.amdhsa_exception_fp_ieee_div_zero 0
		.amdhsa_exception_fp_ieee_overflow 0
		.amdhsa_exception_fp_ieee_underflow 0
		.amdhsa_exception_fp_ieee_inexact 0
		.amdhsa_exception_int_div_zero 0
	.end_amdhsa_kernel
	.section	.text._ZL18rocblas_dot_kernelIlLb1ELi1024ELi32ELb0EdPKfdEviT5_lT_lS2_lS3_liPT6_PT4_,"axG",@progbits,_ZL18rocblas_dot_kernelIlLb1ELi1024ELi32ELb0EdPKfdEviT5_lT_lS2_lS3_liPT6_PT4_,comdat
.Lfunc_end435:
	.size	_ZL18rocblas_dot_kernelIlLb1ELi1024ELi32ELb0EdPKfdEviT5_lT_lS2_lS3_liPT6_PT4_, .Lfunc_end435-_ZL18rocblas_dot_kernelIlLb1ELi1024ELi32ELb0EdPKfdEviT5_lT_lS2_lS3_liPT6_PT4_
                                        ; -- End function
	.section	.AMDGPU.csdata,"",@progbits
; Kernel info:
; codeLenInByte = 1152
; NumSgprs: 30
; NumVgprs: 14
; NumAgprs: 0
; TotalNumVgprs: 14
; ScratchSize: 0
; MemoryBound: 0
; FloatMode: 240
; IeeeMode: 1
; LDSByteSize: 512 bytes/workgroup (compile time only)
; SGPRBlocks: 3
; VGPRBlocks: 1
; NumSGPRsForWavesPerEU: 30
; NumVGPRsForWavesPerEU: 14
; AccumOffset: 16
; Occupancy: 8
; WaveLimiterHint : 0
; COMPUTE_PGM_RSRC2:SCRATCH_EN: 0
; COMPUTE_PGM_RSRC2:USER_SGPR: 6
; COMPUTE_PGM_RSRC2:TRAP_HANDLER: 0
; COMPUTE_PGM_RSRC2:TGID_X_EN: 1
; COMPUTE_PGM_RSRC2:TGID_Y_EN: 0
; COMPUTE_PGM_RSRC2:TGID_Z_EN: 1
; COMPUTE_PGM_RSRC2:TIDIG_COMP_CNT: 0
; COMPUTE_PGM_RSRC3_GFX90A:ACCUM_OFFSET: 3
; COMPUTE_PGM_RSRC3_GFX90A:TG_SPLIT: 0
	.section	.text._ZL24rocblas_dot_kernel_magsqIlLb1ELi1024ELi32ELb0EdPKfdEviT5_lT_liPT6_PT4_,"axG",@progbits,_ZL24rocblas_dot_kernel_magsqIlLb1ELi1024ELi32ELb0EdPKfdEviT5_lT_liPT6_PT4_,comdat
	.globl	_ZL24rocblas_dot_kernel_magsqIlLb1ELi1024ELi32ELb0EdPKfdEviT5_lT_liPT6_PT4_ ; -- Begin function _ZL24rocblas_dot_kernel_magsqIlLb1ELi1024ELi32ELb0EdPKfdEviT5_lT_liPT6_PT4_
	.p2align	8
	.type	_ZL24rocblas_dot_kernel_magsqIlLb1ELi1024ELi32ELb0EdPKfdEviT5_lT_liPT6_PT4_,@function
_ZL24rocblas_dot_kernel_magsqIlLb1ELi1024ELi32ELb0EdPKfdEviT5_lT_liPT6_PT4_: ; @_ZL24rocblas_dot_kernel_magsqIlLb1ELi1024ELi32ELb0EdPKfdEviT5_lT_liPT6_PT4_
; %bb.0:
	s_mov_b32 s2, s7
	s_load_dword s12, s[4:5], 0x0
	s_load_dwordx2 s[6:7], s[4:5], 0x38
	s_mov_b32 s3, 0
	v_pk_mov_b32 v[2:3], 0, 0
	s_waitcnt lgkmcnt(0)
	v_cmp_gt_i32_e32 vcc, s12, v0
	s_and_saveexec_b64 s[8:9], vcc
	s_cbranch_execz .LBB436_4
; %bb.1:
	s_load_dword s13, s[4:5], 0x40
	s_load_dwordx2 s[0:1], s[4:5], 0x20
	s_load_dwordx2 s[10:11], s[4:5], 0x8
	s_load_dwordx4 s[16:19], s[4:5], 0x10
	s_waitcnt lgkmcnt(0)
	s_lshl_b32 s13, s13, 10
	s_mul_i32 s1, s1, s2
	s_mul_hi_u32 s4, s0, s2
	s_add_i32 s1, s4, s1
	v_mad_u64_u32 v[2:3], s[4:5], s18, v0, 0
	v_mov_b32_e32 v4, v3
	s_mul_i32 s0, s0, s2
	v_mad_u64_u32 v[4:5], s[4:5], s19, v0, v[4:5]
	s_lshl_b64 s[0:1], s[0:1], 2
	s_lshl_b64 s[4:5], s[16:17], 2
	s_add_u32 s4, s10, s4
	v_mov_b32_e32 v3, v4
	s_addc_u32 s5, s11, s5
	v_lshlrev_b64 v[2:3], 2, v[2:3]
	s_add_u32 s0, s4, s0
	s_addc_u32 s1, s5, s1
	v_add_co_u32_e32 v4, vcc, s0, v2
	s_ashr_i32 s0, s13, 31
	v_mov_b32_e32 v5, s1
	s_mul_i32 s0, s18, s0
	s_mul_hi_u32 s1, s18, s13
	s_add_i32 s0, s1, s0
	s_mul_i32 s1, s19, s13
	s_add_i32 s1, s0, s1
	s_mul_i32 s0, s18, s13
	s_lshl_b64 s[10:11], s[0:1], 2
	v_or_b32_e32 v1, s13, v0
	v_addc_co_u32_e32 v5, vcc, v5, v3, vcc
	s_mov_b64 s[4:5], 0
	v_pk_mov_b32 v[2:3], 0, 0
	v_mov_b32_e32 v6, s11
	s_mov_b32 s11, s3
.LBB436_2:                              ; =>This Inner Loop Header: Depth=1
	global_load_dword v7, v[4:5], off
	s_add_i32 s14, s11, 1
	v_add_co_u32_e64 v4, s[0:1], s10, v4
	v_addc_co_u32_e64 v5, s[0:1], v5, v6, s[0:1]
	s_cmp_gt_u32 s11, 30
	v_cmp_le_i32_e32 vcc, s12, v1
	s_cselect_b64 s[0:1], -1, 0
	s_or_b64 s[0:1], s[0:1], vcc
	s_and_b64 s[0:1], exec, s[0:1]
	v_add_u32_e32 v1, s13, v1
	s_mov_b32 s11, s14
	s_or_b64 s[4:5], s[0:1], s[4:5]
	s_waitcnt vmcnt(0)
	v_cvt_f64_f32_e32 v[8:9], v7
	v_fmac_f64_e32 v[2:3], v[8:9], v[8:9]
	s_andn2_b64 exec, exec, s[4:5]
	s_cbranch_execnz .LBB436_2
; %bb.3:
	s_or_b64 exec, exec, s[4:5]
.LBB436_4:
	s_or_b64 exec, exec, s[8:9]
	v_and_b32_e32 v6, 63, v0
	v_cmp_gt_u32_e32 vcc, 64, v0
	v_lshlrev_b32_e32 v1, 3, v6
	s_and_saveexec_b64 s[0:1], vcc
	s_cbranch_execz .LBB436_6
; %bb.5:
	v_mov_b32_e32 v4, 0
	v_mov_b32_e32 v5, v4
	ds_write_b64 v1, v[4:5]
.LBB436_6:
	s_or_b64 exec, exec, s[0:1]
	v_mbcnt_lo_u32_b32 v4, -1, 0
	v_mbcnt_hi_u32_b32 v10, -1, v4
	v_and_b32_e32 v11, 63, v10
	v_cmp_gt_u32_e64 s[0:1], 32, v11
	v_cndmask_b32_e64 v4, 0, 1, s[0:1]
	v_lshlrev_b32_e32 v4, 5, v4
	v_add_lshl_u32 v5, v4, v10, 2
	ds_bpermute_b32 v4, v5, v2
	ds_bpermute_b32 v5, v5, v3
	v_cmp_gt_u32_e64 s[0:1], 48, v11
	v_cndmask_b32_e64 v7, 0, 1, s[0:1]
	v_cmp_gt_u32_e64 s[0:1], 56, v11
	s_waitcnt lgkmcnt(0)
	v_add_f64 v[2:3], v[2:3], v[4:5]
	v_lshlrev_b32_e32 v4, 4, v7
	v_add_lshl_u32 v5, v4, v10, 2
	ds_bpermute_b32 v4, v5, v2
	ds_bpermute_b32 v5, v5, v3
	s_barrier
	s_waitcnt lgkmcnt(0)
	v_add_f64 v[2:3], v[2:3], v[4:5]
	v_cndmask_b32_e64 v4, 0, 1, s[0:1]
	v_lshlrev_b32_e32 v4, 3, v4
	v_add_lshl_u32 v7, v4, v10, 2
	ds_bpermute_b32 v4, v7, v2
	ds_bpermute_b32 v5, v7, v3
	v_cmp_gt_u32_e64 s[0:1], 60, v11
	s_waitcnt lgkmcnt(0)
	v_add_f64 v[2:3], v[2:3], v[4:5]
	v_cndmask_b32_e64 v4, 0, 1, s[0:1]
	v_lshlrev_b32_e32 v4, 2, v4
	v_add_lshl_u32 v8, v4, v10, 2
	ds_bpermute_b32 v4, v8, v2
	ds_bpermute_b32 v5, v8, v3
	v_cmp_gt_u32_e64 s[0:1], 62, v11
	s_waitcnt lgkmcnt(0)
	v_add_f64 v[2:3], v[2:3], v[4:5]
	v_cndmask_b32_e64 v4, 0, 1, s[0:1]
	v_lshlrev_b32_e32 v4, 1, v4
	v_add_lshl_u32 v9, v4, v10, 2
	ds_bpermute_b32 v4, v9, v2
	ds_bpermute_b32 v5, v9, v3
	v_cmp_ne_u32_e64 s[0:1], 63, v11
	s_waitcnt lgkmcnt(0)
	v_add_f64 v[2:3], v[2:3], v[4:5]
	v_addc_co_u32_e64 v4, s[0:1], 0, v10, s[0:1]
	v_lshlrev_b32_e32 v10, 2, v4
	ds_bpermute_b32 v4, v10, v2
	ds_bpermute_b32 v5, v10, v3
	v_cmp_eq_u32_e64 s[0:1], 0, v6
	s_and_saveexec_b64 s[4:5], s[0:1]
	s_cbranch_execz .LBB436_8
; %bb.7:
	s_waitcnt lgkmcnt(0)
	v_add_f64 v[2:3], v[2:3], v[4:5]
	v_lshrrev_b32_e32 v4, 3, v0
	v_and_b32_e32 v4, 0x78, v4
	ds_write_b64 v4, v[2:3]
.LBB436_8:
	s_or_b64 exec, exec, s[4:5]
	v_cmp_gt_u32_e64 s[0:1], 16, v0
	v_pk_mov_b32 v[2:3], 0, 0
	s_waitcnt lgkmcnt(0)
	s_barrier
	s_and_saveexec_b64 s[4:5], s[0:1]
	s_cbranch_execnz .LBB436_12
; %bb.9:
	s_or_b64 exec, exec, s[4:5]
	s_and_saveexec_b64 s[0:1], vcc
	s_cbranch_execnz .LBB436_13
.LBB436_10:
	s_or_b64 exec, exec, s[0:1]
	v_cmp_eq_u32_e32 vcc, 0, v0
	s_and_saveexec_b64 s[0:1], vcc
	s_cbranch_execnz .LBB436_14
.LBB436_11:
	s_endpgm
.LBB436_12:
	ds_read_b64 v[2:3], v1
	s_or_b64 exec, exec, s[4:5]
	s_and_saveexec_b64 s[0:1], vcc
	s_cbranch_execz .LBB436_10
.LBB436_13:
	s_waitcnt lgkmcnt(0)
	ds_bpermute_b32 v4, v7, v2
	ds_bpermute_b32 v5, v7, v3
	s_waitcnt lgkmcnt(0)
	v_add_f64 v[2:3], v[2:3], v[4:5]
	ds_bpermute_b32 v4, v8, v2
	ds_bpermute_b32 v5, v8, v3
	s_waitcnt lgkmcnt(0)
	v_add_f64 v[2:3], v[2:3], v[4:5]
	;; [unrolled: 4-line block ×4, first 2 shown]
	s_or_b64 exec, exec, s[0:1]
	v_cmp_eq_u32_e32 vcc, 0, v0
	s_and_saveexec_b64 s[0:1], vcc
	s_cbranch_execz .LBB436_11
.LBB436_14:
	s_lshl_b64 s[0:1], s[2:3], 3
	s_add_u32 s0, s6, s0
	s_addc_u32 s1, s7, s1
	v_mov_b32_e32 v0, 0
	s_waitcnt lgkmcnt(0)
	global_store_dwordx2 v0, v[2:3], s[0:1]
	s_endpgm
	.section	.rodata,"a",@progbits
	.p2align	6, 0x0
	.amdhsa_kernel _ZL24rocblas_dot_kernel_magsqIlLb1ELi1024ELi32ELb0EdPKfdEviT5_lT_liPT6_PT4_
		.amdhsa_group_segment_fixed_size 512
		.amdhsa_private_segment_fixed_size 0
		.amdhsa_kernarg_size 320
		.amdhsa_user_sgpr_count 6
		.amdhsa_user_sgpr_private_segment_buffer 1
		.amdhsa_user_sgpr_dispatch_ptr 0
		.amdhsa_user_sgpr_queue_ptr 0
		.amdhsa_user_sgpr_kernarg_segment_ptr 1
		.amdhsa_user_sgpr_dispatch_id 0
		.amdhsa_user_sgpr_flat_scratch_init 0
		.amdhsa_user_sgpr_kernarg_preload_length 0
		.amdhsa_user_sgpr_kernarg_preload_offset 0
		.amdhsa_user_sgpr_private_segment_size 0
		.amdhsa_uses_dynamic_stack 0
		.amdhsa_system_sgpr_private_segment_wavefront_offset 0
		.amdhsa_system_sgpr_workgroup_id_x 1
		.amdhsa_system_sgpr_workgroup_id_y 0
		.amdhsa_system_sgpr_workgroup_id_z 1
		.amdhsa_system_sgpr_workgroup_info 0
		.amdhsa_system_vgpr_workitem_id 0
		.amdhsa_next_free_vgpr 12
		.amdhsa_next_free_sgpr 20
		.amdhsa_accum_offset 12
		.amdhsa_reserve_vcc 1
		.amdhsa_reserve_flat_scratch 0
		.amdhsa_float_round_mode_32 0
		.amdhsa_float_round_mode_16_64 0
		.amdhsa_float_denorm_mode_32 3
		.amdhsa_float_denorm_mode_16_64 3
		.amdhsa_dx10_clamp 1
		.amdhsa_ieee_mode 1
		.amdhsa_fp16_overflow 0
		.amdhsa_tg_split 0
		.amdhsa_exception_fp_ieee_invalid_op 0
		.amdhsa_exception_fp_denorm_src 0
		.amdhsa_exception_fp_ieee_div_zero 0
		.amdhsa_exception_fp_ieee_overflow 0
		.amdhsa_exception_fp_ieee_underflow 0
		.amdhsa_exception_fp_ieee_inexact 0
		.amdhsa_exception_int_div_zero 0
	.end_amdhsa_kernel
	.section	.text._ZL24rocblas_dot_kernel_magsqIlLb1ELi1024ELi32ELb0EdPKfdEviT5_lT_liPT6_PT4_,"axG",@progbits,_ZL24rocblas_dot_kernel_magsqIlLb1ELi1024ELi32ELb0EdPKfdEviT5_lT_liPT6_PT4_,comdat
.Lfunc_end436:
	.size	_ZL24rocblas_dot_kernel_magsqIlLb1ELi1024ELi32ELb0EdPKfdEviT5_lT_liPT6_PT4_, .Lfunc_end436-_ZL24rocblas_dot_kernel_magsqIlLb1ELi1024ELi32ELb0EdPKfdEviT5_lT_liPT6_PT4_
                                        ; -- End function
	.section	.AMDGPU.csdata,"",@progbits
; Kernel info:
; codeLenInByte = 996
; NumSgprs: 24
; NumVgprs: 12
; NumAgprs: 0
; TotalNumVgprs: 12
; ScratchSize: 0
; MemoryBound: 0
; FloatMode: 240
; IeeeMode: 1
; LDSByteSize: 512 bytes/workgroup (compile time only)
; SGPRBlocks: 2
; VGPRBlocks: 1
; NumSGPRsForWavesPerEU: 24
; NumVGPRsForWavesPerEU: 12
; AccumOffset: 12
; Occupancy: 8
; WaveLimiterHint : 0
; COMPUTE_PGM_RSRC2:SCRATCH_EN: 0
; COMPUTE_PGM_RSRC2:USER_SGPR: 6
; COMPUTE_PGM_RSRC2:TRAP_HANDLER: 0
; COMPUTE_PGM_RSRC2:TGID_X_EN: 1
; COMPUTE_PGM_RSRC2:TGID_Y_EN: 0
; COMPUTE_PGM_RSRC2:TGID_Z_EN: 1
; COMPUTE_PGM_RSRC2:TIDIG_COMP_CNT: 0
; COMPUTE_PGM_RSRC3_GFX90A:ACCUM_OFFSET: 2
; COMPUTE_PGM_RSRC3_GFX90A:TG_SPLIT: 0
	.section	.text._ZL38rocblas_dot_kernel_gfx942_float_doubleIlLi1024EdPKfdEviT2_lT_lS2_lS3_lPT3_PT1_,"axG",@progbits,_ZL38rocblas_dot_kernel_gfx942_float_doubleIlLi1024EdPKfdEviT2_lT_lS2_lS3_lPT3_PT1_,comdat
	.globl	_ZL38rocblas_dot_kernel_gfx942_float_doubleIlLi1024EdPKfdEviT2_lT_lS2_lS3_lPT3_PT1_ ; -- Begin function _ZL38rocblas_dot_kernel_gfx942_float_doubleIlLi1024EdPKfdEviT2_lT_lS2_lS3_lPT3_PT1_
	.p2align	8
	.type	_ZL38rocblas_dot_kernel_gfx942_float_doubleIlLi1024EdPKfdEviT2_lT_lS2_lS3_lPT3_PT1_,@function
_ZL38rocblas_dot_kernel_gfx942_float_doubleIlLi1024EdPKfdEviT2_lT_lS2_lS3_lPT3_PT1_: ; @_ZL38rocblas_dot_kernel_gfx942_float_doubleIlLi1024EdPKfdEviT2_lT_lS2_lS3_lPT3_PT1_
; %bb.0:
	s_endpgm
	.section	.rodata,"a",@progbits
	.p2align	6, 0x0
	.amdhsa_kernel _ZL38rocblas_dot_kernel_gfx942_float_doubleIlLi1024EdPKfdEviT2_lT_lS2_lS3_lPT3_PT1_
		.amdhsa_group_segment_fixed_size 0
		.amdhsa_private_segment_fixed_size 0
		.amdhsa_kernarg_size 88
		.amdhsa_user_sgpr_count 6
		.amdhsa_user_sgpr_private_segment_buffer 1
		.amdhsa_user_sgpr_dispatch_ptr 0
		.amdhsa_user_sgpr_queue_ptr 0
		.amdhsa_user_sgpr_kernarg_segment_ptr 1
		.amdhsa_user_sgpr_dispatch_id 0
		.amdhsa_user_sgpr_flat_scratch_init 0
		.amdhsa_user_sgpr_kernarg_preload_length 0
		.amdhsa_user_sgpr_kernarg_preload_offset 0
		.amdhsa_user_sgpr_private_segment_size 0
		.amdhsa_uses_dynamic_stack 0
		.amdhsa_system_sgpr_private_segment_wavefront_offset 0
		.amdhsa_system_sgpr_workgroup_id_x 1
		.amdhsa_system_sgpr_workgroup_id_y 0
		.amdhsa_system_sgpr_workgroup_id_z 0
		.amdhsa_system_sgpr_workgroup_info 0
		.amdhsa_system_vgpr_workitem_id 0
		.amdhsa_next_free_vgpr 1
		.amdhsa_next_free_sgpr 0
		.amdhsa_accum_offset 4
		.amdhsa_reserve_vcc 0
		.amdhsa_reserve_flat_scratch 0
		.amdhsa_float_round_mode_32 0
		.amdhsa_float_round_mode_16_64 0
		.amdhsa_float_denorm_mode_32 3
		.amdhsa_float_denorm_mode_16_64 3
		.amdhsa_dx10_clamp 1
		.amdhsa_ieee_mode 1
		.amdhsa_fp16_overflow 0
		.amdhsa_tg_split 0
		.amdhsa_exception_fp_ieee_invalid_op 0
		.amdhsa_exception_fp_denorm_src 0
		.amdhsa_exception_fp_ieee_div_zero 0
		.amdhsa_exception_fp_ieee_overflow 0
		.amdhsa_exception_fp_ieee_underflow 0
		.amdhsa_exception_fp_ieee_inexact 0
		.amdhsa_exception_int_div_zero 0
	.end_amdhsa_kernel
	.section	.text._ZL38rocblas_dot_kernel_gfx942_float_doubleIlLi1024EdPKfdEviT2_lT_lS2_lS3_lPT3_PT1_,"axG",@progbits,_ZL38rocblas_dot_kernel_gfx942_float_doubleIlLi1024EdPKfdEviT2_lT_lS2_lS3_lPT3_PT1_,comdat
.Lfunc_end437:
	.size	_ZL38rocblas_dot_kernel_gfx942_float_doubleIlLi1024EdPKfdEviT2_lT_lS2_lS3_lPT3_PT1_, .Lfunc_end437-_ZL38rocblas_dot_kernel_gfx942_float_doubleIlLi1024EdPKfdEviT2_lT_lS2_lS3_lPT3_PT1_
                                        ; -- End function
	.section	.AMDGPU.csdata,"",@progbits
; Kernel info:
; codeLenInByte = 4
; NumSgprs: 4
; NumVgprs: 0
; NumAgprs: 0
; TotalNumVgprs: 0
; ScratchSize: 0
; MemoryBound: 0
; FloatMode: 240
; IeeeMode: 1
; LDSByteSize: 0 bytes/workgroup (compile time only)
; SGPRBlocks: 0
; VGPRBlocks: 0
; NumSGPRsForWavesPerEU: 4
; NumVGPRsForWavesPerEU: 1
; AccumOffset: 4
; Occupancy: 8
; WaveLimiterHint : 0
; COMPUTE_PGM_RSRC2:SCRATCH_EN: 0
; COMPUTE_PGM_RSRC2:USER_SGPR: 6
; COMPUTE_PGM_RSRC2:TRAP_HANDLER: 0
; COMPUTE_PGM_RSRC2:TGID_X_EN: 1
; COMPUTE_PGM_RSRC2:TGID_Y_EN: 0
; COMPUTE_PGM_RSRC2:TGID_Z_EN: 0
; COMPUTE_PGM_RSRC2:TIDIG_COMP_CNT: 0
; COMPUTE_PGM_RSRC3_GFX90A:ACCUM_OFFSET: 0
; COMPUTE_PGM_RSRC3_GFX90A:TG_SPLIT: 0
	.section	.text._ZL18rocblas_dot_kernelIlLb0ELi512ELi2ELb0EdPKfdEviT5_lT_lS2_lS3_liPT6_PT4_,"axG",@progbits,_ZL18rocblas_dot_kernelIlLb0ELi512ELi2ELb0EdPKfdEviT5_lT_lS2_lS3_liPT6_PT4_,comdat
	.globl	_ZL18rocblas_dot_kernelIlLb0ELi512ELi2ELb0EdPKfdEviT5_lT_lS2_lS3_liPT6_PT4_ ; -- Begin function _ZL18rocblas_dot_kernelIlLb0ELi512ELi2ELb0EdPKfdEviT5_lT_lS2_lS3_liPT6_PT4_
	.p2align	8
	.type	_ZL18rocblas_dot_kernelIlLb0ELi512ELi2ELb0EdPKfdEviT5_lT_lS2_lS3_liPT6_PT4_,@function
_ZL18rocblas_dot_kernelIlLb0ELi512ELi2ELb0EdPKfdEviT5_lT_lS2_lS3_liPT6_PT4_: ; @_ZL18rocblas_dot_kernelIlLb0ELi512ELi2ELb0EdPKfdEviT5_lT_lS2_lS3_liPT6_PT4_
; %bb.0:
	s_mov_b32 s16, s7
	s_load_dword s7, s[4:5], 0x0
	s_load_dword s20, s[4:5], 0x60
	v_lshl_or_b32 v1, s6, 9, v0
	s_mov_b32 s17, 0
	v_pk_mov_b32 v[2:3], 0, 0
	s_waitcnt lgkmcnt(0)
	v_cmp_gt_i32_e32 vcc, s7, v1
	s_and_saveexec_b64 s[18:19], vcc
	s_cbranch_execz .LBB438_4
; %bb.1:
	s_load_dwordx8 s[8:15], s[4:5], 0x20
	s_load_dwordx2 s[22:23], s[4:5], 0x8
	s_load_dwordx4 s[0:3], s[4:5], 0x10
	s_load_dwordx2 s[24:25], s[4:5], 0x40
	v_ashrrev_i32_e32 v4, 31, v1
	s_waitcnt lgkmcnt(0)
	s_mul_i32 s9, s16, s9
	s_mul_hi_u32 s21, s16, s8
	s_add_i32 s9, s21, s9
	s_mul_i32 s8, s16, s8
	s_lshl_b64 s[8:9], s[8:9], 2
	s_add_u32 s8, s22, s8
	s_addc_u32 s9, s23, s9
	s_lshl_b64 s[0:1], s[0:1], 2
	s_add_u32 s8, s8, s0
	s_addc_u32 s9, s9, s1
	s_mul_i32 s0, s16, s25
	s_mul_hi_u32 s1, s16, s24
	s_add_i32 s1, s1, s0
	s_mul_i32 s0, s16, s24
	s_lshl_b64 s[0:1], s[0:1], 2
	s_add_u32 s10, s10, s0
	s_addc_u32 s11, s11, s1
	s_lshl_b64 s[0:1], s[12:13], 2
	s_add_u32 s10, s10, s0
	s_addc_u32 s11, s11, s1
	v_mul_lo_u32 v5, v1, s15
	v_mul_lo_u32 v6, v4, s14
	v_mad_u64_u32 v[2:3], s[0:1], v1, s14, 0
	v_add3_u32 v3, v3, v5, v6
	v_lshlrev_b64 v[2:3], 2, v[2:3]
	v_mov_b32_e32 v5, s11
	v_add_co_u32_e32 v2, vcc, s10, v2
	v_addc_co_u32_e32 v3, vcc, v5, v3, vcc
	v_mul_lo_u32 v6, v1, s3
	v_mul_lo_u32 v7, v4, s2
	v_mad_u64_u32 v[4:5], s[0:1], v1, s2, 0
	v_add3_u32 v5, v5, v6, v7
	v_lshlrev_b64 v[4:5], 2, v[4:5]
	v_mov_b32_e32 v1, s9
	v_add_co_u32_e32 v4, vcc, s8, v4
	v_addc_co_u32_e32 v5, vcc, v1, v5, vcc
	global_load_dword v6, v[4:5], off
	global_load_dword v7, v[2:3], off
	s_add_i32 s0, s6, s20
	v_lshl_or_b32 v1, s0, 9, v0
	v_cmp_gt_i32_e32 vcc, s7, v1
	s_waitcnt vmcnt(1)
	v_cvt_f64_f32_e32 v[2:3], v6
	s_waitcnt vmcnt(0)
	v_cvt_f64_f32_e32 v[4:5], v7
	v_fma_f64 v[2:3], v[4:5], v[2:3], 0
	s_and_saveexec_b64 s[0:1], vcc
	s_cbranch_execz .LBB438_3
; %bb.2:
	v_ashrrev_i32_e32 v6, 31, v1
	v_mul_lo_u32 v7, v1, s15
	v_mul_lo_u32 v8, v6, s14
	v_mad_u64_u32 v[4:5], s[12:13], v1, s14, 0
	v_add3_u32 v5, v5, v7, v8
	v_lshlrev_b64 v[4:5], 2, v[4:5]
	v_mov_b32_e32 v7, s11
	v_add_co_u32_e32 v4, vcc, s10, v4
	v_addc_co_u32_e32 v5, vcc, v7, v5, vcc
	global_load_dword v7, v[4:5], off
	v_mul_lo_u32 v8, v1, s3
	v_mul_lo_u32 v6, v6, s2
	v_mad_u64_u32 v[4:5], s[2:3], v1, s2, 0
	v_add3_u32 v5, v5, v8, v6
	v_lshlrev_b64 v[4:5], 2, v[4:5]
	v_mov_b32_e32 v1, s9
	v_add_co_u32_e32 v4, vcc, s8, v4
	v_addc_co_u32_e32 v5, vcc, v1, v5, vcc
	global_load_dword v1, v[4:5], off
	s_waitcnt vmcnt(1)
	v_cvt_f64_f32_e32 v[4:5], v7
	s_waitcnt vmcnt(0)
	v_cvt_f64_f32_e32 v[6:7], v1
	v_fmac_f64_e32 v[2:3], v[4:5], v[6:7]
.LBB438_3:
	s_or_b64 exec, exec, s[0:1]
.LBB438_4:
	s_or_b64 exec, exec, s[18:19]
	v_and_b32_e32 v6, 63, v0
	v_cmp_gt_u32_e32 vcc, 64, v0
	v_lshlrev_b32_e32 v1, 3, v6
	s_and_saveexec_b64 s[0:1], vcc
	s_cbranch_execz .LBB438_6
; %bb.5:
	v_mov_b32_e32 v4, 0
	v_mov_b32_e32 v5, v4
	ds_write_b64 v1, v[4:5]
.LBB438_6:
	s_or_b64 exec, exec, s[0:1]
	v_mbcnt_lo_u32_b32 v4, -1, 0
	v_mbcnt_hi_u32_b32 v9, -1, v4
	v_and_b32_e32 v10, 63, v9
	v_cmp_gt_u32_e64 s[0:1], 32, v10
	v_cndmask_b32_e64 v4, 0, 1, s[0:1]
	v_lshlrev_b32_e32 v4, 5, v4
	v_add_lshl_u32 v5, v4, v9, 2
	ds_bpermute_b32 v4, v5, v2
	ds_bpermute_b32 v5, v5, v3
	v_cmp_gt_u32_e64 s[0:1], 48, v10
	v_cndmask_b32_e64 v7, 0, 1, s[0:1]
	v_cmp_gt_u32_e64 s[0:1], 56, v10
	s_waitcnt lgkmcnt(0)
	v_add_f64 v[2:3], v[2:3], v[4:5]
	v_lshlrev_b32_e32 v4, 4, v7
	v_add_lshl_u32 v5, v4, v9, 2
	ds_bpermute_b32 v4, v5, v2
	ds_bpermute_b32 v5, v5, v3
	s_barrier
	s_waitcnt lgkmcnt(0)
	v_add_f64 v[2:3], v[2:3], v[4:5]
	v_cndmask_b32_e64 v4, 0, 1, s[0:1]
	v_lshlrev_b32_e32 v4, 3, v4
	v_add_lshl_u32 v5, v4, v9, 2
	ds_bpermute_b32 v4, v5, v2
	ds_bpermute_b32 v5, v5, v3
	v_cmp_gt_u32_e64 s[0:1], 60, v10
	s_waitcnt lgkmcnt(0)
	v_add_f64 v[2:3], v[2:3], v[4:5]
	v_cndmask_b32_e64 v4, 0, 1, s[0:1]
	v_lshlrev_b32_e32 v4, 2, v4
	v_add_lshl_u32 v7, v4, v9, 2
	ds_bpermute_b32 v4, v7, v2
	ds_bpermute_b32 v5, v7, v3
	v_cmp_gt_u32_e64 s[0:1], 62, v10
	s_waitcnt lgkmcnt(0)
	v_add_f64 v[2:3], v[2:3], v[4:5]
	v_cndmask_b32_e64 v4, 0, 1, s[0:1]
	v_lshlrev_b32_e32 v4, 1, v4
	v_add_lshl_u32 v8, v4, v9, 2
	ds_bpermute_b32 v4, v8, v2
	ds_bpermute_b32 v5, v8, v3
	v_cmp_ne_u32_e64 s[0:1], 63, v10
	s_waitcnt lgkmcnt(0)
	v_add_f64 v[2:3], v[2:3], v[4:5]
	v_addc_co_u32_e64 v4, s[0:1], 0, v9, s[0:1]
	v_lshlrev_b32_e32 v9, 2, v4
	ds_bpermute_b32 v4, v9, v2
	ds_bpermute_b32 v5, v9, v3
	v_cmp_eq_u32_e64 s[0:1], 0, v6
	s_and_saveexec_b64 s[2:3], s[0:1]
	s_cbranch_execz .LBB438_8
; %bb.7:
	s_waitcnt lgkmcnt(0)
	v_add_f64 v[2:3], v[2:3], v[4:5]
	v_lshrrev_b32_e32 v4, 3, v0
	v_and_b32_e32 v4, 56, v4
	ds_write_b64 v4, v[2:3]
.LBB438_8:
	s_or_b64 exec, exec, s[2:3]
	v_cmp_gt_u32_e64 s[0:1], 8, v0
	v_pk_mov_b32 v[2:3], 0, 0
	s_waitcnt lgkmcnt(0)
	s_barrier
	s_and_saveexec_b64 s[2:3], s[0:1]
	s_cbranch_execnz .LBB438_12
; %bb.9:
	s_or_b64 exec, exec, s[2:3]
	s_and_saveexec_b64 s[0:1], vcc
	s_cbranch_execnz .LBB438_13
.LBB438_10:
	s_or_b64 exec, exec, s[0:1]
	v_cmp_eq_u32_e32 vcc, 0, v0
	s_and_saveexec_b64 s[0:1], vcc
	s_cbranch_execnz .LBB438_14
.LBB438_11:
	s_endpgm
.LBB438_12:
	ds_read_b64 v[2:3], v1
	s_or_b64 exec, exec, s[2:3]
	s_and_saveexec_b64 s[0:1], vcc
	s_cbranch_execz .LBB438_10
.LBB438_13:
	s_waitcnt lgkmcnt(0)
	ds_bpermute_b32 v4, v7, v2
	ds_bpermute_b32 v5, v7, v3
	s_waitcnt lgkmcnt(0)
	v_add_f64 v[2:3], v[2:3], v[4:5]
	ds_bpermute_b32 v4, v8, v2
	ds_bpermute_b32 v5, v8, v3
	s_waitcnt lgkmcnt(0)
	v_add_f64 v[2:3], v[2:3], v[4:5]
	;; [unrolled: 4-line block ×3, first 2 shown]
	s_or_b64 exec, exec, s[0:1]
	v_cmp_eq_u32_e32 vcc, 0, v0
	s_and_saveexec_b64 s[0:1], vcc
	s_cbranch_execz .LBB438_11
.LBB438_14:
	s_cmp_lg_u32 s20, 1
	s_cbranch_scc0 .LBB438_16
; %bb.15:
	s_load_dwordx2 s[0:1], s[4:5], 0x50
	s_mul_hi_u32 s3, s20, s16
	s_mul_i32 s2, s20, s16
	s_lshl_b64 s[2:3], s[2:3], 3
	s_mov_b32 s7, 0
	s_waitcnt lgkmcnt(0)
	s_add_u32 s2, s0, s2
	s_addc_u32 s3, s1, s3
	s_lshl_b64 s[0:1], s[6:7], 3
	s_add_u32 s0, s2, s0
	s_addc_u32 s1, s3, s1
	s_cbranch_execz .LBB438_17
	s_branch .LBB438_18
.LBB438_16:
                                        ; implicit-def: $sgpr0_sgpr1
.LBB438_17:
	s_load_dwordx2 s[0:1], s[4:5], 0x58
	s_lshl_b64 s[2:3], s[16:17], 3
	s_waitcnt lgkmcnt(0)
	s_add_u32 s0, s0, s2
	s_addc_u32 s1, s1, s3
.LBB438_18:
	v_mov_b32_e32 v0, 0
	s_waitcnt lgkmcnt(0)
	global_store_dwordx2 v0, v[2:3], s[0:1]
	s_endpgm
	.section	.rodata,"a",@progbits
	.p2align	6, 0x0
	.amdhsa_kernel _ZL18rocblas_dot_kernelIlLb0ELi512ELi2ELb0EdPKfdEviT5_lT_lS2_lS3_liPT6_PT4_
		.amdhsa_group_segment_fixed_size 512
		.amdhsa_private_segment_fixed_size 0
		.amdhsa_kernarg_size 352
		.amdhsa_user_sgpr_count 6
		.amdhsa_user_sgpr_private_segment_buffer 1
		.amdhsa_user_sgpr_dispatch_ptr 0
		.amdhsa_user_sgpr_queue_ptr 0
		.amdhsa_user_sgpr_kernarg_segment_ptr 1
		.amdhsa_user_sgpr_dispatch_id 0
		.amdhsa_user_sgpr_flat_scratch_init 0
		.amdhsa_user_sgpr_kernarg_preload_length 0
		.amdhsa_user_sgpr_kernarg_preload_offset 0
		.amdhsa_user_sgpr_private_segment_size 0
		.amdhsa_uses_dynamic_stack 0
		.amdhsa_system_sgpr_private_segment_wavefront_offset 0
		.amdhsa_system_sgpr_workgroup_id_x 1
		.amdhsa_system_sgpr_workgroup_id_y 0
		.amdhsa_system_sgpr_workgroup_id_z 1
		.amdhsa_system_sgpr_workgroup_info 0
		.amdhsa_system_vgpr_workitem_id 0
		.amdhsa_next_free_vgpr 11
		.amdhsa_next_free_sgpr 26
		.amdhsa_accum_offset 12
		.amdhsa_reserve_vcc 1
		.amdhsa_reserve_flat_scratch 0
		.amdhsa_float_round_mode_32 0
		.amdhsa_float_round_mode_16_64 0
		.amdhsa_float_denorm_mode_32 3
		.amdhsa_float_denorm_mode_16_64 3
		.amdhsa_dx10_clamp 1
		.amdhsa_ieee_mode 1
		.amdhsa_fp16_overflow 0
		.amdhsa_tg_split 0
		.amdhsa_exception_fp_ieee_invalid_op 0
		.amdhsa_exception_fp_denorm_src 0
		.amdhsa_exception_fp_ieee_div_zero 0
		.amdhsa_exception_fp_ieee_overflow 0
		.amdhsa_exception_fp_ieee_underflow 0
		.amdhsa_exception_fp_ieee_inexact 0
		.amdhsa_exception_int_div_zero 0
	.end_amdhsa_kernel
	.section	.text._ZL18rocblas_dot_kernelIlLb0ELi512ELi2ELb0EdPKfdEviT5_lT_lS2_lS3_liPT6_PT4_,"axG",@progbits,_ZL18rocblas_dot_kernelIlLb0ELi512ELi2ELb0EdPKfdEviT5_lT_lS2_lS3_liPT6_PT4_,comdat
.Lfunc_end438:
	.size	_ZL18rocblas_dot_kernelIlLb0ELi512ELi2ELb0EdPKfdEviT5_lT_lS2_lS3_liPT6_PT4_, .Lfunc_end438-_ZL18rocblas_dot_kernelIlLb0ELi512ELi2ELb0EdPKfdEviT5_lT_lS2_lS3_liPT6_PT4_
                                        ; -- End function
	.section	.AMDGPU.csdata,"",@progbits
; Kernel info:
; codeLenInByte = 1220
; NumSgprs: 30
; NumVgprs: 11
; NumAgprs: 0
; TotalNumVgprs: 11
; ScratchSize: 0
; MemoryBound: 0
; FloatMode: 240
; IeeeMode: 1
; LDSByteSize: 512 bytes/workgroup (compile time only)
; SGPRBlocks: 3
; VGPRBlocks: 1
; NumSGPRsForWavesPerEU: 30
; NumVGPRsForWavesPerEU: 11
; AccumOffset: 12
; Occupancy: 8
; WaveLimiterHint : 0
; COMPUTE_PGM_RSRC2:SCRATCH_EN: 0
; COMPUTE_PGM_RSRC2:USER_SGPR: 6
; COMPUTE_PGM_RSRC2:TRAP_HANDLER: 0
; COMPUTE_PGM_RSRC2:TGID_X_EN: 1
; COMPUTE_PGM_RSRC2:TGID_Y_EN: 0
; COMPUTE_PGM_RSRC2:TGID_Z_EN: 1
; COMPUTE_PGM_RSRC2:TIDIG_COMP_CNT: 0
; COMPUTE_PGM_RSRC3_GFX90A:ACCUM_OFFSET: 2
; COMPUTE_PGM_RSRC3_GFX90A:TG_SPLIT: 0
	.section	.text._ZL24rocblas_dot_kernel_magsqIlLb0ELi512ELi2ELb0EdPKfdEviT5_lT_liPT6_PT4_,"axG",@progbits,_ZL24rocblas_dot_kernel_magsqIlLb0ELi512ELi2ELb0EdPKfdEviT5_lT_liPT6_PT4_,comdat
	.globl	_ZL24rocblas_dot_kernel_magsqIlLb0ELi512ELi2ELb0EdPKfdEviT5_lT_liPT6_PT4_ ; -- Begin function _ZL24rocblas_dot_kernel_magsqIlLb0ELi512ELi2ELb0EdPKfdEviT5_lT_liPT6_PT4_
	.p2align	8
	.type	_ZL24rocblas_dot_kernel_magsqIlLb0ELi512ELi2ELb0EdPKfdEviT5_lT_liPT6_PT4_,@function
_ZL24rocblas_dot_kernel_magsqIlLb0ELi512ELi2ELb0EdPKfdEviT5_lT_liPT6_PT4_: ; @_ZL24rocblas_dot_kernel_magsqIlLb0ELi512ELi2ELb0EdPKfdEviT5_lT_liPT6_PT4_
; %bb.0:
	s_mov_b32 s8, s7
	s_load_dword s7, s[4:5], 0x0
	s_load_dword s12, s[4:5], 0x40
	v_lshl_or_b32 v1, s6, 9, v0
	s_mov_b32 s9, 0
	v_pk_mov_b32 v[2:3], 0, 0
	s_waitcnt lgkmcnt(0)
	v_cmp_gt_i32_e32 vcc, s7, v1
	s_and_saveexec_b64 s[10:11], vcc
	s_cbranch_execz .LBB439_4
; %bb.1:
	s_load_dwordx2 s[14:15], s[4:5], 0x20
	s_load_dwordx2 s[16:17], s[4:5], 0x8
	s_load_dwordx4 s[0:3], s[4:5], 0x10
	v_ashrrev_i32_e32 v2, 31, v1
	s_waitcnt lgkmcnt(0)
	s_mul_i32 s13, s8, s15
	s_mul_hi_u32 s15, s8, s14
	s_mul_i32 s14, s8, s14
	s_add_i32 s15, s15, s13
	s_lshl_b64 s[14:15], s[14:15], 2
	s_add_u32 s13, s16, s14
	s_addc_u32 s14, s17, s15
	s_lshl_b64 s[0:1], s[0:1], 2
	s_add_u32 s13, s13, s0
	s_addc_u32 s14, s14, s1
	v_mul_lo_u32 v4, v1, s3
	v_mul_lo_u32 v5, v2, s2
	v_mad_u64_u32 v[2:3], s[0:1], v1, s2, 0
	v_add3_u32 v3, v3, v4, v5
	v_lshlrev_b64 v[2:3], 2, v[2:3]
	v_mov_b32_e32 v1, s14
	v_add_co_u32_e32 v2, vcc, s13, v2
	v_addc_co_u32_e32 v3, vcc, v1, v3, vcc
	global_load_dword v2, v[2:3], off
	s_add_i32 s0, s6, s12
	v_lshl_or_b32 v1, s0, 9, v0
	v_cmp_gt_i32_e32 vcc, s7, v1
	s_waitcnt vmcnt(0)
	v_cvt_f64_f32_e32 v[2:3], v2
	v_mul_f64 v[2:3], v[2:3], v[2:3]
	s_and_saveexec_b64 s[0:1], vcc
	s_cbranch_execz .LBB439_3
; %bb.2:
	v_ashrrev_i32_e32 v4, 31, v1
	v_mul_lo_u32 v6, v1, s3
	v_mul_lo_u32 v7, v4, s2
	v_mad_u64_u32 v[4:5], s[2:3], v1, s2, 0
	v_add3_u32 v5, v5, v6, v7
	v_lshlrev_b64 v[4:5], 2, v[4:5]
	v_mov_b32_e32 v1, s14
	v_add_co_u32_e32 v4, vcc, s13, v4
	v_addc_co_u32_e32 v5, vcc, v1, v5, vcc
	global_load_dword v1, v[4:5], off
	s_waitcnt vmcnt(0)
	v_cvt_f64_f32_e32 v[4:5], v1
	v_fmac_f64_e32 v[2:3], v[4:5], v[4:5]
.LBB439_3:
	s_or_b64 exec, exec, s[0:1]
.LBB439_4:
	s_or_b64 exec, exec, s[10:11]
	v_and_b32_e32 v6, 63, v0
	v_cmp_gt_u32_e32 vcc, 64, v0
	v_lshlrev_b32_e32 v1, 3, v6
	s_and_saveexec_b64 s[0:1], vcc
	s_cbranch_execz .LBB439_6
; %bb.5:
	v_mov_b32_e32 v4, 0
	v_mov_b32_e32 v5, v4
	ds_write_b64 v1, v[4:5]
.LBB439_6:
	s_or_b64 exec, exec, s[0:1]
	v_mbcnt_lo_u32_b32 v4, -1, 0
	v_mbcnt_hi_u32_b32 v9, -1, v4
	v_and_b32_e32 v10, 63, v9
	v_cmp_gt_u32_e64 s[0:1], 32, v10
	v_cndmask_b32_e64 v4, 0, 1, s[0:1]
	v_lshlrev_b32_e32 v4, 5, v4
	v_add_lshl_u32 v5, v4, v9, 2
	ds_bpermute_b32 v4, v5, v2
	ds_bpermute_b32 v5, v5, v3
	v_cmp_gt_u32_e64 s[0:1], 48, v10
	v_cndmask_b32_e64 v7, 0, 1, s[0:1]
	v_cmp_gt_u32_e64 s[0:1], 56, v10
	s_waitcnt lgkmcnt(0)
	v_add_f64 v[2:3], v[2:3], v[4:5]
	v_lshlrev_b32_e32 v4, 4, v7
	v_add_lshl_u32 v5, v4, v9, 2
	ds_bpermute_b32 v4, v5, v2
	ds_bpermute_b32 v5, v5, v3
	s_barrier
	s_waitcnt lgkmcnt(0)
	v_add_f64 v[2:3], v[2:3], v[4:5]
	v_cndmask_b32_e64 v4, 0, 1, s[0:1]
	v_lshlrev_b32_e32 v4, 3, v4
	v_add_lshl_u32 v5, v4, v9, 2
	ds_bpermute_b32 v4, v5, v2
	ds_bpermute_b32 v5, v5, v3
	v_cmp_gt_u32_e64 s[0:1], 60, v10
	s_waitcnt lgkmcnt(0)
	v_add_f64 v[2:3], v[2:3], v[4:5]
	v_cndmask_b32_e64 v4, 0, 1, s[0:1]
	v_lshlrev_b32_e32 v4, 2, v4
	v_add_lshl_u32 v7, v4, v9, 2
	ds_bpermute_b32 v4, v7, v2
	ds_bpermute_b32 v5, v7, v3
	v_cmp_gt_u32_e64 s[0:1], 62, v10
	s_waitcnt lgkmcnt(0)
	v_add_f64 v[2:3], v[2:3], v[4:5]
	v_cndmask_b32_e64 v4, 0, 1, s[0:1]
	v_lshlrev_b32_e32 v4, 1, v4
	v_add_lshl_u32 v8, v4, v9, 2
	ds_bpermute_b32 v4, v8, v2
	ds_bpermute_b32 v5, v8, v3
	v_cmp_ne_u32_e64 s[0:1], 63, v10
	s_waitcnt lgkmcnt(0)
	v_add_f64 v[2:3], v[2:3], v[4:5]
	v_addc_co_u32_e64 v4, s[0:1], 0, v9, s[0:1]
	v_lshlrev_b32_e32 v9, 2, v4
	ds_bpermute_b32 v4, v9, v2
	ds_bpermute_b32 v5, v9, v3
	v_cmp_eq_u32_e64 s[0:1], 0, v6
	s_and_saveexec_b64 s[2:3], s[0:1]
	s_cbranch_execz .LBB439_8
; %bb.7:
	s_waitcnt lgkmcnt(0)
	v_add_f64 v[2:3], v[2:3], v[4:5]
	v_lshrrev_b32_e32 v4, 3, v0
	v_and_b32_e32 v4, 56, v4
	ds_write_b64 v4, v[2:3]
.LBB439_8:
	s_or_b64 exec, exec, s[2:3]
	v_cmp_gt_u32_e64 s[0:1], 8, v0
	v_pk_mov_b32 v[2:3], 0, 0
	s_waitcnt lgkmcnt(0)
	s_barrier
	s_and_saveexec_b64 s[2:3], s[0:1]
	s_cbranch_execnz .LBB439_12
; %bb.9:
	s_or_b64 exec, exec, s[2:3]
	s_and_saveexec_b64 s[0:1], vcc
	s_cbranch_execnz .LBB439_13
.LBB439_10:
	s_or_b64 exec, exec, s[0:1]
	v_cmp_eq_u32_e32 vcc, 0, v0
	s_and_saveexec_b64 s[0:1], vcc
	s_cbranch_execnz .LBB439_14
.LBB439_11:
	s_endpgm
.LBB439_12:
	ds_read_b64 v[2:3], v1
	s_or_b64 exec, exec, s[2:3]
	s_and_saveexec_b64 s[0:1], vcc
	s_cbranch_execz .LBB439_10
.LBB439_13:
	s_waitcnt lgkmcnt(0)
	ds_bpermute_b32 v4, v7, v2
	ds_bpermute_b32 v5, v7, v3
	s_waitcnt lgkmcnt(0)
	v_add_f64 v[2:3], v[2:3], v[4:5]
	ds_bpermute_b32 v4, v8, v2
	ds_bpermute_b32 v5, v8, v3
	s_waitcnt lgkmcnt(0)
	v_add_f64 v[2:3], v[2:3], v[4:5]
	;; [unrolled: 4-line block ×3, first 2 shown]
	s_or_b64 exec, exec, s[0:1]
	v_cmp_eq_u32_e32 vcc, 0, v0
	s_and_saveexec_b64 s[0:1], vcc
	s_cbranch_execz .LBB439_11
.LBB439_14:
	s_cmp_lg_u32 s12, 1
	s_cbranch_scc0 .LBB439_16
; %bb.15:
	s_load_dwordx2 s[0:1], s[4:5], 0x30
	s_mul_hi_u32 s3, s12, s8
	s_mul_i32 s2, s12, s8
	s_lshl_b64 s[2:3], s[2:3], 3
	s_mov_b32 s7, 0
	s_waitcnt lgkmcnt(0)
	s_add_u32 s2, s0, s2
	s_addc_u32 s3, s1, s3
	s_lshl_b64 s[0:1], s[6:7], 3
	s_add_u32 s0, s2, s0
	s_addc_u32 s1, s3, s1
	s_cbranch_execz .LBB439_17
	s_branch .LBB439_18
.LBB439_16:
                                        ; implicit-def: $sgpr0_sgpr1
.LBB439_17:
	s_load_dwordx2 s[0:1], s[4:5], 0x38
	s_lshl_b64 s[2:3], s[8:9], 3
	s_waitcnt lgkmcnt(0)
	s_add_u32 s0, s0, s2
	s_addc_u32 s1, s1, s3
.LBB439_18:
	v_mov_b32_e32 v0, 0
	s_waitcnt lgkmcnt(0)
	global_store_dwordx2 v0, v[2:3], s[0:1]
	s_endpgm
	.section	.rodata,"a",@progbits
	.p2align	6, 0x0
	.amdhsa_kernel _ZL24rocblas_dot_kernel_magsqIlLb0ELi512ELi2ELb0EdPKfdEviT5_lT_liPT6_PT4_
		.amdhsa_group_segment_fixed_size 512
		.amdhsa_private_segment_fixed_size 0
		.amdhsa_kernarg_size 320
		.amdhsa_user_sgpr_count 6
		.amdhsa_user_sgpr_private_segment_buffer 1
		.amdhsa_user_sgpr_dispatch_ptr 0
		.amdhsa_user_sgpr_queue_ptr 0
		.amdhsa_user_sgpr_kernarg_segment_ptr 1
		.amdhsa_user_sgpr_dispatch_id 0
		.amdhsa_user_sgpr_flat_scratch_init 0
		.amdhsa_user_sgpr_kernarg_preload_length 0
		.amdhsa_user_sgpr_kernarg_preload_offset 0
		.amdhsa_user_sgpr_private_segment_size 0
		.amdhsa_uses_dynamic_stack 0
		.amdhsa_system_sgpr_private_segment_wavefront_offset 0
		.amdhsa_system_sgpr_workgroup_id_x 1
		.amdhsa_system_sgpr_workgroup_id_y 0
		.amdhsa_system_sgpr_workgroup_id_z 1
		.amdhsa_system_sgpr_workgroup_info 0
		.amdhsa_system_vgpr_workitem_id 0
		.amdhsa_next_free_vgpr 11
		.amdhsa_next_free_sgpr 18
		.amdhsa_accum_offset 12
		.amdhsa_reserve_vcc 1
		.amdhsa_reserve_flat_scratch 0
		.amdhsa_float_round_mode_32 0
		.amdhsa_float_round_mode_16_64 0
		.amdhsa_float_denorm_mode_32 3
		.amdhsa_float_denorm_mode_16_64 3
		.amdhsa_dx10_clamp 1
		.amdhsa_ieee_mode 1
		.amdhsa_fp16_overflow 0
		.amdhsa_tg_split 0
		.amdhsa_exception_fp_ieee_invalid_op 0
		.amdhsa_exception_fp_denorm_src 0
		.amdhsa_exception_fp_ieee_div_zero 0
		.amdhsa_exception_fp_ieee_overflow 0
		.amdhsa_exception_fp_ieee_underflow 0
		.amdhsa_exception_fp_ieee_inexact 0
		.amdhsa_exception_int_div_zero 0
	.end_amdhsa_kernel
	.section	.text._ZL24rocblas_dot_kernel_magsqIlLb0ELi512ELi2ELb0EdPKfdEviT5_lT_liPT6_PT4_,"axG",@progbits,_ZL24rocblas_dot_kernel_magsqIlLb0ELi512ELi2ELb0EdPKfdEviT5_lT_liPT6_PT4_,comdat
.Lfunc_end439:
	.size	_ZL24rocblas_dot_kernel_magsqIlLb0ELi512ELi2ELb0EdPKfdEviT5_lT_liPT6_PT4_, .Lfunc_end439-_ZL24rocblas_dot_kernel_magsqIlLb0ELi512ELi2ELb0EdPKfdEviT5_lT_liPT6_PT4_
                                        ; -- End function
	.section	.AMDGPU.csdata,"",@progbits
; Kernel info:
; codeLenInByte = 1036
; NumSgprs: 22
; NumVgprs: 11
; NumAgprs: 0
; TotalNumVgprs: 11
; ScratchSize: 0
; MemoryBound: 0
; FloatMode: 240
; IeeeMode: 1
; LDSByteSize: 512 bytes/workgroup (compile time only)
; SGPRBlocks: 2
; VGPRBlocks: 1
; NumSGPRsForWavesPerEU: 22
; NumVGPRsForWavesPerEU: 11
; AccumOffset: 12
; Occupancy: 8
; WaveLimiterHint : 0
; COMPUTE_PGM_RSRC2:SCRATCH_EN: 0
; COMPUTE_PGM_RSRC2:USER_SGPR: 6
; COMPUTE_PGM_RSRC2:TRAP_HANDLER: 0
; COMPUTE_PGM_RSRC2:TGID_X_EN: 1
; COMPUTE_PGM_RSRC2:TGID_Y_EN: 0
; COMPUTE_PGM_RSRC2:TGID_Z_EN: 1
; COMPUTE_PGM_RSRC2:TIDIG_COMP_CNT: 0
; COMPUTE_PGM_RSRC3_GFX90A:ACCUM_OFFSET: 2
; COMPUTE_PGM_RSRC3_GFX90A:TG_SPLIT: 0
	.section	.text._ZL28rocblas_dot_batched_4_kernelIiLi32ELi4ELb0EddPKPKfEviT5_lT_lS4_lS5_liPT4_,"axG",@progbits,_ZL28rocblas_dot_batched_4_kernelIiLi32ELi4ELb0EddPKPKfEviT5_lT_lS4_lS5_liPT4_,comdat
	.globl	_ZL28rocblas_dot_batched_4_kernelIiLi32ELi4ELb0EddPKPKfEviT5_lT_lS4_lS5_liPT4_ ; -- Begin function _ZL28rocblas_dot_batched_4_kernelIiLi32ELi4ELb0EddPKPKfEviT5_lT_lS4_lS5_liPT4_
	.p2align	8
	.type	_ZL28rocblas_dot_batched_4_kernelIiLi32ELi4ELb0EddPKPKfEviT5_lT_lS4_lS5_liPT4_,@function
_ZL28rocblas_dot_batched_4_kernelIiLi32ELi4ELb0EddPKPKfEviT5_lT_lS4_lS5_liPT4_: ; @_ZL28rocblas_dot_batched_4_kernelIiLi32ELi4ELb0EddPKPKfEviT5_lT_lS4_lS5_liPT4_
; %bb.0:
	s_load_dword s0, s[4:5], 0x48
	v_bfe_u32 v1, v0, 10, 10
	v_lshl_add_u32 v4, s6, 2, v1
	s_waitcnt lgkmcnt(0)
	v_cmp_gt_u32_e32 vcc, s0, v4
	s_and_saveexec_b64 s[0:1], vcc
	s_cbranch_execz .LBB440_7
; %bb.1:
	s_load_dword s14, s[4:5], 0x0
	s_load_dwordx2 s[6:7], s[4:5], 0x50
	v_mov_b32_e32 v5, 0
	v_and_b32_e32 v8, 0x3ff, v0
	v_pk_mov_b32 v[2:3], 0, 0
	s_waitcnt lgkmcnt(0)
	v_cmp_gt_i32_e32 vcc, s14, v8
	v_lshlrev_b64 v[0:1], 3, v[4:5]
	s_and_saveexec_b64 s[12:13], vcc
	s_cbranch_execz .LBB440_5
; %bb.2:
	s_load_dwordx4 s[0:3], s[4:5], 0x8
	s_load_dwordx4 s[8:11], s[4:5], 0x28
	s_load_dword s16, s[4:5], 0x18
	s_waitcnt lgkmcnt(0)
	v_mov_b32_e32 v3, s1
	v_add_co_u32_e32 v2, vcc, s0, v0
	v_addc_co_u32_e32 v3, vcc, v3, v1, vcc
	global_load_dwordx2 v[4:5], v[2:3], off
	v_mov_b32_e32 v3, s9
	v_add_co_u32_e32 v2, vcc, s8, v0
	v_addc_co_u32_e32 v3, vcc, v3, v1, vcc
	global_load_dwordx2 v[6:7], v[2:3], off
	s_load_dword s4, s[4:5], 0x38
	v_mad_i64_i32 v[10:11], s[8:9], s16, v8, 0
	s_lshl_b64 s[8:9], s[2:3], 2
	v_lshlrev_b64 v[10:11], 2, v[10:11]
	s_waitcnt lgkmcnt(0)
	v_mad_i64_i32 v[12:13], s[2:3], s4, v8, 0
	v_mov_b32_e32 v9, s9
	v_add_co_u32_e32 v15, vcc, s8, v10
	s_lshl_b64 s[10:11], s[10:11], 2
	v_lshlrev_b64 v[12:13], 2, v[12:13]
	v_addc_co_u32_e32 v11, vcc, v11, v9, vcc
	v_mov_b32_e32 v14, s11
	v_add_co_u32_e32 v12, vcc, s10, v12
	v_addc_co_u32_e32 v13, vcc, v13, v14, vcc
	s_ashr_i32 s17, s16, 31
	s_ashr_i32 s5, s4, 31
	s_lshl_b64 s[2:3], s[16:17], 7
	s_lshl_b64 s[4:5], s[4:5], 7
	s_mov_b64 s[0:1], 0
	v_pk_mov_b32 v[2:3], 0, 0
	v_mov_b32_e32 v9, s3
	v_mov_b32_e32 v10, s5
	s_waitcnt vmcnt(1)
	v_add_co_u32_e32 v4, vcc, v4, v15
	v_addc_co_u32_e32 v5, vcc, v5, v11, vcc
	v_mov_b32_e32 v11, v8
	s_waitcnt vmcnt(0)
	v_add_co_u32_e32 v6, vcc, v6, v12
	v_addc_co_u32_e32 v7, vcc, v7, v13, vcc
.LBB440_3:                              ; =>This Inner Loop Header: Depth=1
	global_load_dword v12, v[4:5], off
	global_load_dword v14, v[6:7], off
	v_add_co_u32_e32 v4, vcc, s2, v4
	v_addc_co_u32_e32 v5, vcc, v5, v9, vcc
	v_add_co_u32_e32 v6, vcc, s4, v6
	v_add_u32_e32 v11, 32, v11
	v_addc_co_u32_e32 v7, vcc, v7, v10, vcc
	v_cmp_le_i32_e32 vcc, s14, v11
	s_or_b64 s[0:1], vcc, s[0:1]
	s_waitcnt vmcnt(1)
	v_cvt_f64_f32_e32 v[12:13], v12
	s_waitcnt vmcnt(0)
	v_cvt_f64_f32_e32 v[14:15], v14
	v_fmac_f64_e32 v[2:3], v[12:13], v[14:15]
	s_andn2_b64 exec, exec, s[0:1]
	s_cbranch_execnz .LBB440_3
; %bb.4:
	s_or_b64 exec, exec, s[0:1]
.LBB440_5:
	s_or_b64 exec, exec, s[12:13]
	v_mbcnt_lo_u32_b32 v4, -1, 0
	v_mbcnt_hi_u32_b32 v6, -1, v4
	v_and_b32_e32 v7, 63, v6
	v_cmp_gt_u32_e32 vcc, 48, v7
	v_cndmask_b32_e64 v4, 0, 1, vcc
	v_lshlrev_b32_e32 v4, 4, v4
	v_add_lshl_u32 v5, v4, v6, 2
	ds_bpermute_b32 v4, v5, v2
	ds_bpermute_b32 v5, v5, v3
	v_cmp_gt_u32_e32 vcc, 56, v7
	v_cndmask_b32_e64 v9, 0, 1, vcc
	v_cmp_gt_u32_e32 vcc, 60, v7
	s_waitcnt lgkmcnt(0)
	v_add_f64 v[2:3], v[2:3], v[4:5]
	v_lshlrev_b32_e32 v4, 3, v9
	v_add_lshl_u32 v5, v4, v6, 2
	ds_bpermute_b32 v4, v5, v2
	ds_bpermute_b32 v5, v5, v3
	s_barrier
	s_waitcnt lgkmcnt(0)
	v_add_f64 v[2:3], v[2:3], v[4:5]
	v_cndmask_b32_e64 v4, 0, 1, vcc
	v_lshlrev_b32_e32 v4, 2, v4
	v_add_lshl_u32 v5, v4, v6, 2
	ds_bpermute_b32 v4, v5, v2
	ds_bpermute_b32 v5, v5, v3
	v_cmp_gt_u32_e32 vcc, 62, v7
	s_waitcnt lgkmcnt(0)
	v_add_f64 v[2:3], v[2:3], v[4:5]
	v_cndmask_b32_e64 v4, 0, 1, vcc
	v_lshlrev_b32_e32 v4, 1, v4
	v_add_lshl_u32 v5, v4, v6, 2
	ds_bpermute_b32 v4, v5, v2
	ds_bpermute_b32 v5, v5, v3
	v_cmp_ne_u32_e32 vcc, 63, v7
	s_waitcnt lgkmcnt(0)
	v_add_f64 v[2:3], v[2:3], v[4:5]
	v_addc_co_u32_e32 v4, vcc, 0, v6, vcc
	v_lshlrev_b32_e32 v5, 2, v4
	ds_bpermute_b32 v4, v5, v2
	ds_bpermute_b32 v5, v5, v3
	v_cmp_eq_u32_e32 vcc, 0, v8
	s_and_b64 exec, exec, vcc
	s_cbranch_execz .LBB440_7
; %bb.6:
	v_mov_b32_e32 v6, s7
	v_add_co_u32_e32 v0, vcc, s6, v0
	v_addc_co_u32_e32 v1, vcc, v6, v1, vcc
	s_waitcnt lgkmcnt(0)
	v_add_f64 v[2:3], v[2:3], v[4:5]
	global_store_dwordx2 v[0:1], v[2:3], off
.LBB440_7:
	s_endpgm
	.section	.rodata,"a",@progbits
	.p2align	6, 0x0
	.amdhsa_kernel _ZL28rocblas_dot_batched_4_kernelIiLi32ELi4ELb0EddPKPKfEviT5_lT_lS4_lS5_liPT4_
		.amdhsa_group_segment_fixed_size 0
		.amdhsa_private_segment_fixed_size 0
		.amdhsa_kernarg_size 88
		.amdhsa_user_sgpr_count 6
		.amdhsa_user_sgpr_private_segment_buffer 1
		.amdhsa_user_sgpr_dispatch_ptr 0
		.amdhsa_user_sgpr_queue_ptr 0
		.amdhsa_user_sgpr_kernarg_segment_ptr 1
		.amdhsa_user_sgpr_dispatch_id 0
		.amdhsa_user_sgpr_flat_scratch_init 0
		.amdhsa_user_sgpr_kernarg_preload_length 0
		.amdhsa_user_sgpr_kernarg_preload_offset 0
		.amdhsa_user_sgpr_private_segment_size 0
		.amdhsa_uses_dynamic_stack 0
		.amdhsa_system_sgpr_private_segment_wavefront_offset 0
		.amdhsa_system_sgpr_workgroup_id_x 1
		.amdhsa_system_sgpr_workgroup_id_y 0
		.amdhsa_system_sgpr_workgroup_id_z 0
		.amdhsa_system_sgpr_workgroup_info 0
		.amdhsa_system_vgpr_workitem_id 1
		.amdhsa_next_free_vgpr 16
		.amdhsa_next_free_sgpr 18
		.amdhsa_accum_offset 16
		.amdhsa_reserve_vcc 1
		.amdhsa_reserve_flat_scratch 0
		.amdhsa_float_round_mode_32 0
		.amdhsa_float_round_mode_16_64 0
		.amdhsa_float_denorm_mode_32 3
		.amdhsa_float_denorm_mode_16_64 3
		.amdhsa_dx10_clamp 1
		.amdhsa_ieee_mode 1
		.amdhsa_fp16_overflow 0
		.amdhsa_tg_split 0
		.amdhsa_exception_fp_ieee_invalid_op 0
		.amdhsa_exception_fp_denorm_src 0
		.amdhsa_exception_fp_ieee_div_zero 0
		.amdhsa_exception_fp_ieee_overflow 0
		.amdhsa_exception_fp_ieee_underflow 0
		.amdhsa_exception_fp_ieee_inexact 0
		.amdhsa_exception_int_div_zero 0
	.end_amdhsa_kernel
	.section	.text._ZL28rocblas_dot_batched_4_kernelIiLi32ELi4ELb0EddPKPKfEviT5_lT_lS4_lS5_liPT4_,"axG",@progbits,_ZL28rocblas_dot_batched_4_kernelIiLi32ELi4ELb0EddPKPKfEviT5_lT_lS4_lS5_liPT4_,comdat
.Lfunc_end440:
	.size	_ZL28rocblas_dot_batched_4_kernelIiLi32ELi4ELb0EddPKPKfEviT5_lT_lS4_lS5_liPT4_, .Lfunc_end440-_ZL28rocblas_dot_batched_4_kernelIiLi32ELi4ELb0EddPKPKfEviT5_lT_lS4_lS5_liPT4_
                                        ; -- End function
	.section	.AMDGPU.csdata,"",@progbits
; Kernel info:
; codeLenInByte = 696
; NumSgprs: 22
; NumVgprs: 16
; NumAgprs: 0
; TotalNumVgprs: 16
; ScratchSize: 0
; MemoryBound: 0
; FloatMode: 240
; IeeeMode: 1
; LDSByteSize: 0 bytes/workgroup (compile time only)
; SGPRBlocks: 2
; VGPRBlocks: 1
; NumSGPRsForWavesPerEU: 22
; NumVGPRsForWavesPerEU: 16
; AccumOffset: 16
; Occupancy: 8
; WaveLimiterHint : 0
; COMPUTE_PGM_RSRC2:SCRATCH_EN: 0
; COMPUTE_PGM_RSRC2:USER_SGPR: 6
; COMPUTE_PGM_RSRC2:TRAP_HANDLER: 0
; COMPUTE_PGM_RSRC2:TGID_X_EN: 1
; COMPUTE_PGM_RSRC2:TGID_Y_EN: 0
; COMPUTE_PGM_RSRC2:TGID_Z_EN: 0
; COMPUTE_PGM_RSRC2:TIDIG_COMP_CNT: 1
; COMPUTE_PGM_RSRC3_GFX90A:ACCUM_OFFSET: 3
; COMPUTE_PGM_RSRC3_GFX90A:TG_SPLIT: 0
	.section	.text._ZL28rocblas_dot_batched_4_kernelIiLi64ELi4ELb0EddPKPKfEviT5_lT_lS4_lS5_liPT4_,"axG",@progbits,_ZL28rocblas_dot_batched_4_kernelIiLi64ELi4ELb0EddPKPKfEviT5_lT_lS4_lS5_liPT4_,comdat
	.globl	_ZL28rocblas_dot_batched_4_kernelIiLi64ELi4ELb0EddPKPKfEviT5_lT_lS4_lS5_liPT4_ ; -- Begin function _ZL28rocblas_dot_batched_4_kernelIiLi64ELi4ELb0EddPKPKfEviT5_lT_lS4_lS5_liPT4_
	.p2align	8
	.type	_ZL28rocblas_dot_batched_4_kernelIiLi64ELi4ELb0EddPKPKfEviT5_lT_lS4_lS5_liPT4_,@function
_ZL28rocblas_dot_batched_4_kernelIiLi64ELi4ELb0EddPKPKfEviT5_lT_lS4_lS5_liPT4_: ; @_ZL28rocblas_dot_batched_4_kernelIiLi64ELi4ELb0EddPKPKfEviT5_lT_lS4_lS5_liPT4_
; %bb.0:
	s_load_dword s0, s[4:5], 0x48
	v_bfe_u32 v1, v0, 10, 10
	v_lshl_add_u32 v4, s6, 2, v1
	s_waitcnt lgkmcnt(0)
	v_cmp_gt_u32_e32 vcc, s0, v4
	s_and_saveexec_b64 s[0:1], vcc
	s_cbranch_execz .LBB441_7
; %bb.1:
	s_load_dword s14, s[4:5], 0x0
	s_load_dwordx2 s[6:7], s[4:5], 0x50
	v_mov_b32_e32 v5, 0
	v_and_b32_e32 v8, 0x3ff, v0
	v_pk_mov_b32 v[2:3], 0, 0
	s_waitcnt lgkmcnt(0)
	v_cmp_gt_i32_e32 vcc, s14, v8
	v_lshlrev_b64 v[0:1], 3, v[4:5]
	s_and_saveexec_b64 s[12:13], vcc
	s_cbranch_execz .LBB441_5
; %bb.2:
	s_load_dwordx4 s[0:3], s[4:5], 0x8
	s_load_dwordx4 s[8:11], s[4:5], 0x28
	s_load_dword s16, s[4:5], 0x18
	s_waitcnt lgkmcnt(0)
	v_mov_b32_e32 v3, s1
	v_add_co_u32_e32 v2, vcc, s0, v0
	v_addc_co_u32_e32 v3, vcc, v3, v1, vcc
	global_load_dwordx2 v[4:5], v[2:3], off
	v_mov_b32_e32 v3, s9
	v_add_co_u32_e32 v2, vcc, s8, v0
	v_addc_co_u32_e32 v3, vcc, v3, v1, vcc
	global_load_dwordx2 v[6:7], v[2:3], off
	s_load_dword s4, s[4:5], 0x38
	v_mad_i64_i32 v[10:11], s[8:9], s16, v8, 0
	s_lshl_b64 s[8:9], s[2:3], 2
	v_lshlrev_b64 v[10:11], 2, v[10:11]
	s_waitcnt lgkmcnt(0)
	v_mad_i64_i32 v[12:13], s[2:3], s4, v8, 0
	v_mov_b32_e32 v9, s9
	v_add_co_u32_e32 v15, vcc, s8, v10
	s_lshl_b64 s[10:11], s[10:11], 2
	v_lshlrev_b64 v[12:13], 2, v[12:13]
	v_addc_co_u32_e32 v11, vcc, v11, v9, vcc
	v_mov_b32_e32 v14, s11
	v_add_co_u32_e32 v12, vcc, s10, v12
	v_addc_co_u32_e32 v13, vcc, v13, v14, vcc
	s_ashr_i32 s17, s16, 31
	s_ashr_i32 s5, s4, 31
	s_lshl_b64 s[2:3], s[16:17], 8
	s_lshl_b64 s[4:5], s[4:5], 8
	s_mov_b64 s[0:1], 0
	v_pk_mov_b32 v[2:3], 0, 0
	v_mov_b32_e32 v9, s3
	v_mov_b32_e32 v10, s5
	s_waitcnt vmcnt(1)
	v_add_co_u32_e32 v4, vcc, v4, v15
	v_addc_co_u32_e32 v5, vcc, v5, v11, vcc
	v_mov_b32_e32 v11, v8
	s_waitcnt vmcnt(0)
	v_add_co_u32_e32 v6, vcc, v6, v12
	v_addc_co_u32_e32 v7, vcc, v7, v13, vcc
.LBB441_3:                              ; =>This Inner Loop Header: Depth=1
	global_load_dword v12, v[4:5], off
	global_load_dword v14, v[6:7], off
	v_add_co_u32_e32 v4, vcc, s2, v4
	v_addc_co_u32_e32 v5, vcc, v5, v9, vcc
	v_add_co_u32_e32 v6, vcc, s4, v6
	v_add_u32_e32 v11, 64, v11
	v_addc_co_u32_e32 v7, vcc, v7, v10, vcc
	v_cmp_le_i32_e32 vcc, s14, v11
	s_or_b64 s[0:1], vcc, s[0:1]
	s_waitcnt vmcnt(1)
	v_cvt_f64_f32_e32 v[12:13], v12
	s_waitcnt vmcnt(0)
	v_cvt_f64_f32_e32 v[14:15], v14
	v_fmac_f64_e32 v[2:3], v[12:13], v[14:15]
	s_andn2_b64 exec, exec, s[0:1]
	s_cbranch_execnz .LBB441_3
; %bb.4:
	s_or_b64 exec, exec, s[0:1]
.LBB441_5:
	s_or_b64 exec, exec, s[12:13]
	v_mbcnt_lo_u32_b32 v4, -1, 0
	v_mbcnt_hi_u32_b32 v6, -1, v4
	v_and_b32_e32 v7, 63, v6
	v_cmp_gt_u32_e32 vcc, 32, v7
	v_cndmask_b32_e64 v4, 0, 1, vcc
	v_lshlrev_b32_e32 v4, 5, v4
	v_add_lshl_u32 v5, v4, v6, 2
	ds_bpermute_b32 v4, v5, v2
	ds_bpermute_b32 v5, v5, v3
	v_cmp_gt_u32_e32 vcc, 48, v7
	v_cndmask_b32_e64 v9, 0, 1, vcc
	v_cmp_gt_u32_e32 vcc, 56, v7
	s_waitcnt lgkmcnt(0)
	v_add_f64 v[2:3], v[2:3], v[4:5]
	v_lshlrev_b32_e32 v4, 4, v9
	v_add_lshl_u32 v5, v4, v6, 2
	ds_bpermute_b32 v4, v5, v2
	ds_bpermute_b32 v5, v5, v3
	s_barrier
	s_waitcnt lgkmcnt(0)
	v_add_f64 v[2:3], v[2:3], v[4:5]
	v_cndmask_b32_e64 v4, 0, 1, vcc
	v_lshlrev_b32_e32 v4, 3, v4
	v_add_lshl_u32 v5, v4, v6, 2
	ds_bpermute_b32 v4, v5, v2
	ds_bpermute_b32 v5, v5, v3
	v_cmp_gt_u32_e32 vcc, 60, v7
	s_waitcnt lgkmcnt(0)
	v_add_f64 v[2:3], v[2:3], v[4:5]
	v_cndmask_b32_e64 v4, 0, 1, vcc
	v_lshlrev_b32_e32 v4, 2, v4
	v_add_lshl_u32 v5, v4, v6, 2
	ds_bpermute_b32 v4, v5, v2
	ds_bpermute_b32 v5, v5, v3
	v_cmp_gt_u32_e32 vcc, 62, v7
	s_waitcnt lgkmcnt(0)
	v_add_f64 v[2:3], v[2:3], v[4:5]
	v_cndmask_b32_e64 v4, 0, 1, vcc
	v_lshlrev_b32_e32 v4, 1, v4
	v_add_lshl_u32 v5, v4, v6, 2
	ds_bpermute_b32 v4, v5, v2
	ds_bpermute_b32 v5, v5, v3
	v_cmp_ne_u32_e32 vcc, 63, v7
	s_waitcnt lgkmcnt(0)
	v_add_f64 v[2:3], v[2:3], v[4:5]
	v_addc_co_u32_e32 v4, vcc, 0, v6, vcc
	v_lshlrev_b32_e32 v5, 2, v4
	ds_bpermute_b32 v4, v5, v2
	ds_bpermute_b32 v5, v5, v3
	v_cmp_eq_u32_e32 vcc, 0, v8
	s_and_b64 exec, exec, vcc
	s_cbranch_execz .LBB441_7
; %bb.6:
	v_mov_b32_e32 v6, s7
	v_add_co_u32_e32 v0, vcc, s6, v0
	v_addc_co_u32_e32 v1, vcc, v6, v1, vcc
	s_waitcnt lgkmcnt(0)
	v_add_f64 v[2:3], v[2:3], v[4:5]
	global_store_dwordx2 v[0:1], v[2:3], off
.LBB441_7:
	s_endpgm
	.section	.rodata,"a",@progbits
	.p2align	6, 0x0
	.amdhsa_kernel _ZL28rocblas_dot_batched_4_kernelIiLi64ELi4ELb0EddPKPKfEviT5_lT_lS4_lS5_liPT4_
		.amdhsa_group_segment_fixed_size 0
		.amdhsa_private_segment_fixed_size 0
		.amdhsa_kernarg_size 88
		.amdhsa_user_sgpr_count 6
		.amdhsa_user_sgpr_private_segment_buffer 1
		.amdhsa_user_sgpr_dispatch_ptr 0
		.amdhsa_user_sgpr_queue_ptr 0
		.amdhsa_user_sgpr_kernarg_segment_ptr 1
		.amdhsa_user_sgpr_dispatch_id 0
		.amdhsa_user_sgpr_flat_scratch_init 0
		.amdhsa_user_sgpr_kernarg_preload_length 0
		.amdhsa_user_sgpr_kernarg_preload_offset 0
		.amdhsa_user_sgpr_private_segment_size 0
		.amdhsa_uses_dynamic_stack 0
		.amdhsa_system_sgpr_private_segment_wavefront_offset 0
		.amdhsa_system_sgpr_workgroup_id_x 1
		.amdhsa_system_sgpr_workgroup_id_y 0
		.amdhsa_system_sgpr_workgroup_id_z 0
		.amdhsa_system_sgpr_workgroup_info 0
		.amdhsa_system_vgpr_workitem_id 1
		.amdhsa_next_free_vgpr 16
		.amdhsa_next_free_sgpr 18
		.amdhsa_accum_offset 16
		.amdhsa_reserve_vcc 1
		.amdhsa_reserve_flat_scratch 0
		.amdhsa_float_round_mode_32 0
		.amdhsa_float_round_mode_16_64 0
		.amdhsa_float_denorm_mode_32 3
		.amdhsa_float_denorm_mode_16_64 3
		.amdhsa_dx10_clamp 1
		.amdhsa_ieee_mode 1
		.amdhsa_fp16_overflow 0
		.amdhsa_tg_split 0
		.amdhsa_exception_fp_ieee_invalid_op 0
		.amdhsa_exception_fp_denorm_src 0
		.amdhsa_exception_fp_ieee_div_zero 0
		.amdhsa_exception_fp_ieee_overflow 0
		.amdhsa_exception_fp_ieee_underflow 0
		.amdhsa_exception_fp_ieee_inexact 0
		.amdhsa_exception_int_div_zero 0
	.end_amdhsa_kernel
	.section	.text._ZL28rocblas_dot_batched_4_kernelIiLi64ELi4ELb0EddPKPKfEviT5_lT_lS4_lS5_liPT4_,"axG",@progbits,_ZL28rocblas_dot_batched_4_kernelIiLi64ELi4ELb0EddPKPKfEviT5_lT_lS4_lS5_liPT4_,comdat
.Lfunc_end441:
	.size	_ZL28rocblas_dot_batched_4_kernelIiLi64ELi4ELb0EddPKPKfEviT5_lT_lS4_lS5_liPT4_, .Lfunc_end441-_ZL28rocblas_dot_batched_4_kernelIiLi64ELi4ELb0EddPKPKfEviT5_lT_lS4_lS5_liPT4_
                                        ; -- End function
	.section	.AMDGPU.csdata,"",@progbits
; Kernel info:
; codeLenInByte = 748
; NumSgprs: 22
; NumVgprs: 16
; NumAgprs: 0
; TotalNumVgprs: 16
; ScratchSize: 0
; MemoryBound: 0
; FloatMode: 240
; IeeeMode: 1
; LDSByteSize: 0 bytes/workgroup (compile time only)
; SGPRBlocks: 2
; VGPRBlocks: 1
; NumSGPRsForWavesPerEU: 22
; NumVGPRsForWavesPerEU: 16
; AccumOffset: 16
; Occupancy: 8
; WaveLimiterHint : 0
; COMPUTE_PGM_RSRC2:SCRATCH_EN: 0
; COMPUTE_PGM_RSRC2:USER_SGPR: 6
; COMPUTE_PGM_RSRC2:TRAP_HANDLER: 0
; COMPUTE_PGM_RSRC2:TGID_X_EN: 1
; COMPUTE_PGM_RSRC2:TGID_Y_EN: 0
; COMPUTE_PGM_RSRC2:TGID_Z_EN: 0
; COMPUTE_PGM_RSRC2:TIDIG_COMP_CNT: 1
; COMPUTE_PGM_RSRC3_GFX90A:ACCUM_OFFSET: 3
; COMPUTE_PGM_RSRC3_GFX90A:TG_SPLIT: 0
	.section	.text._ZL26rocblas_dot_kernel_inc1by2ILb1ELi1024ELi32ELb0EdPKPKfdEviT4_llS4_lliPT5_PT3_,"axG",@progbits,_ZL26rocblas_dot_kernel_inc1by2ILb1ELi1024ELi32ELb0EdPKPKfdEviT4_llS4_lliPT5_PT3_,comdat
	.globl	_ZL26rocblas_dot_kernel_inc1by2ILb1ELi1024ELi32ELb0EdPKPKfdEviT4_llS4_lliPT5_PT3_ ; -- Begin function _ZL26rocblas_dot_kernel_inc1by2ILb1ELi1024ELi32ELb0EdPKPKfdEviT4_llS4_lliPT5_PT3_
	.p2align	8
	.type	_ZL26rocblas_dot_kernel_inc1by2ILb1ELi1024ELi32ELb0EdPKPKfdEviT4_llS4_lliPT5_PT3_,@function
_ZL26rocblas_dot_kernel_inc1by2ILb1ELi1024ELi32ELb0EdPKPKfdEviT4_llS4_lliPT5_PT3_: ; @_ZL26rocblas_dot_kernel_inc1by2ILb1ELi1024ELi32ELb0EdPKPKfdEviT4_llS4_lliPT5_PT3_
; %bb.0:
	s_mov_b32 s2, s7
	s_load_dword s10, s[4:5], 0x0
	s_load_dwordx2 s[6:7], s[4:5], 0x48
	s_mov_b32 s3, 0
	v_pk_mov_b32 v[2:3], 0, 0
	s_waitcnt lgkmcnt(0)
	v_cmp_gt_i32_e32 vcc, s10, v0
	s_and_saveexec_b64 s[8:9], vcc
	s_cbranch_execz .LBB442_4
; %bb.1:
	s_load_dwordx4 s[12:15], s[4:5], 0x8
	s_load_dwordx4 s[16:19], s[4:5], 0x20
	s_lshl_b64 s[0:1], s[2:3], 3
	v_lshlrev_b32_e32 v2, 2, v0
	v_or_b32_e32 v1, 0x400, v0
	s_waitcnt lgkmcnt(0)
	s_add_u32 s4, s12, s0
	s_addc_u32 s5, s13, s1
	s_add_u32 s0, s16, s0
	s_addc_u32 s1, s17, s1
	s_load_dwordx2 s[0:1], s[0:1], 0x0
	s_lshl_b64 s[12:13], s[18:19], 2
	s_load_dwordx2 s[4:5], s[4:5], 0x0
	s_mov_b32 s11, s3
	s_waitcnt lgkmcnt(0)
	s_add_u32 s0, s0, s12
	s_addc_u32 s1, s1, s13
	v_mov_b32_e32 v3, s1
	v_add_co_u32_e32 v4, vcc, s0, v2
	s_lshl_b64 s[0:1], s[14:15], 2
	s_add_u32 s0, s4, s0
	v_addc_co_u32_e32 v5, vcc, 0, v3, vcc
	s_addc_u32 s1, s5, s1
	v_mov_b32_e32 v3, s1
	v_add_co_u32_e32 v6, vcc, s0, v2
	v_addc_co_u32_e32 v7, vcc, 0, v3, vcc
	s_mov_b64 s[4:5], 0
	v_pk_mov_b32 v[2:3], 0, 0
.LBB442_2:                              ; =>This Inner Loop Header: Depth=1
	global_load_dword v8, v[4:5], off
	global_load_dword v10, v[6:7], off
	s_add_i32 s12, s11, 1
	s_cmp_gt_u32 s11, 30
	v_cmp_le_i32_e64 s[0:1], s10, v1
	v_add_co_u32_e32 v4, vcc, 0x1000, v4
	s_mov_b32 s11, s12
	s_cselect_b64 s[12:13], -1, 0
	v_addc_co_u32_e32 v5, vcc, 0, v5, vcc
	s_or_b64 s[0:1], s[12:13], s[0:1]
	v_add_co_u32_e32 v6, vcc, 0x1000, v6
	s_and_b64 s[0:1], exec, s[0:1]
	v_add_u32_e32 v1, 0x400, v1
	v_addc_co_u32_e32 v7, vcc, 0, v7, vcc
	s_or_b64 s[4:5], s[0:1], s[4:5]
	s_waitcnt vmcnt(1)
	v_cvt_f64_f32_e32 v[8:9], v8
	s_waitcnt vmcnt(0)
	v_cvt_f64_f32_e32 v[10:11], v10
	v_fmac_f64_e32 v[2:3], v[8:9], v[10:11]
	s_andn2_b64 exec, exec, s[4:5]
	s_cbranch_execnz .LBB442_2
; %bb.3:
	s_or_b64 exec, exec, s[4:5]
.LBB442_4:
	s_or_b64 exec, exec, s[8:9]
	v_and_b32_e32 v6, 63, v0
	v_cmp_gt_u32_e32 vcc, 64, v0
	v_lshlrev_b32_e32 v1, 3, v6
	s_and_saveexec_b64 s[0:1], vcc
	s_cbranch_execz .LBB442_6
; %bb.5:
	v_mov_b32_e32 v4, 0
	v_mov_b32_e32 v5, v4
	ds_write_b64 v1, v[4:5]
.LBB442_6:
	s_or_b64 exec, exec, s[0:1]
	v_mbcnt_lo_u32_b32 v4, -1, 0
	v_mbcnt_hi_u32_b32 v10, -1, v4
	v_and_b32_e32 v11, 63, v10
	v_cmp_gt_u32_e64 s[0:1], 32, v11
	v_cndmask_b32_e64 v4, 0, 1, s[0:1]
	v_lshlrev_b32_e32 v4, 5, v4
	v_add_lshl_u32 v5, v4, v10, 2
	ds_bpermute_b32 v4, v5, v2
	ds_bpermute_b32 v5, v5, v3
	v_cmp_gt_u32_e64 s[0:1], 48, v11
	v_cndmask_b32_e64 v7, 0, 1, s[0:1]
	v_cmp_gt_u32_e64 s[0:1], 56, v11
	s_waitcnt lgkmcnt(0)
	v_add_f64 v[2:3], v[2:3], v[4:5]
	v_lshlrev_b32_e32 v4, 4, v7
	v_add_lshl_u32 v5, v4, v10, 2
	ds_bpermute_b32 v4, v5, v2
	ds_bpermute_b32 v5, v5, v3
	s_barrier
	s_waitcnt lgkmcnt(0)
	v_add_f64 v[2:3], v[2:3], v[4:5]
	v_cndmask_b32_e64 v4, 0, 1, s[0:1]
	v_lshlrev_b32_e32 v4, 3, v4
	v_add_lshl_u32 v7, v4, v10, 2
	ds_bpermute_b32 v4, v7, v2
	ds_bpermute_b32 v5, v7, v3
	v_cmp_gt_u32_e64 s[0:1], 60, v11
	s_waitcnt lgkmcnt(0)
	v_add_f64 v[2:3], v[2:3], v[4:5]
	v_cndmask_b32_e64 v4, 0, 1, s[0:1]
	v_lshlrev_b32_e32 v4, 2, v4
	v_add_lshl_u32 v8, v4, v10, 2
	ds_bpermute_b32 v4, v8, v2
	ds_bpermute_b32 v5, v8, v3
	v_cmp_gt_u32_e64 s[0:1], 62, v11
	s_waitcnt lgkmcnt(0)
	v_add_f64 v[2:3], v[2:3], v[4:5]
	v_cndmask_b32_e64 v4, 0, 1, s[0:1]
	v_lshlrev_b32_e32 v4, 1, v4
	v_add_lshl_u32 v9, v4, v10, 2
	ds_bpermute_b32 v4, v9, v2
	ds_bpermute_b32 v5, v9, v3
	v_cmp_ne_u32_e64 s[0:1], 63, v11
	s_waitcnt lgkmcnt(0)
	v_add_f64 v[2:3], v[2:3], v[4:5]
	v_addc_co_u32_e64 v4, s[0:1], 0, v10, s[0:1]
	v_lshlrev_b32_e32 v10, 2, v4
	ds_bpermute_b32 v4, v10, v2
	ds_bpermute_b32 v5, v10, v3
	v_cmp_eq_u32_e64 s[0:1], 0, v6
	s_and_saveexec_b64 s[4:5], s[0:1]
	s_cbranch_execz .LBB442_8
; %bb.7:
	s_waitcnt lgkmcnt(0)
	v_add_f64 v[2:3], v[2:3], v[4:5]
	v_lshrrev_b32_e32 v4, 3, v0
	v_and_b32_e32 v4, 0x78, v4
	ds_write_b64 v4, v[2:3]
.LBB442_8:
	s_or_b64 exec, exec, s[4:5]
	v_cmp_gt_u32_e64 s[0:1], 16, v0
	v_pk_mov_b32 v[2:3], 0, 0
	s_waitcnt lgkmcnt(0)
	s_barrier
	s_and_saveexec_b64 s[4:5], s[0:1]
	s_cbranch_execnz .LBB442_12
; %bb.9:
	s_or_b64 exec, exec, s[4:5]
	s_and_saveexec_b64 s[0:1], vcc
	s_cbranch_execnz .LBB442_13
.LBB442_10:
	s_or_b64 exec, exec, s[0:1]
	v_cmp_eq_u32_e32 vcc, 0, v0
	s_and_saveexec_b64 s[0:1], vcc
	s_cbranch_execnz .LBB442_14
.LBB442_11:
	s_endpgm
.LBB442_12:
	ds_read_b64 v[2:3], v1
	s_or_b64 exec, exec, s[4:5]
	s_and_saveexec_b64 s[0:1], vcc
	s_cbranch_execz .LBB442_10
.LBB442_13:
	s_waitcnt lgkmcnt(0)
	ds_bpermute_b32 v4, v7, v2
	ds_bpermute_b32 v5, v7, v3
	s_waitcnt lgkmcnt(0)
	v_add_f64 v[2:3], v[2:3], v[4:5]
	ds_bpermute_b32 v4, v8, v2
	ds_bpermute_b32 v5, v8, v3
	s_waitcnt lgkmcnt(0)
	v_add_f64 v[2:3], v[2:3], v[4:5]
	;; [unrolled: 4-line block ×4, first 2 shown]
	s_or_b64 exec, exec, s[0:1]
	v_cmp_eq_u32_e32 vcc, 0, v0
	s_and_saveexec_b64 s[0:1], vcc
	s_cbranch_execz .LBB442_11
.LBB442_14:
	s_lshl_b64 s[0:1], s[2:3], 3
	s_add_u32 s0, s6, s0
	s_addc_u32 s1, s7, s1
	v_mov_b32_e32 v0, 0
	s_waitcnt lgkmcnt(0)
	global_store_dwordx2 v0, v[2:3], s[0:1]
	s_endpgm
	.section	.rodata,"a",@progbits
	.p2align	6, 0x0
	.amdhsa_kernel _ZL26rocblas_dot_kernel_inc1by2ILb1ELi1024ELi32ELb0EdPKPKfdEviT4_llS4_lliPT5_PT3_
		.amdhsa_group_segment_fixed_size 512
		.amdhsa_private_segment_fixed_size 0
		.amdhsa_kernarg_size 80
		.amdhsa_user_sgpr_count 6
		.amdhsa_user_sgpr_private_segment_buffer 1
		.amdhsa_user_sgpr_dispatch_ptr 0
		.amdhsa_user_sgpr_queue_ptr 0
		.amdhsa_user_sgpr_kernarg_segment_ptr 1
		.amdhsa_user_sgpr_dispatch_id 0
		.amdhsa_user_sgpr_flat_scratch_init 0
		.amdhsa_user_sgpr_kernarg_preload_length 0
		.amdhsa_user_sgpr_kernarg_preload_offset 0
		.amdhsa_user_sgpr_private_segment_size 0
		.amdhsa_uses_dynamic_stack 0
		.amdhsa_system_sgpr_private_segment_wavefront_offset 0
		.amdhsa_system_sgpr_workgroup_id_x 1
		.amdhsa_system_sgpr_workgroup_id_y 0
		.amdhsa_system_sgpr_workgroup_id_z 1
		.amdhsa_system_sgpr_workgroup_info 0
		.amdhsa_system_vgpr_workitem_id 0
		.amdhsa_next_free_vgpr 12
		.amdhsa_next_free_sgpr 20
		.amdhsa_accum_offset 12
		.amdhsa_reserve_vcc 1
		.amdhsa_reserve_flat_scratch 0
		.amdhsa_float_round_mode_32 0
		.amdhsa_float_round_mode_16_64 0
		.amdhsa_float_denorm_mode_32 3
		.amdhsa_float_denorm_mode_16_64 3
		.amdhsa_dx10_clamp 1
		.amdhsa_ieee_mode 1
		.amdhsa_fp16_overflow 0
		.amdhsa_tg_split 0
		.amdhsa_exception_fp_ieee_invalid_op 0
		.amdhsa_exception_fp_denorm_src 0
		.amdhsa_exception_fp_ieee_div_zero 0
		.amdhsa_exception_fp_ieee_overflow 0
		.amdhsa_exception_fp_ieee_underflow 0
		.amdhsa_exception_fp_ieee_inexact 0
		.amdhsa_exception_int_div_zero 0
	.end_amdhsa_kernel
	.section	.text._ZL26rocblas_dot_kernel_inc1by2ILb1ELi1024ELi32ELb0EdPKPKfdEviT4_llS4_lliPT5_PT3_,"axG",@progbits,_ZL26rocblas_dot_kernel_inc1by2ILb1ELi1024ELi32ELb0EdPKPKfdEviT4_llS4_lliPT5_PT3_,comdat
.Lfunc_end442:
	.size	_ZL26rocblas_dot_kernel_inc1by2ILb1ELi1024ELi32ELb0EdPKPKfdEviT4_llS4_lliPT5_PT3_, .Lfunc_end442-_ZL26rocblas_dot_kernel_inc1by2ILb1ELi1024ELi32ELb0EdPKPKfdEviT4_llS4_lliPT5_PT3_
                                        ; -- End function
	.section	.AMDGPU.csdata,"",@progbits
; Kernel info:
; codeLenInByte = 984
; NumSgprs: 24
; NumVgprs: 12
; NumAgprs: 0
; TotalNumVgprs: 12
; ScratchSize: 0
; MemoryBound: 0
; FloatMode: 240
; IeeeMode: 1
; LDSByteSize: 512 bytes/workgroup (compile time only)
; SGPRBlocks: 2
; VGPRBlocks: 1
; NumSGPRsForWavesPerEU: 24
; NumVGPRsForWavesPerEU: 12
; AccumOffset: 12
; Occupancy: 8
; WaveLimiterHint : 0
; COMPUTE_PGM_RSRC2:SCRATCH_EN: 0
; COMPUTE_PGM_RSRC2:USER_SGPR: 6
; COMPUTE_PGM_RSRC2:TRAP_HANDLER: 0
; COMPUTE_PGM_RSRC2:TGID_X_EN: 1
; COMPUTE_PGM_RSRC2:TGID_Y_EN: 0
; COMPUTE_PGM_RSRC2:TGID_Z_EN: 1
; COMPUTE_PGM_RSRC2:TIDIG_COMP_CNT: 0
; COMPUTE_PGM_RSRC3_GFX90A:ACCUM_OFFSET: 2
; COMPUTE_PGM_RSRC3_GFX90A:TG_SPLIT: 0
	.section	.text._ZL18rocblas_dot_kernelIiLb1ELi1024ELi32ELb0EdPKPKfdEviT5_lT_lS4_lS5_liPT6_PT4_,"axG",@progbits,_ZL18rocblas_dot_kernelIiLb1ELi1024ELi32ELb0EdPKPKfdEviT5_lT_lS4_lS5_liPT6_PT4_,comdat
	.globl	_ZL18rocblas_dot_kernelIiLb1ELi1024ELi32ELb0EdPKPKfdEviT5_lT_lS4_lS5_liPT6_PT4_ ; -- Begin function _ZL18rocblas_dot_kernelIiLb1ELi1024ELi32ELb0EdPKPKfdEviT5_lT_lS4_lS5_liPT6_PT4_
	.p2align	8
	.type	_ZL18rocblas_dot_kernelIiLb1ELi1024ELi32ELb0EdPKPKfdEviT5_lT_lS4_lS5_liPT6_PT4_,@function
_ZL18rocblas_dot_kernelIiLb1ELi1024ELi32ELb0EdPKPKfdEviT5_lT_lS4_lS5_liPT6_PT4_: ; @_ZL18rocblas_dot_kernelIiLb1ELi1024ELi32ELb0EdPKPKfdEviT5_lT_lS4_lS5_liPT6_PT4_
; %bb.0:
	s_mov_b32 s2, s7
	s_load_dword s14, s[4:5], 0x0
	s_load_dwordx2 s[6:7], s[4:5], 0x58
	s_mov_b32 s3, 0
	v_pk_mov_b32 v[2:3], 0, 0
	s_waitcnt lgkmcnt(0)
	v_cmp_gt_i32_e32 vcc, s14, v0
	s_and_saveexec_b64 s[8:9], vcc
	s_cbranch_execz .LBB443_4
; %bb.1:
	s_load_dwordx4 s[16:19], s[4:5], 0x8
	s_load_dword s24, s[4:5], 0x18
	s_lshl_b64 s[0:1], s[2:3], 3
	s_load_dwordx4 s[20:23], s[4:5], 0x28
	s_waitcnt lgkmcnt(0)
	s_add_u32 s10, s16, s0
	s_addc_u32 s11, s17, s1
	s_load_dword s16, s[4:5], 0x38
	s_load_dword s15, s[4:5], 0x60
	s_load_dwordx2 s[12:13], s[10:11], 0x0
	s_add_u32 s0, s20, s0
	v_mad_i64_i32 v[2:3], s[4:5], s24, v0, 0
	s_addc_u32 s1, s21, s1
	s_waitcnt lgkmcnt(0)
	s_lshl_b32 s15, s15, 10
	s_lshl_b64 s[4:5], s[18:19], 2
	s_load_dwordx2 s[0:1], s[0:1], 0x0
	s_add_u32 s4, s12, s4
	v_lshlrev_b64 v[2:3], 2, v[2:3]
	s_addc_u32 s5, s13, s5
	v_mov_b32_e32 v5, s5
	v_add_co_u32_e32 v4, vcc, s4, v2
	v_addc_co_u32_e32 v5, vcc, v5, v3, vcc
	s_mul_hi_i32 s5, s24, s15
	s_mul_i32 s4, s24, s15
	v_mad_i64_i32 v[2:3], s[10:11], s16, v0, 0
	s_lshl_b64 s[4:5], s[4:5], 2
	s_lshl_b64 s[10:11], s[22:23], 2
	s_waitcnt lgkmcnt(0)
	s_add_u32 s0, s0, s10
	v_lshlrev_b64 v[2:3], 2, v[2:3]
	s_addc_u32 s1, s1, s11
	v_mov_b32_e32 v7, s1
	v_add_co_u32_e32 v6, vcc, s0, v2
	s_mul_hi_i32 s1, s16, s15
	s_mul_i32 s0, s16, s15
	s_lshl_b64 s[12:13], s[0:1], 2
	v_or_b32_e32 v1, s15, v0
	v_addc_co_u32_e32 v7, vcc, v7, v3, vcc
	s_mov_b64 s[10:11], 0
	v_pk_mov_b32 v[2:3], 0, 0
	v_mov_b32_e32 v8, s5
	v_mov_b32_e32 v9, s13
	s_mov_b32 s5, s3
.LBB443_2:                              ; =>This Inner Loop Header: Depth=1
	global_load_dword v10, v[6:7], off
	global_load_dword v12, v[4:5], off
	v_add_co_u32_e64 v4, s[0:1], s4, v4
	v_addc_co_u32_e64 v5, s[0:1], v5, v8, s[0:1]
	s_add_i32 s13, s5, 1
	v_add_co_u32_e64 v6, s[0:1], s12, v6
	v_addc_co_u32_e64 v7, s[0:1], v7, v9, s[0:1]
	s_cmp_gt_u32 s5, 30
	v_cmp_le_i32_e32 vcc, s14, v1
	s_cselect_b64 s[0:1], -1, 0
	s_or_b64 s[0:1], s[0:1], vcc
	s_and_b64 s[0:1], exec, s[0:1]
	v_add_u32_e32 v1, s15, v1
	s_mov_b32 s5, s13
	s_or_b64 s[10:11], s[0:1], s[10:11]
	s_waitcnt vmcnt(1)
	v_cvt_f64_f32_e32 v[10:11], v10
	s_waitcnt vmcnt(0)
	v_cvt_f64_f32_e32 v[12:13], v12
	v_fmac_f64_e32 v[2:3], v[10:11], v[12:13]
	s_andn2_b64 exec, exec, s[10:11]
	s_cbranch_execnz .LBB443_2
; %bb.3:
	s_or_b64 exec, exec, s[10:11]
.LBB443_4:
	s_or_b64 exec, exec, s[8:9]
	v_and_b32_e32 v6, 63, v0
	v_cmp_gt_u32_e32 vcc, 64, v0
	v_lshlrev_b32_e32 v1, 3, v6
	s_and_saveexec_b64 s[0:1], vcc
	s_cbranch_execz .LBB443_6
; %bb.5:
	v_mov_b32_e32 v4, 0
	v_mov_b32_e32 v5, v4
	ds_write_b64 v1, v[4:5]
.LBB443_6:
	s_or_b64 exec, exec, s[0:1]
	v_mbcnt_lo_u32_b32 v4, -1, 0
	v_mbcnt_hi_u32_b32 v10, -1, v4
	v_and_b32_e32 v11, 63, v10
	v_cmp_gt_u32_e64 s[0:1], 32, v11
	v_cndmask_b32_e64 v4, 0, 1, s[0:1]
	v_lshlrev_b32_e32 v4, 5, v4
	v_add_lshl_u32 v5, v4, v10, 2
	ds_bpermute_b32 v4, v5, v2
	ds_bpermute_b32 v5, v5, v3
	v_cmp_gt_u32_e64 s[0:1], 48, v11
	v_cndmask_b32_e64 v7, 0, 1, s[0:1]
	v_cmp_gt_u32_e64 s[0:1], 56, v11
	s_waitcnt lgkmcnt(0)
	v_add_f64 v[2:3], v[2:3], v[4:5]
	v_lshlrev_b32_e32 v4, 4, v7
	v_add_lshl_u32 v5, v4, v10, 2
	ds_bpermute_b32 v4, v5, v2
	ds_bpermute_b32 v5, v5, v3
	s_barrier
	s_waitcnt lgkmcnt(0)
	v_add_f64 v[2:3], v[2:3], v[4:5]
	v_cndmask_b32_e64 v4, 0, 1, s[0:1]
	v_lshlrev_b32_e32 v4, 3, v4
	v_add_lshl_u32 v7, v4, v10, 2
	ds_bpermute_b32 v4, v7, v2
	ds_bpermute_b32 v5, v7, v3
	v_cmp_gt_u32_e64 s[0:1], 60, v11
	s_waitcnt lgkmcnt(0)
	v_add_f64 v[2:3], v[2:3], v[4:5]
	v_cndmask_b32_e64 v4, 0, 1, s[0:1]
	v_lshlrev_b32_e32 v4, 2, v4
	v_add_lshl_u32 v8, v4, v10, 2
	ds_bpermute_b32 v4, v8, v2
	ds_bpermute_b32 v5, v8, v3
	v_cmp_gt_u32_e64 s[0:1], 62, v11
	s_waitcnt lgkmcnt(0)
	v_add_f64 v[2:3], v[2:3], v[4:5]
	v_cndmask_b32_e64 v4, 0, 1, s[0:1]
	v_lshlrev_b32_e32 v4, 1, v4
	v_add_lshl_u32 v9, v4, v10, 2
	ds_bpermute_b32 v4, v9, v2
	ds_bpermute_b32 v5, v9, v3
	v_cmp_ne_u32_e64 s[0:1], 63, v11
	s_waitcnt lgkmcnt(0)
	v_add_f64 v[2:3], v[2:3], v[4:5]
	v_addc_co_u32_e64 v4, s[0:1], 0, v10, s[0:1]
	v_lshlrev_b32_e32 v10, 2, v4
	ds_bpermute_b32 v4, v10, v2
	ds_bpermute_b32 v5, v10, v3
	v_cmp_eq_u32_e64 s[0:1], 0, v6
	s_and_saveexec_b64 s[4:5], s[0:1]
	s_cbranch_execz .LBB443_8
; %bb.7:
	s_waitcnt lgkmcnt(0)
	v_add_f64 v[2:3], v[2:3], v[4:5]
	v_lshrrev_b32_e32 v4, 3, v0
	v_and_b32_e32 v4, 0x78, v4
	ds_write_b64 v4, v[2:3]
.LBB443_8:
	s_or_b64 exec, exec, s[4:5]
	v_cmp_gt_u32_e64 s[0:1], 16, v0
	v_pk_mov_b32 v[2:3], 0, 0
	s_waitcnt lgkmcnt(0)
	s_barrier
	s_and_saveexec_b64 s[4:5], s[0:1]
	s_cbranch_execnz .LBB443_12
; %bb.9:
	s_or_b64 exec, exec, s[4:5]
	s_and_saveexec_b64 s[0:1], vcc
	s_cbranch_execnz .LBB443_13
.LBB443_10:
	s_or_b64 exec, exec, s[0:1]
	v_cmp_eq_u32_e32 vcc, 0, v0
	s_and_saveexec_b64 s[0:1], vcc
	s_cbranch_execnz .LBB443_14
.LBB443_11:
	s_endpgm
.LBB443_12:
	ds_read_b64 v[2:3], v1
	s_or_b64 exec, exec, s[4:5]
	s_and_saveexec_b64 s[0:1], vcc
	s_cbranch_execz .LBB443_10
.LBB443_13:
	s_waitcnt lgkmcnt(0)
	ds_bpermute_b32 v4, v7, v2
	ds_bpermute_b32 v5, v7, v3
	s_waitcnt lgkmcnt(0)
	v_add_f64 v[2:3], v[2:3], v[4:5]
	ds_bpermute_b32 v4, v8, v2
	ds_bpermute_b32 v5, v8, v3
	s_waitcnt lgkmcnt(0)
	v_add_f64 v[2:3], v[2:3], v[4:5]
	;; [unrolled: 4-line block ×4, first 2 shown]
	s_or_b64 exec, exec, s[0:1]
	v_cmp_eq_u32_e32 vcc, 0, v0
	s_and_saveexec_b64 s[0:1], vcc
	s_cbranch_execz .LBB443_11
.LBB443_14:
	s_lshl_b64 s[0:1], s[2:3], 3
	s_add_u32 s0, s6, s0
	s_addc_u32 s1, s7, s1
	v_mov_b32_e32 v0, 0
	s_waitcnt lgkmcnt(0)
	global_store_dwordx2 v0, v[2:3], s[0:1]
	s_endpgm
	.section	.rodata,"a",@progbits
	.p2align	6, 0x0
	.amdhsa_kernel _ZL18rocblas_dot_kernelIiLb1ELi1024ELi32ELb0EdPKPKfdEviT5_lT_lS4_lS5_liPT6_PT4_
		.amdhsa_group_segment_fixed_size 512
		.amdhsa_private_segment_fixed_size 0
		.amdhsa_kernarg_size 352
		.amdhsa_user_sgpr_count 6
		.amdhsa_user_sgpr_private_segment_buffer 1
		.amdhsa_user_sgpr_dispatch_ptr 0
		.amdhsa_user_sgpr_queue_ptr 0
		.amdhsa_user_sgpr_kernarg_segment_ptr 1
		.amdhsa_user_sgpr_dispatch_id 0
		.amdhsa_user_sgpr_flat_scratch_init 0
		.amdhsa_user_sgpr_kernarg_preload_length 0
		.amdhsa_user_sgpr_kernarg_preload_offset 0
		.amdhsa_user_sgpr_private_segment_size 0
		.amdhsa_uses_dynamic_stack 0
		.amdhsa_system_sgpr_private_segment_wavefront_offset 0
		.amdhsa_system_sgpr_workgroup_id_x 1
		.amdhsa_system_sgpr_workgroup_id_y 0
		.amdhsa_system_sgpr_workgroup_id_z 1
		.amdhsa_system_sgpr_workgroup_info 0
		.amdhsa_system_vgpr_workitem_id 0
		.amdhsa_next_free_vgpr 14
		.amdhsa_next_free_sgpr 25
		.amdhsa_accum_offset 16
		.amdhsa_reserve_vcc 1
		.amdhsa_reserve_flat_scratch 0
		.amdhsa_float_round_mode_32 0
		.amdhsa_float_round_mode_16_64 0
		.amdhsa_float_denorm_mode_32 3
		.amdhsa_float_denorm_mode_16_64 3
		.amdhsa_dx10_clamp 1
		.amdhsa_ieee_mode 1
		.amdhsa_fp16_overflow 0
		.amdhsa_tg_split 0
		.amdhsa_exception_fp_ieee_invalid_op 0
		.amdhsa_exception_fp_denorm_src 0
		.amdhsa_exception_fp_ieee_div_zero 0
		.amdhsa_exception_fp_ieee_overflow 0
		.amdhsa_exception_fp_ieee_underflow 0
		.amdhsa_exception_fp_ieee_inexact 0
		.amdhsa_exception_int_div_zero 0
	.end_amdhsa_kernel
	.section	.text._ZL18rocblas_dot_kernelIiLb1ELi1024ELi32ELb0EdPKPKfdEviT5_lT_lS4_lS5_liPT6_PT4_,"axG",@progbits,_ZL18rocblas_dot_kernelIiLb1ELi1024ELi32ELb0EdPKPKfdEviT5_lT_lS4_lS5_liPT6_PT4_,comdat
.Lfunc_end443:
	.size	_ZL18rocblas_dot_kernelIiLb1ELi1024ELi32ELb0EdPKPKfdEviT5_lT_lS4_lS5_liPT6_PT4_, .Lfunc_end443-_ZL18rocblas_dot_kernelIiLb1ELi1024ELi32ELb0EdPKPKfdEviT5_lT_lS4_lS5_liPT6_PT4_
                                        ; -- End function
	.section	.AMDGPU.csdata,"",@progbits
; Kernel info:
; codeLenInByte = 1072
; NumSgprs: 29
; NumVgprs: 14
; NumAgprs: 0
; TotalNumVgprs: 14
; ScratchSize: 0
; MemoryBound: 0
; FloatMode: 240
; IeeeMode: 1
; LDSByteSize: 512 bytes/workgroup (compile time only)
; SGPRBlocks: 3
; VGPRBlocks: 1
; NumSGPRsForWavesPerEU: 29
; NumVGPRsForWavesPerEU: 14
; AccumOffset: 16
; Occupancy: 8
; WaveLimiterHint : 0
; COMPUTE_PGM_RSRC2:SCRATCH_EN: 0
; COMPUTE_PGM_RSRC2:USER_SGPR: 6
; COMPUTE_PGM_RSRC2:TRAP_HANDLER: 0
; COMPUTE_PGM_RSRC2:TGID_X_EN: 1
; COMPUTE_PGM_RSRC2:TGID_Y_EN: 0
; COMPUTE_PGM_RSRC2:TGID_Z_EN: 1
; COMPUTE_PGM_RSRC2:TIDIG_COMP_CNT: 0
; COMPUTE_PGM_RSRC3_GFX90A:ACCUM_OFFSET: 3
; COMPUTE_PGM_RSRC3_GFX90A:TG_SPLIT: 0
	.section	.text._ZL24rocblas_dot_kernel_magsqIiLb1ELi1024ELi32ELb0EdPKPKfdEviT5_lT_liPT6_PT4_,"axG",@progbits,_ZL24rocblas_dot_kernel_magsqIiLb1ELi1024ELi32ELb0EdPKPKfdEviT5_lT_liPT6_PT4_,comdat
	.globl	_ZL24rocblas_dot_kernel_magsqIiLb1ELi1024ELi32ELb0EdPKPKfdEviT5_lT_liPT6_PT4_ ; -- Begin function _ZL24rocblas_dot_kernel_magsqIiLb1ELi1024ELi32ELb0EdPKPKfdEviT5_lT_liPT6_PT4_
	.p2align	8
	.type	_ZL24rocblas_dot_kernel_magsqIiLb1ELi1024ELi32ELb0EdPKPKfdEviT5_lT_liPT6_PT4_,@function
_ZL24rocblas_dot_kernel_magsqIiLb1ELi1024ELi32ELb0EdPKPKfdEviT5_lT_liPT6_PT4_: ; @_ZL24rocblas_dot_kernel_magsqIiLb1ELi1024ELi32ELb0EdPKPKfdEviT5_lT_liPT6_PT4_
; %bb.0:
	s_mov_b32 s2, s7
	s_load_dword s12, s[4:5], 0x0
	s_load_dwordx2 s[6:7], s[4:5], 0x38
	s_mov_b32 s3, 0
	v_pk_mov_b32 v[2:3], 0, 0
	s_waitcnt lgkmcnt(0)
	v_cmp_gt_i32_e32 vcc, s12, v0
	s_and_saveexec_b64 s[8:9], vcc
	s_cbranch_execz .LBB444_4
; %bb.1:
	s_load_dwordx4 s[16:19], s[4:5], 0x8
	s_load_dword s10, s[4:5], 0x40
	s_load_dword s11, s[4:5], 0x18
	s_lshl_b64 s[0:1], s[2:3], 3
	s_waitcnt lgkmcnt(0)
	s_add_u32 s0, s16, s0
	s_addc_u32 s1, s17, s1
	s_load_dwordx2 s[0:1], s[0:1], 0x0
	v_mad_i64_i32 v[2:3], s[4:5], s11, v0, 0
	s_lshl_b32 s13, s10, 10
	s_lshl_b64 s[4:5], s[18:19], 2
	s_waitcnt lgkmcnt(0)
	s_add_u32 s0, s0, s4
	v_lshlrev_b64 v[2:3], 2, v[2:3]
	s_addc_u32 s1, s1, s5
	v_mov_b32_e32 v5, s1
	v_add_co_u32_e32 v4, vcc, s0, v2
	s_mul_hi_i32 s1, s11, s13
	s_mul_i32 s0, s11, s13
	s_lshl_b64 s[10:11], s[0:1], 2
	v_or_b32_e32 v1, s13, v0
	v_addc_co_u32_e32 v5, vcc, v5, v3, vcc
	s_mov_b64 s[4:5], 0
	v_pk_mov_b32 v[2:3], 0, 0
	v_mov_b32_e32 v6, s11
	s_mov_b32 s11, s3
.LBB444_2:                              ; =>This Inner Loop Header: Depth=1
	global_load_dword v7, v[4:5], off
	s_add_i32 s14, s11, 1
	v_add_co_u32_e64 v4, s[0:1], s10, v4
	v_addc_co_u32_e64 v5, s[0:1], v5, v6, s[0:1]
	s_cmp_gt_u32 s11, 30
	v_cmp_le_i32_e32 vcc, s12, v1
	s_cselect_b64 s[0:1], -1, 0
	s_or_b64 s[0:1], s[0:1], vcc
	s_and_b64 s[0:1], exec, s[0:1]
	v_add_u32_e32 v1, s13, v1
	s_mov_b32 s11, s14
	s_or_b64 s[4:5], s[0:1], s[4:5]
	s_waitcnt vmcnt(0)
	v_cvt_f64_f32_e32 v[8:9], v7
	v_fmac_f64_e32 v[2:3], v[8:9], v[8:9]
	s_andn2_b64 exec, exec, s[4:5]
	s_cbranch_execnz .LBB444_2
; %bb.3:
	s_or_b64 exec, exec, s[4:5]
.LBB444_4:
	s_or_b64 exec, exec, s[8:9]
	v_and_b32_e32 v6, 63, v0
	v_cmp_gt_u32_e32 vcc, 64, v0
	v_lshlrev_b32_e32 v1, 3, v6
	s_and_saveexec_b64 s[0:1], vcc
	s_cbranch_execz .LBB444_6
; %bb.5:
	v_mov_b32_e32 v4, 0
	v_mov_b32_e32 v5, v4
	ds_write_b64 v1, v[4:5]
.LBB444_6:
	s_or_b64 exec, exec, s[0:1]
	v_mbcnt_lo_u32_b32 v4, -1, 0
	v_mbcnt_hi_u32_b32 v10, -1, v4
	v_and_b32_e32 v11, 63, v10
	v_cmp_gt_u32_e64 s[0:1], 32, v11
	v_cndmask_b32_e64 v4, 0, 1, s[0:1]
	v_lshlrev_b32_e32 v4, 5, v4
	v_add_lshl_u32 v5, v4, v10, 2
	ds_bpermute_b32 v4, v5, v2
	ds_bpermute_b32 v5, v5, v3
	v_cmp_gt_u32_e64 s[0:1], 48, v11
	v_cndmask_b32_e64 v7, 0, 1, s[0:1]
	v_cmp_gt_u32_e64 s[0:1], 56, v11
	s_waitcnt lgkmcnt(0)
	v_add_f64 v[2:3], v[2:3], v[4:5]
	v_lshlrev_b32_e32 v4, 4, v7
	v_add_lshl_u32 v5, v4, v10, 2
	ds_bpermute_b32 v4, v5, v2
	ds_bpermute_b32 v5, v5, v3
	s_barrier
	s_waitcnt lgkmcnt(0)
	v_add_f64 v[2:3], v[2:3], v[4:5]
	v_cndmask_b32_e64 v4, 0, 1, s[0:1]
	v_lshlrev_b32_e32 v4, 3, v4
	v_add_lshl_u32 v7, v4, v10, 2
	ds_bpermute_b32 v4, v7, v2
	ds_bpermute_b32 v5, v7, v3
	v_cmp_gt_u32_e64 s[0:1], 60, v11
	s_waitcnt lgkmcnt(0)
	v_add_f64 v[2:3], v[2:3], v[4:5]
	v_cndmask_b32_e64 v4, 0, 1, s[0:1]
	v_lshlrev_b32_e32 v4, 2, v4
	v_add_lshl_u32 v8, v4, v10, 2
	ds_bpermute_b32 v4, v8, v2
	ds_bpermute_b32 v5, v8, v3
	v_cmp_gt_u32_e64 s[0:1], 62, v11
	s_waitcnt lgkmcnt(0)
	v_add_f64 v[2:3], v[2:3], v[4:5]
	v_cndmask_b32_e64 v4, 0, 1, s[0:1]
	v_lshlrev_b32_e32 v4, 1, v4
	v_add_lshl_u32 v9, v4, v10, 2
	ds_bpermute_b32 v4, v9, v2
	ds_bpermute_b32 v5, v9, v3
	v_cmp_ne_u32_e64 s[0:1], 63, v11
	s_waitcnt lgkmcnt(0)
	v_add_f64 v[2:3], v[2:3], v[4:5]
	v_addc_co_u32_e64 v4, s[0:1], 0, v10, s[0:1]
	v_lshlrev_b32_e32 v10, 2, v4
	ds_bpermute_b32 v4, v10, v2
	ds_bpermute_b32 v5, v10, v3
	v_cmp_eq_u32_e64 s[0:1], 0, v6
	s_and_saveexec_b64 s[4:5], s[0:1]
	s_cbranch_execz .LBB444_8
; %bb.7:
	s_waitcnt lgkmcnt(0)
	v_add_f64 v[2:3], v[2:3], v[4:5]
	v_lshrrev_b32_e32 v4, 3, v0
	v_and_b32_e32 v4, 0x78, v4
	ds_write_b64 v4, v[2:3]
.LBB444_8:
	s_or_b64 exec, exec, s[4:5]
	v_cmp_gt_u32_e64 s[0:1], 16, v0
	v_pk_mov_b32 v[2:3], 0, 0
	s_waitcnt lgkmcnt(0)
	s_barrier
	s_and_saveexec_b64 s[4:5], s[0:1]
	s_cbranch_execnz .LBB444_12
; %bb.9:
	s_or_b64 exec, exec, s[4:5]
	s_and_saveexec_b64 s[0:1], vcc
	s_cbranch_execnz .LBB444_13
.LBB444_10:
	s_or_b64 exec, exec, s[0:1]
	v_cmp_eq_u32_e32 vcc, 0, v0
	s_and_saveexec_b64 s[0:1], vcc
	s_cbranch_execnz .LBB444_14
.LBB444_11:
	s_endpgm
.LBB444_12:
	ds_read_b64 v[2:3], v1
	s_or_b64 exec, exec, s[4:5]
	s_and_saveexec_b64 s[0:1], vcc
	s_cbranch_execz .LBB444_10
.LBB444_13:
	s_waitcnt lgkmcnt(0)
	ds_bpermute_b32 v4, v7, v2
	ds_bpermute_b32 v5, v7, v3
	s_waitcnt lgkmcnt(0)
	v_add_f64 v[2:3], v[2:3], v[4:5]
	ds_bpermute_b32 v4, v8, v2
	ds_bpermute_b32 v5, v8, v3
	s_waitcnt lgkmcnt(0)
	v_add_f64 v[2:3], v[2:3], v[4:5]
	ds_bpermute_b32 v4, v9, v2
	ds_bpermute_b32 v5, v9, v3
	s_waitcnt lgkmcnt(0)
	v_add_f64 v[2:3], v[2:3], v[4:5]
	ds_bpermute_b32 v4, v10, v2
	ds_bpermute_b32 v5, v10, v3
	s_waitcnt lgkmcnt(0)
	v_add_f64 v[2:3], v[2:3], v[4:5]
	s_or_b64 exec, exec, s[0:1]
	v_cmp_eq_u32_e32 vcc, 0, v0
	s_and_saveexec_b64 s[0:1], vcc
	s_cbranch_execz .LBB444_11
.LBB444_14:
	s_lshl_b64 s[0:1], s[2:3], 3
	s_add_u32 s0, s6, s0
	s_addc_u32 s1, s7, s1
	v_mov_b32_e32 v0, 0
	s_waitcnt lgkmcnt(0)
	global_store_dwordx2 v0, v[2:3], s[0:1]
	s_endpgm
	.section	.rodata,"a",@progbits
	.p2align	6, 0x0
	.amdhsa_kernel _ZL24rocblas_dot_kernel_magsqIiLb1ELi1024ELi32ELb0EdPKPKfdEviT5_lT_liPT6_PT4_
		.amdhsa_group_segment_fixed_size 512
		.amdhsa_private_segment_fixed_size 0
		.amdhsa_kernarg_size 320
		.amdhsa_user_sgpr_count 6
		.amdhsa_user_sgpr_private_segment_buffer 1
		.amdhsa_user_sgpr_dispatch_ptr 0
		.amdhsa_user_sgpr_queue_ptr 0
		.amdhsa_user_sgpr_kernarg_segment_ptr 1
		.amdhsa_user_sgpr_dispatch_id 0
		.amdhsa_user_sgpr_flat_scratch_init 0
		.amdhsa_user_sgpr_kernarg_preload_length 0
		.amdhsa_user_sgpr_kernarg_preload_offset 0
		.amdhsa_user_sgpr_private_segment_size 0
		.amdhsa_uses_dynamic_stack 0
		.amdhsa_system_sgpr_private_segment_wavefront_offset 0
		.amdhsa_system_sgpr_workgroup_id_x 1
		.amdhsa_system_sgpr_workgroup_id_y 0
		.amdhsa_system_sgpr_workgroup_id_z 1
		.amdhsa_system_sgpr_workgroup_info 0
		.amdhsa_system_vgpr_workitem_id 0
		.amdhsa_next_free_vgpr 12
		.amdhsa_next_free_sgpr 20
		.amdhsa_accum_offset 12
		.amdhsa_reserve_vcc 1
		.amdhsa_reserve_flat_scratch 0
		.amdhsa_float_round_mode_32 0
		.amdhsa_float_round_mode_16_64 0
		.amdhsa_float_denorm_mode_32 3
		.amdhsa_float_denorm_mode_16_64 3
		.amdhsa_dx10_clamp 1
		.amdhsa_ieee_mode 1
		.amdhsa_fp16_overflow 0
		.amdhsa_tg_split 0
		.amdhsa_exception_fp_ieee_invalid_op 0
		.amdhsa_exception_fp_denorm_src 0
		.amdhsa_exception_fp_ieee_div_zero 0
		.amdhsa_exception_fp_ieee_overflow 0
		.amdhsa_exception_fp_ieee_underflow 0
		.amdhsa_exception_fp_ieee_inexact 0
		.amdhsa_exception_int_div_zero 0
	.end_amdhsa_kernel
	.section	.text._ZL24rocblas_dot_kernel_magsqIiLb1ELi1024ELi32ELb0EdPKPKfdEviT5_lT_liPT6_PT4_,"axG",@progbits,_ZL24rocblas_dot_kernel_magsqIiLb1ELi1024ELi32ELb0EdPKPKfdEviT5_lT_liPT6_PT4_,comdat
.Lfunc_end444:
	.size	_ZL24rocblas_dot_kernel_magsqIiLb1ELi1024ELi32ELb0EdPKPKfdEviT5_lT_liPT6_PT4_, .Lfunc_end444-_ZL24rocblas_dot_kernel_magsqIiLb1ELi1024ELi32ELb0EdPKPKfdEviT5_lT_liPT6_PT4_
                                        ; -- End function
	.section	.AMDGPU.csdata,"",@progbits
; Kernel info:
; codeLenInByte = 948
; NumSgprs: 24
; NumVgprs: 12
; NumAgprs: 0
; TotalNumVgprs: 12
; ScratchSize: 0
; MemoryBound: 0
; FloatMode: 240
; IeeeMode: 1
; LDSByteSize: 512 bytes/workgroup (compile time only)
; SGPRBlocks: 2
; VGPRBlocks: 1
; NumSGPRsForWavesPerEU: 24
; NumVGPRsForWavesPerEU: 12
; AccumOffset: 12
; Occupancy: 8
; WaveLimiterHint : 0
; COMPUTE_PGM_RSRC2:SCRATCH_EN: 0
; COMPUTE_PGM_RSRC2:USER_SGPR: 6
; COMPUTE_PGM_RSRC2:TRAP_HANDLER: 0
; COMPUTE_PGM_RSRC2:TGID_X_EN: 1
; COMPUTE_PGM_RSRC2:TGID_Y_EN: 0
; COMPUTE_PGM_RSRC2:TGID_Z_EN: 1
; COMPUTE_PGM_RSRC2:TIDIG_COMP_CNT: 0
; COMPUTE_PGM_RSRC3_GFX90A:ACCUM_OFFSET: 2
; COMPUTE_PGM_RSRC3_GFX90A:TG_SPLIT: 0
	.section	.text._ZL38rocblas_dot_kernel_gfx942_float_doubleIiLi1024EdPKPKfdEviT2_lT_lS4_lS5_lPT3_PT1_,"axG",@progbits,_ZL38rocblas_dot_kernel_gfx942_float_doubleIiLi1024EdPKPKfdEviT2_lT_lS4_lS5_lPT3_PT1_,comdat
	.globl	_ZL38rocblas_dot_kernel_gfx942_float_doubleIiLi1024EdPKPKfdEviT2_lT_lS4_lS5_lPT3_PT1_ ; -- Begin function _ZL38rocblas_dot_kernel_gfx942_float_doubleIiLi1024EdPKPKfdEviT2_lT_lS4_lS5_lPT3_PT1_
	.p2align	8
	.type	_ZL38rocblas_dot_kernel_gfx942_float_doubleIiLi1024EdPKPKfdEviT2_lT_lS4_lS5_lPT3_PT1_,@function
_ZL38rocblas_dot_kernel_gfx942_float_doubleIiLi1024EdPKPKfdEviT2_lT_lS4_lS5_lPT3_PT1_: ; @_ZL38rocblas_dot_kernel_gfx942_float_doubleIiLi1024EdPKPKfdEviT2_lT_lS4_lS5_lPT3_PT1_
; %bb.0:
	s_endpgm
	.section	.rodata,"a",@progbits
	.p2align	6, 0x0
	.amdhsa_kernel _ZL38rocblas_dot_kernel_gfx942_float_doubleIiLi1024EdPKPKfdEviT2_lT_lS4_lS5_lPT3_PT1_
		.amdhsa_group_segment_fixed_size 0
		.amdhsa_private_segment_fixed_size 0
		.amdhsa_kernarg_size 88
		.amdhsa_user_sgpr_count 6
		.amdhsa_user_sgpr_private_segment_buffer 1
		.amdhsa_user_sgpr_dispatch_ptr 0
		.amdhsa_user_sgpr_queue_ptr 0
		.amdhsa_user_sgpr_kernarg_segment_ptr 1
		.amdhsa_user_sgpr_dispatch_id 0
		.amdhsa_user_sgpr_flat_scratch_init 0
		.amdhsa_user_sgpr_kernarg_preload_length 0
		.amdhsa_user_sgpr_kernarg_preload_offset 0
		.amdhsa_user_sgpr_private_segment_size 0
		.amdhsa_uses_dynamic_stack 0
		.amdhsa_system_sgpr_private_segment_wavefront_offset 0
		.amdhsa_system_sgpr_workgroup_id_x 1
		.amdhsa_system_sgpr_workgroup_id_y 0
		.amdhsa_system_sgpr_workgroup_id_z 0
		.amdhsa_system_sgpr_workgroup_info 0
		.amdhsa_system_vgpr_workitem_id 0
		.amdhsa_next_free_vgpr 1
		.amdhsa_next_free_sgpr 0
		.amdhsa_accum_offset 4
		.amdhsa_reserve_vcc 0
		.amdhsa_reserve_flat_scratch 0
		.amdhsa_float_round_mode_32 0
		.amdhsa_float_round_mode_16_64 0
		.amdhsa_float_denorm_mode_32 3
		.amdhsa_float_denorm_mode_16_64 3
		.amdhsa_dx10_clamp 1
		.amdhsa_ieee_mode 1
		.amdhsa_fp16_overflow 0
		.amdhsa_tg_split 0
		.amdhsa_exception_fp_ieee_invalid_op 0
		.amdhsa_exception_fp_denorm_src 0
		.amdhsa_exception_fp_ieee_div_zero 0
		.amdhsa_exception_fp_ieee_overflow 0
		.amdhsa_exception_fp_ieee_underflow 0
		.amdhsa_exception_fp_ieee_inexact 0
		.amdhsa_exception_int_div_zero 0
	.end_amdhsa_kernel
	.section	.text._ZL38rocblas_dot_kernel_gfx942_float_doubleIiLi1024EdPKPKfdEviT2_lT_lS4_lS5_lPT3_PT1_,"axG",@progbits,_ZL38rocblas_dot_kernel_gfx942_float_doubleIiLi1024EdPKPKfdEviT2_lT_lS4_lS5_lPT3_PT1_,comdat
.Lfunc_end445:
	.size	_ZL38rocblas_dot_kernel_gfx942_float_doubleIiLi1024EdPKPKfdEviT2_lT_lS4_lS5_lPT3_PT1_, .Lfunc_end445-_ZL38rocblas_dot_kernel_gfx942_float_doubleIiLi1024EdPKPKfdEviT2_lT_lS4_lS5_lPT3_PT1_
                                        ; -- End function
	.section	.AMDGPU.csdata,"",@progbits
; Kernel info:
; codeLenInByte = 4
; NumSgprs: 4
; NumVgprs: 0
; NumAgprs: 0
; TotalNumVgprs: 0
; ScratchSize: 0
; MemoryBound: 0
; FloatMode: 240
; IeeeMode: 1
; LDSByteSize: 0 bytes/workgroup (compile time only)
; SGPRBlocks: 0
; VGPRBlocks: 0
; NumSGPRsForWavesPerEU: 4
; NumVGPRsForWavesPerEU: 1
; AccumOffset: 4
; Occupancy: 8
; WaveLimiterHint : 0
; COMPUTE_PGM_RSRC2:SCRATCH_EN: 0
; COMPUTE_PGM_RSRC2:USER_SGPR: 6
; COMPUTE_PGM_RSRC2:TRAP_HANDLER: 0
; COMPUTE_PGM_RSRC2:TGID_X_EN: 1
; COMPUTE_PGM_RSRC2:TGID_Y_EN: 0
; COMPUTE_PGM_RSRC2:TGID_Z_EN: 0
; COMPUTE_PGM_RSRC2:TIDIG_COMP_CNT: 0
; COMPUTE_PGM_RSRC3_GFX90A:ACCUM_OFFSET: 0
; COMPUTE_PGM_RSRC3_GFX90A:TG_SPLIT: 0
	.section	.text._ZL23rocblas_dot_kernel_inc1ILb0ELi512ELi2ELb0EdPKPKfdEviT4_llS4_lliPT5_PT3_,"axG",@progbits,_ZL23rocblas_dot_kernel_inc1ILb0ELi512ELi2ELb0EdPKPKfdEviT4_llS4_lliPT5_PT3_,comdat
	.globl	_ZL23rocblas_dot_kernel_inc1ILb0ELi512ELi2ELb0EdPKPKfdEviT4_llS4_lliPT5_PT3_ ; -- Begin function _ZL23rocblas_dot_kernel_inc1ILb0ELi512ELi2ELb0EdPKPKfdEviT4_llS4_lliPT5_PT3_
	.p2align	8
	.type	_ZL23rocblas_dot_kernel_inc1ILb0ELi512ELi2ELb0EdPKPKfdEviT4_llS4_lliPT5_PT3_,@function
_ZL23rocblas_dot_kernel_inc1ILb0ELi512ELi2ELb0EdPKPKfdEviT4_llS4_lliPT5_PT3_: ; @_ZL23rocblas_dot_kernel_inc1ILb0ELi512ELi2ELb0EdPKPKfdEviT4_llS4_lliPT5_PT3_
; %bb.0:
	s_mov_b32 s2, s7
	s_load_dword s7, s[4:5], 0x0
	s_load_dword s10, s[4:5], 0x50
	v_lshl_or_b32 v4, s6, 9, v0
	s_mov_b32 s3, 0
	v_pk_mov_b32 v[2:3], 0, 0
	s_waitcnt lgkmcnt(0)
	v_cmp_gt_i32_e32 vcc, s7, v4
	s_and_saveexec_b64 s[0:1], vcc
	s_cbranch_execz .LBB446_4
; %bb.1:
	s_load_dwordx4 s[12:15], s[4:5], 0x8
	s_load_dwordx4 s[16:19], s[4:5], 0x20
	s_lshl_b64 s[8:9], s[2:3], 3
	v_ashrrev_i32_e32 v5, 31, v4
	v_lshlrev_b64 v[2:3], 2, v[4:5]
	s_waitcnt lgkmcnt(0)
	s_add_u32 s12, s12, s8
	s_addc_u32 s13, s13, s9
	s_load_dwordx2 s[12:13], s[12:13], 0x0
	s_lshl_b64 s[14:15], s[14:15], 2
	s_waitcnt lgkmcnt(0)
	s_add_u32 s11, s12, s14
	s_addc_u32 s12, s13, s15
	s_add_u32 s8, s16, s8
	s_addc_u32 s9, s17, s9
	s_load_dwordx2 s[8:9], s[8:9], 0x0
	s_lshl_b64 s[14:15], s[18:19], 2
	v_mov_b32_e32 v1, s12
	s_waitcnt lgkmcnt(0)
	s_add_u32 s13, s8, s14
	s_addc_u32 s14, s9, s15
	v_mov_b32_e32 v5, s14
	v_add_co_u32_e32 v4, vcc, s13, v2
	v_addc_co_u32_e32 v5, vcc, v5, v3, vcc
	v_add_co_u32_e32 v2, vcc, s11, v2
	v_addc_co_u32_e32 v3, vcc, v1, v3, vcc
	global_load_dword v1, v[2:3], off
	global_load_dword v6, v[4:5], off
	s_add_i32 s8, s6, s10
	v_lshl_or_b32 v4, s8, 9, v0
	v_cmp_gt_i32_e32 vcc, s7, v4
	s_waitcnt vmcnt(1)
	v_cvt_f64_f32_e32 v[2:3], v1
	s_waitcnt vmcnt(0)
	v_cvt_f64_f32_e32 v[6:7], v6
	v_fma_f64 v[2:3], v[6:7], v[2:3], 0
	s_and_saveexec_b64 s[8:9], vcc
	s_cbranch_execz .LBB446_3
; %bb.2:
	v_ashrrev_i32_e32 v5, 31, v4
	v_lshlrev_b64 v[4:5], 2, v[4:5]
	v_mov_b32_e32 v1, s14
	v_add_co_u32_e32 v6, vcc, s13, v4
	v_addc_co_u32_e32 v7, vcc, v1, v5, vcc
	global_load_dword v1, v[6:7], off
	v_mov_b32_e32 v6, s12
	v_add_co_u32_e32 v4, vcc, s11, v4
	v_addc_co_u32_e32 v5, vcc, v6, v5, vcc
	global_load_dword v6, v[4:5], off
	s_waitcnt vmcnt(1)
	v_cvt_f64_f32_e32 v[4:5], v1
	s_waitcnt vmcnt(0)
	v_cvt_f64_f32_e32 v[6:7], v6
	v_fmac_f64_e32 v[2:3], v[4:5], v[6:7]
.LBB446_3:
	s_or_b64 exec, exec, s[8:9]
.LBB446_4:
	s_or_b64 exec, exec, s[0:1]
	v_and_b32_e32 v6, 63, v0
	v_cmp_gt_u32_e32 vcc, 64, v0
	v_lshlrev_b32_e32 v1, 3, v6
	s_and_saveexec_b64 s[0:1], vcc
	s_cbranch_execz .LBB446_6
; %bb.5:
	v_mov_b32_e32 v4, 0
	v_mov_b32_e32 v5, v4
	ds_write_b64 v1, v[4:5]
.LBB446_6:
	s_or_b64 exec, exec, s[0:1]
	v_mbcnt_lo_u32_b32 v4, -1, 0
	v_mbcnt_hi_u32_b32 v9, -1, v4
	v_and_b32_e32 v10, 63, v9
	v_cmp_gt_u32_e64 s[0:1], 32, v10
	v_cndmask_b32_e64 v4, 0, 1, s[0:1]
	v_lshlrev_b32_e32 v4, 5, v4
	v_add_lshl_u32 v5, v4, v9, 2
	ds_bpermute_b32 v4, v5, v2
	ds_bpermute_b32 v5, v5, v3
	v_cmp_gt_u32_e64 s[0:1], 48, v10
	v_cndmask_b32_e64 v7, 0, 1, s[0:1]
	v_cmp_gt_u32_e64 s[0:1], 56, v10
	s_waitcnt lgkmcnt(0)
	v_add_f64 v[2:3], v[2:3], v[4:5]
	v_lshlrev_b32_e32 v4, 4, v7
	v_add_lshl_u32 v5, v4, v9, 2
	ds_bpermute_b32 v4, v5, v2
	ds_bpermute_b32 v5, v5, v3
	s_barrier
	s_waitcnt lgkmcnt(0)
	v_add_f64 v[2:3], v[2:3], v[4:5]
	v_cndmask_b32_e64 v4, 0, 1, s[0:1]
	v_lshlrev_b32_e32 v4, 3, v4
	v_add_lshl_u32 v5, v4, v9, 2
	ds_bpermute_b32 v4, v5, v2
	ds_bpermute_b32 v5, v5, v3
	v_cmp_gt_u32_e64 s[0:1], 60, v10
	s_waitcnt lgkmcnt(0)
	v_add_f64 v[2:3], v[2:3], v[4:5]
	v_cndmask_b32_e64 v4, 0, 1, s[0:1]
	v_lshlrev_b32_e32 v4, 2, v4
	v_add_lshl_u32 v7, v4, v9, 2
	ds_bpermute_b32 v4, v7, v2
	ds_bpermute_b32 v5, v7, v3
	v_cmp_gt_u32_e64 s[0:1], 62, v10
	s_waitcnt lgkmcnt(0)
	v_add_f64 v[2:3], v[2:3], v[4:5]
	v_cndmask_b32_e64 v4, 0, 1, s[0:1]
	v_lshlrev_b32_e32 v4, 1, v4
	v_add_lshl_u32 v8, v4, v9, 2
	ds_bpermute_b32 v4, v8, v2
	ds_bpermute_b32 v5, v8, v3
	v_cmp_ne_u32_e64 s[0:1], 63, v10
	s_waitcnt lgkmcnt(0)
	v_add_f64 v[2:3], v[2:3], v[4:5]
	v_addc_co_u32_e64 v4, s[0:1], 0, v9, s[0:1]
	v_lshlrev_b32_e32 v9, 2, v4
	ds_bpermute_b32 v4, v9, v2
	ds_bpermute_b32 v5, v9, v3
	v_cmp_eq_u32_e64 s[0:1], 0, v6
	s_and_saveexec_b64 s[8:9], s[0:1]
	s_cbranch_execz .LBB446_8
; %bb.7:
	s_waitcnt lgkmcnt(0)
	v_add_f64 v[2:3], v[2:3], v[4:5]
	v_lshrrev_b32_e32 v4, 3, v0
	v_and_b32_e32 v4, 56, v4
	ds_write_b64 v4, v[2:3]
.LBB446_8:
	s_or_b64 exec, exec, s[8:9]
	v_cmp_gt_u32_e64 s[0:1], 8, v0
	v_pk_mov_b32 v[2:3], 0, 0
	s_waitcnt lgkmcnt(0)
	s_barrier
	s_and_saveexec_b64 s[8:9], s[0:1]
	s_cbranch_execnz .LBB446_12
; %bb.9:
	s_or_b64 exec, exec, s[8:9]
	s_and_saveexec_b64 s[0:1], vcc
	s_cbranch_execnz .LBB446_13
.LBB446_10:
	s_or_b64 exec, exec, s[0:1]
	v_cmp_eq_u32_e32 vcc, 0, v0
	s_and_saveexec_b64 s[0:1], vcc
	s_cbranch_execnz .LBB446_14
.LBB446_11:
	s_endpgm
.LBB446_12:
	ds_read_b64 v[2:3], v1
	s_or_b64 exec, exec, s[8:9]
	s_and_saveexec_b64 s[0:1], vcc
	s_cbranch_execz .LBB446_10
.LBB446_13:
	s_waitcnt lgkmcnt(0)
	ds_bpermute_b32 v4, v7, v2
	ds_bpermute_b32 v5, v7, v3
	s_waitcnt lgkmcnt(0)
	v_add_f64 v[2:3], v[2:3], v[4:5]
	ds_bpermute_b32 v4, v8, v2
	ds_bpermute_b32 v5, v8, v3
	s_waitcnt lgkmcnt(0)
	v_add_f64 v[2:3], v[2:3], v[4:5]
	ds_bpermute_b32 v4, v9, v2
	ds_bpermute_b32 v5, v9, v3
	s_waitcnt lgkmcnt(0)
	v_add_f64 v[2:3], v[2:3], v[4:5]
	s_or_b64 exec, exec, s[0:1]
	v_cmp_eq_u32_e32 vcc, 0, v0
	s_and_saveexec_b64 s[0:1], vcc
	s_cbranch_execz .LBB446_11
.LBB446_14:
	s_cmp_lg_u32 s10, 1
	s_cbranch_scc0 .LBB446_16
; %bb.15:
	s_load_dwordx2 s[0:1], s[4:5], 0x40
	s_mul_hi_u32 s9, s10, s2
	s_mul_i32 s8, s10, s2
	s_lshl_b64 s[8:9], s[8:9], 3
	s_mov_b32 s7, 0
	s_waitcnt lgkmcnt(0)
	s_add_u32 s8, s0, s8
	s_addc_u32 s9, s1, s9
	s_lshl_b64 s[0:1], s[6:7], 3
	s_add_u32 s0, s8, s0
	s_addc_u32 s1, s9, s1
	s_cbranch_execz .LBB446_17
	s_branch .LBB446_18
.LBB446_16:
                                        ; implicit-def: $sgpr0_sgpr1
.LBB446_17:
	s_load_dwordx2 s[0:1], s[4:5], 0x48
	s_lshl_b64 s[2:3], s[2:3], 3
	s_waitcnt lgkmcnt(0)
	s_add_u32 s0, s0, s2
	s_addc_u32 s1, s1, s3
.LBB446_18:
	v_mov_b32_e32 v0, 0
	s_waitcnt lgkmcnt(0)
	global_store_dwordx2 v0, v[2:3], s[0:1]
	s_endpgm
	.section	.rodata,"a",@progbits
	.p2align	6, 0x0
	.amdhsa_kernel _ZL23rocblas_dot_kernel_inc1ILb0ELi512ELi2ELb0EdPKPKfdEviT4_llS4_lliPT5_PT3_
		.amdhsa_group_segment_fixed_size 512
		.amdhsa_private_segment_fixed_size 0
		.amdhsa_kernarg_size 336
		.amdhsa_user_sgpr_count 6
		.amdhsa_user_sgpr_private_segment_buffer 1
		.amdhsa_user_sgpr_dispatch_ptr 0
		.amdhsa_user_sgpr_queue_ptr 0
		.amdhsa_user_sgpr_kernarg_segment_ptr 1
		.amdhsa_user_sgpr_dispatch_id 0
		.amdhsa_user_sgpr_flat_scratch_init 0
		.amdhsa_user_sgpr_kernarg_preload_length 0
		.amdhsa_user_sgpr_kernarg_preload_offset 0
		.amdhsa_user_sgpr_private_segment_size 0
		.amdhsa_uses_dynamic_stack 0
		.amdhsa_system_sgpr_private_segment_wavefront_offset 0
		.amdhsa_system_sgpr_workgroup_id_x 1
		.amdhsa_system_sgpr_workgroup_id_y 0
		.amdhsa_system_sgpr_workgroup_id_z 1
		.amdhsa_system_sgpr_workgroup_info 0
		.amdhsa_system_vgpr_workitem_id 0
		.amdhsa_next_free_vgpr 11
		.amdhsa_next_free_sgpr 20
		.amdhsa_accum_offset 12
		.amdhsa_reserve_vcc 1
		.amdhsa_reserve_flat_scratch 0
		.amdhsa_float_round_mode_32 0
		.amdhsa_float_round_mode_16_64 0
		.amdhsa_float_denorm_mode_32 3
		.amdhsa_float_denorm_mode_16_64 3
		.amdhsa_dx10_clamp 1
		.amdhsa_ieee_mode 1
		.amdhsa_fp16_overflow 0
		.amdhsa_tg_split 0
		.amdhsa_exception_fp_ieee_invalid_op 0
		.amdhsa_exception_fp_denorm_src 0
		.amdhsa_exception_fp_ieee_div_zero 0
		.amdhsa_exception_fp_ieee_overflow 0
		.amdhsa_exception_fp_ieee_underflow 0
		.amdhsa_exception_fp_ieee_inexact 0
		.amdhsa_exception_int_div_zero 0
	.end_amdhsa_kernel
	.section	.text._ZL23rocblas_dot_kernel_inc1ILb0ELi512ELi2ELb0EdPKPKfdEviT4_llS4_lliPT5_PT3_,"axG",@progbits,_ZL23rocblas_dot_kernel_inc1ILb0ELi512ELi2ELb0EdPKPKfdEviT4_llS4_lliPT5_PT3_,comdat
.Lfunc_end446:
	.size	_ZL23rocblas_dot_kernel_inc1ILb0ELi512ELi2ELb0EdPKPKfdEviT4_llS4_lliPT5_PT3_, .Lfunc_end446-_ZL23rocblas_dot_kernel_inc1ILb0ELi512ELi2ELb0EdPKPKfdEviT4_llS4_lliPT5_PT3_
                                        ; -- End function
	.section	.AMDGPU.csdata,"",@progbits
; Kernel info:
; codeLenInByte = 1048
; NumSgprs: 24
; NumVgprs: 11
; NumAgprs: 0
; TotalNumVgprs: 11
; ScratchSize: 0
; MemoryBound: 0
; FloatMode: 240
; IeeeMode: 1
; LDSByteSize: 512 bytes/workgroup (compile time only)
; SGPRBlocks: 2
; VGPRBlocks: 1
; NumSGPRsForWavesPerEU: 24
; NumVGPRsForWavesPerEU: 11
; AccumOffset: 12
; Occupancy: 8
; WaveLimiterHint : 1
; COMPUTE_PGM_RSRC2:SCRATCH_EN: 0
; COMPUTE_PGM_RSRC2:USER_SGPR: 6
; COMPUTE_PGM_RSRC2:TRAP_HANDLER: 0
; COMPUTE_PGM_RSRC2:TGID_X_EN: 1
; COMPUTE_PGM_RSRC2:TGID_Y_EN: 0
; COMPUTE_PGM_RSRC2:TGID_Z_EN: 1
; COMPUTE_PGM_RSRC2:TIDIG_COMP_CNT: 0
; COMPUTE_PGM_RSRC3_GFX90A:ACCUM_OFFSET: 2
; COMPUTE_PGM_RSRC3_GFX90A:TG_SPLIT: 0
	.section	.text._ZL18rocblas_dot_kernelIiLb0ELi512ELi2ELb0EdPKPKfdEviT5_lT_lS4_lS5_liPT6_PT4_,"axG",@progbits,_ZL18rocblas_dot_kernelIiLb0ELi512ELi2ELb0EdPKPKfdEviT5_lT_lS4_lS5_liPT6_PT4_,comdat
	.globl	_ZL18rocblas_dot_kernelIiLb0ELi512ELi2ELb0EdPKPKfdEviT5_lT_lS4_lS5_liPT6_PT4_ ; -- Begin function _ZL18rocblas_dot_kernelIiLb0ELi512ELi2ELb0EdPKPKfdEviT5_lT_lS4_lS5_liPT6_PT4_
	.p2align	8
	.type	_ZL18rocblas_dot_kernelIiLb0ELi512ELi2ELb0EdPKPKfdEviT5_lT_lS4_lS5_liPT6_PT4_,@function
_ZL18rocblas_dot_kernelIiLb0ELi512ELi2ELb0EdPKPKfdEviT5_lT_lS4_lS5_liPT6_PT4_: ; @_ZL18rocblas_dot_kernelIiLb0ELi512ELi2ELb0EdPKPKfdEviT5_lT_lS4_lS5_liPT6_PT4_
; %bb.0:
	s_load_dword s8, s[4:5], 0x0
	s_load_dword s10, s[4:5], 0x60
	v_lshl_or_b32 v1, s6, 9, v0
	s_mov_b32 s2, s7
	s_mov_b32 s3, 0
	s_waitcnt lgkmcnt(0)
	v_cmp_gt_i32_e32 vcc, s8, v1
	v_pk_mov_b32 v[2:3], 0, 0
	s_and_saveexec_b64 s[0:1], vcc
	s_cbranch_execz .LBB447_4
; %bb.1:
	s_load_dwordx4 s[12:15], s[4:5], 0x8
	s_load_dword s7, s[4:5], 0x18
	s_lshl_b64 s[20:21], s[2:3], 3
	s_waitcnt lgkmcnt(0)
	s_add_u32 s22, s12, s20
	s_addc_u32 s23, s13, s21
	s_load_dwordx2 s[24:25], s[22:23], 0x0
	s_load_dwordx4 s[16:19], s[4:5], 0x28
	s_load_dword s13, s[4:5], 0x38
	s_lshl_b64 s[14:15], s[14:15], 2
	s_waitcnt lgkmcnt(0)
	s_add_u32 s11, s24, s14
	s_addc_u32 s12, s25, s15
	s_add_u32 s14, s16, s20
	s_addc_u32 s15, s17, s21
	s_load_dwordx2 s[14:15], s[14:15], 0x0
	v_mad_i64_i32 v[2:3], s[16:17], v1, s13, 0
	s_lshl_b64 s[16:17], s[18:19], 2
	v_lshlrev_b64 v[2:3], 2, v[2:3]
	s_waitcnt lgkmcnt(0)
	s_add_u32 s14, s14, s16
	s_addc_u32 s15, s15, s17
	v_mov_b32_e32 v4, s15
	v_add_co_u32_e32 v2, vcc, s14, v2
	v_addc_co_u32_e32 v3, vcc, v4, v3, vcc
	v_mad_i64_i32 v[4:5], s[16:17], v1, s7, 0
	v_lshlrev_b64 v[4:5], 2, v[4:5]
	v_mov_b32_e32 v1, s12
	v_add_co_u32_e32 v4, vcc, s11, v4
	v_addc_co_u32_e32 v5, vcc, v1, v5, vcc
	global_load_dword v6, v[4:5], off
	global_load_dword v7, v[2:3], off
	s_add_i32 s9, s6, s10
	v_lshl_or_b32 v1, s9, 9, v0
	v_cmp_gt_i32_e32 vcc, s8, v1
	s_waitcnt vmcnt(1)
	v_cvt_f64_f32_e32 v[2:3], v6
	s_waitcnt vmcnt(0)
	v_cvt_f64_f32_e32 v[4:5], v7
	v_fma_f64 v[2:3], v[4:5], v[2:3], 0
	s_and_saveexec_b64 s[8:9], vcc
	s_cbranch_execz .LBB447_3
; %bb.2:
	v_mad_i64_i32 v[4:5], s[16:17], v1, s13, 0
	v_lshlrev_b64 v[4:5], 2, v[4:5]
	v_mov_b32_e32 v6, s15
	v_add_co_u32_e32 v4, vcc, s14, v4
	v_addc_co_u32_e32 v5, vcc, v6, v5, vcc
	global_load_dword v6, v[4:5], off
	v_mad_i64_i32 v[4:5], s[14:15], v1, s7, 0
	v_lshlrev_b64 v[4:5], 2, v[4:5]
	v_mov_b32_e32 v1, s12
	v_add_co_u32_e32 v4, vcc, s11, v4
	v_addc_co_u32_e32 v5, vcc, v1, v5, vcc
	global_load_dword v1, v[4:5], off
	s_waitcnt vmcnt(1)
	v_cvt_f64_f32_e32 v[4:5], v6
	s_waitcnt vmcnt(0)
	v_cvt_f64_f32_e32 v[6:7], v1
	v_fmac_f64_e32 v[2:3], v[4:5], v[6:7]
.LBB447_3:
	s_or_b64 exec, exec, s[8:9]
.LBB447_4:
	s_or_b64 exec, exec, s[0:1]
	v_and_b32_e32 v6, 63, v0
	v_cmp_gt_u32_e32 vcc, 64, v0
	v_lshlrev_b32_e32 v1, 3, v6
	s_and_saveexec_b64 s[0:1], vcc
	s_cbranch_execz .LBB447_6
; %bb.5:
	v_mov_b32_e32 v4, 0
	v_mov_b32_e32 v5, v4
	ds_write_b64 v1, v[4:5]
.LBB447_6:
	s_or_b64 exec, exec, s[0:1]
	v_mbcnt_lo_u32_b32 v4, -1, 0
	v_mbcnt_hi_u32_b32 v9, -1, v4
	v_and_b32_e32 v10, 63, v9
	v_cmp_gt_u32_e64 s[0:1], 32, v10
	v_cndmask_b32_e64 v4, 0, 1, s[0:1]
	v_lshlrev_b32_e32 v4, 5, v4
	v_add_lshl_u32 v5, v4, v9, 2
	ds_bpermute_b32 v4, v5, v2
	ds_bpermute_b32 v5, v5, v3
	v_cmp_gt_u32_e64 s[0:1], 48, v10
	v_cndmask_b32_e64 v7, 0, 1, s[0:1]
	v_cmp_gt_u32_e64 s[0:1], 56, v10
	s_waitcnt lgkmcnt(0)
	v_add_f64 v[2:3], v[2:3], v[4:5]
	v_lshlrev_b32_e32 v4, 4, v7
	v_add_lshl_u32 v5, v4, v9, 2
	ds_bpermute_b32 v4, v5, v2
	ds_bpermute_b32 v5, v5, v3
	s_barrier
	s_waitcnt lgkmcnt(0)
	v_add_f64 v[2:3], v[2:3], v[4:5]
	v_cndmask_b32_e64 v4, 0, 1, s[0:1]
	v_lshlrev_b32_e32 v4, 3, v4
	v_add_lshl_u32 v5, v4, v9, 2
	ds_bpermute_b32 v4, v5, v2
	ds_bpermute_b32 v5, v5, v3
	v_cmp_gt_u32_e64 s[0:1], 60, v10
	s_waitcnt lgkmcnt(0)
	v_add_f64 v[2:3], v[2:3], v[4:5]
	v_cndmask_b32_e64 v4, 0, 1, s[0:1]
	v_lshlrev_b32_e32 v4, 2, v4
	v_add_lshl_u32 v7, v4, v9, 2
	ds_bpermute_b32 v4, v7, v2
	ds_bpermute_b32 v5, v7, v3
	v_cmp_gt_u32_e64 s[0:1], 62, v10
	s_waitcnt lgkmcnt(0)
	v_add_f64 v[2:3], v[2:3], v[4:5]
	v_cndmask_b32_e64 v4, 0, 1, s[0:1]
	v_lshlrev_b32_e32 v4, 1, v4
	v_add_lshl_u32 v8, v4, v9, 2
	ds_bpermute_b32 v4, v8, v2
	ds_bpermute_b32 v5, v8, v3
	v_cmp_ne_u32_e64 s[0:1], 63, v10
	s_waitcnt lgkmcnt(0)
	v_add_f64 v[2:3], v[2:3], v[4:5]
	v_addc_co_u32_e64 v4, s[0:1], 0, v9, s[0:1]
	v_lshlrev_b32_e32 v9, 2, v4
	ds_bpermute_b32 v4, v9, v2
	ds_bpermute_b32 v5, v9, v3
	v_cmp_eq_u32_e64 s[0:1], 0, v6
	s_and_saveexec_b64 s[8:9], s[0:1]
	s_cbranch_execz .LBB447_8
; %bb.7:
	s_waitcnt lgkmcnt(0)
	v_add_f64 v[2:3], v[2:3], v[4:5]
	v_lshrrev_b32_e32 v4, 3, v0
	v_and_b32_e32 v4, 56, v4
	ds_write_b64 v4, v[2:3]
.LBB447_8:
	s_or_b64 exec, exec, s[8:9]
	v_cmp_gt_u32_e64 s[0:1], 8, v0
	v_pk_mov_b32 v[2:3], 0, 0
	s_waitcnt lgkmcnt(0)
	s_barrier
	s_and_saveexec_b64 s[8:9], s[0:1]
	s_cbranch_execnz .LBB447_12
; %bb.9:
	s_or_b64 exec, exec, s[8:9]
	s_and_saveexec_b64 s[0:1], vcc
	s_cbranch_execnz .LBB447_13
.LBB447_10:
	s_or_b64 exec, exec, s[0:1]
	v_cmp_eq_u32_e32 vcc, 0, v0
	s_and_saveexec_b64 s[0:1], vcc
	s_cbranch_execnz .LBB447_14
.LBB447_11:
	s_endpgm
.LBB447_12:
	ds_read_b64 v[2:3], v1
	s_or_b64 exec, exec, s[8:9]
	s_and_saveexec_b64 s[0:1], vcc
	s_cbranch_execz .LBB447_10
.LBB447_13:
	s_waitcnt lgkmcnt(0)
	ds_bpermute_b32 v4, v7, v2
	ds_bpermute_b32 v5, v7, v3
	s_waitcnt lgkmcnt(0)
	v_add_f64 v[2:3], v[2:3], v[4:5]
	ds_bpermute_b32 v4, v8, v2
	ds_bpermute_b32 v5, v8, v3
	s_waitcnt lgkmcnt(0)
	v_add_f64 v[2:3], v[2:3], v[4:5]
	;; [unrolled: 4-line block ×3, first 2 shown]
	s_or_b64 exec, exec, s[0:1]
	v_cmp_eq_u32_e32 vcc, 0, v0
	s_and_saveexec_b64 s[0:1], vcc
	s_cbranch_execz .LBB447_11
.LBB447_14:
	s_cmp_lg_u32 s10, 1
	s_cbranch_scc0 .LBB447_16
; %bb.15:
	s_load_dwordx2 s[0:1], s[4:5], 0x50
	s_mul_hi_u32 s9, s10, s2
	s_mul_i32 s8, s10, s2
	s_lshl_b64 s[8:9], s[8:9], 3
	s_mov_b32 s7, 0
	s_waitcnt lgkmcnt(0)
	s_add_u32 s8, s0, s8
	s_addc_u32 s9, s1, s9
	s_lshl_b64 s[0:1], s[6:7], 3
	s_add_u32 s0, s8, s0
	s_addc_u32 s1, s9, s1
	s_cbranch_execz .LBB447_17
	s_branch .LBB447_18
.LBB447_16:
                                        ; implicit-def: $sgpr0_sgpr1
.LBB447_17:
	s_load_dwordx2 s[0:1], s[4:5], 0x58
	s_lshl_b64 s[2:3], s[2:3], 3
	s_waitcnt lgkmcnt(0)
	s_add_u32 s0, s0, s2
	s_addc_u32 s1, s1, s3
.LBB447_18:
	v_mov_b32_e32 v0, 0
	s_waitcnt lgkmcnt(0)
	global_store_dwordx2 v0, v[2:3], s[0:1]
	s_endpgm
	.section	.rodata,"a",@progbits
	.p2align	6, 0x0
	.amdhsa_kernel _ZL18rocblas_dot_kernelIiLb0ELi512ELi2ELb0EdPKPKfdEviT5_lT_lS4_lS5_liPT6_PT4_
		.amdhsa_group_segment_fixed_size 512
		.amdhsa_private_segment_fixed_size 0
		.amdhsa_kernarg_size 352
		.amdhsa_user_sgpr_count 6
		.amdhsa_user_sgpr_private_segment_buffer 1
		.amdhsa_user_sgpr_dispatch_ptr 0
		.amdhsa_user_sgpr_queue_ptr 0
		.amdhsa_user_sgpr_kernarg_segment_ptr 1
		.amdhsa_user_sgpr_dispatch_id 0
		.amdhsa_user_sgpr_flat_scratch_init 0
		.amdhsa_user_sgpr_kernarg_preload_length 0
		.amdhsa_user_sgpr_kernarg_preload_offset 0
		.amdhsa_user_sgpr_private_segment_size 0
		.amdhsa_uses_dynamic_stack 0
		.amdhsa_system_sgpr_private_segment_wavefront_offset 0
		.amdhsa_system_sgpr_workgroup_id_x 1
		.amdhsa_system_sgpr_workgroup_id_y 0
		.amdhsa_system_sgpr_workgroup_id_z 1
		.amdhsa_system_sgpr_workgroup_info 0
		.amdhsa_system_vgpr_workitem_id 0
		.amdhsa_next_free_vgpr 11
		.amdhsa_next_free_sgpr 26
		.amdhsa_accum_offset 12
		.amdhsa_reserve_vcc 1
		.amdhsa_reserve_flat_scratch 0
		.amdhsa_float_round_mode_32 0
		.amdhsa_float_round_mode_16_64 0
		.amdhsa_float_denorm_mode_32 3
		.amdhsa_float_denorm_mode_16_64 3
		.amdhsa_dx10_clamp 1
		.amdhsa_ieee_mode 1
		.amdhsa_fp16_overflow 0
		.amdhsa_tg_split 0
		.amdhsa_exception_fp_ieee_invalid_op 0
		.amdhsa_exception_fp_denorm_src 0
		.amdhsa_exception_fp_ieee_div_zero 0
		.amdhsa_exception_fp_ieee_overflow 0
		.amdhsa_exception_fp_ieee_underflow 0
		.amdhsa_exception_fp_ieee_inexact 0
		.amdhsa_exception_int_div_zero 0
	.end_amdhsa_kernel
	.section	.text._ZL18rocblas_dot_kernelIiLb0ELi512ELi2ELb0EdPKPKfdEviT5_lT_lS4_lS5_liPT6_PT4_,"axG",@progbits,_ZL18rocblas_dot_kernelIiLb0ELi512ELi2ELb0EdPKPKfdEviT5_lT_lS4_lS5_liPT6_PT4_,comdat
.Lfunc_end447:
	.size	_ZL18rocblas_dot_kernelIiLb0ELi512ELi2ELb0EdPKPKfdEviT5_lT_lS4_lS5_liPT6_PT4_, .Lfunc_end447-_ZL18rocblas_dot_kernelIiLb0ELi512ELi2ELb0EdPKPKfdEviT5_lT_lS4_lS5_liPT6_PT4_
                                        ; -- End function
	.section	.AMDGPU.csdata,"",@progbits
; Kernel info:
; codeLenInByte = 1104
; NumSgprs: 30
; NumVgprs: 11
; NumAgprs: 0
; TotalNumVgprs: 11
; ScratchSize: 0
; MemoryBound: 0
; FloatMode: 240
; IeeeMode: 1
; LDSByteSize: 512 bytes/workgroup (compile time only)
; SGPRBlocks: 3
; VGPRBlocks: 1
; NumSGPRsForWavesPerEU: 30
; NumVGPRsForWavesPerEU: 11
; AccumOffset: 12
; Occupancy: 8
; WaveLimiterHint : 1
; COMPUTE_PGM_RSRC2:SCRATCH_EN: 0
; COMPUTE_PGM_RSRC2:USER_SGPR: 6
; COMPUTE_PGM_RSRC2:TRAP_HANDLER: 0
; COMPUTE_PGM_RSRC2:TGID_X_EN: 1
; COMPUTE_PGM_RSRC2:TGID_Y_EN: 0
; COMPUTE_PGM_RSRC2:TGID_Z_EN: 1
; COMPUTE_PGM_RSRC2:TIDIG_COMP_CNT: 0
; COMPUTE_PGM_RSRC3_GFX90A:ACCUM_OFFSET: 2
; COMPUTE_PGM_RSRC3_GFX90A:TG_SPLIT: 0
	.section	.text._ZL24rocblas_dot_kernel_magsqIiLb0ELi512ELi2ELb0EdPKPKfdEviT5_lT_liPT6_PT4_,"axG",@progbits,_ZL24rocblas_dot_kernel_magsqIiLb0ELi512ELi2ELb0EdPKPKfdEviT5_lT_liPT6_PT4_,comdat
	.globl	_ZL24rocblas_dot_kernel_magsqIiLb0ELi512ELi2ELb0EdPKPKfdEviT5_lT_liPT6_PT4_ ; -- Begin function _ZL24rocblas_dot_kernel_magsqIiLb0ELi512ELi2ELb0EdPKPKfdEviT5_lT_liPT6_PT4_
	.p2align	8
	.type	_ZL24rocblas_dot_kernel_magsqIiLb0ELi512ELi2ELb0EdPKPKfdEviT5_lT_liPT6_PT4_,@function
_ZL24rocblas_dot_kernel_magsqIiLb0ELi512ELi2ELb0EdPKPKfdEviT5_lT_liPT6_PT4_: ; @_ZL24rocblas_dot_kernel_magsqIiLb0ELi512ELi2ELb0EdPKPKfdEviT5_lT_liPT6_PT4_
; %bb.0:
	s_mov_b32 s2, s7
	s_load_dword s7, s[4:5], 0x0
	s_load_dword s10, s[4:5], 0x40
	v_lshl_or_b32 v1, s6, 9, v0
	s_mov_b32 s3, 0
	v_pk_mov_b32 v[2:3], 0, 0
	s_waitcnt lgkmcnt(0)
	v_cmp_gt_i32_e32 vcc, s7, v1
	s_and_saveexec_b64 s[0:1], vcc
	s_cbranch_execz .LBB448_4
; %bb.1:
	s_load_dwordx4 s[12:15], s[4:5], 0x8
	s_load_dword s11, s[4:5], 0x18
	s_lshl_b64 s[8:9], s[2:3], 3
	s_waitcnt lgkmcnt(0)
	s_add_u32 s8, s12, s8
	s_addc_u32 s9, s13, s9
	s_load_dwordx2 s[8:9], s[8:9], 0x0
	v_mad_i64_i32 v[2:3], s[12:13], v1, s11, 0
	s_lshl_b64 s[12:13], s[14:15], 2
	v_lshlrev_b64 v[2:3], 2, v[2:3]
	s_waitcnt lgkmcnt(0)
	s_add_u32 s12, s8, s12
	s_addc_u32 s13, s9, s13
	v_mov_b32_e32 v1, s13
	v_add_co_u32_e32 v2, vcc, s12, v2
	v_addc_co_u32_e32 v3, vcc, v1, v3, vcc
	global_load_dword v2, v[2:3], off
	s_add_i32 s8, s6, s10
	v_lshl_or_b32 v1, s8, 9, v0
	v_cmp_gt_i32_e32 vcc, s7, v1
	s_waitcnt vmcnt(0)
	v_cvt_f64_f32_e32 v[2:3], v2
	v_mul_f64 v[2:3], v[2:3], v[2:3]
	s_and_saveexec_b64 s[8:9], vcc
	s_cbranch_execz .LBB448_3
; %bb.2:
	v_mad_i64_i32 v[4:5], s[14:15], v1, s11, 0
	v_lshlrev_b64 v[4:5], 2, v[4:5]
	v_mov_b32_e32 v1, s13
	v_add_co_u32_e32 v4, vcc, s12, v4
	v_addc_co_u32_e32 v5, vcc, v1, v5, vcc
	global_load_dword v1, v[4:5], off
	s_waitcnt vmcnt(0)
	v_cvt_f64_f32_e32 v[4:5], v1
	v_fmac_f64_e32 v[2:3], v[4:5], v[4:5]
.LBB448_3:
	s_or_b64 exec, exec, s[8:9]
.LBB448_4:
	s_or_b64 exec, exec, s[0:1]
	v_and_b32_e32 v6, 63, v0
	v_cmp_gt_u32_e32 vcc, 64, v0
	v_lshlrev_b32_e32 v1, 3, v6
	s_and_saveexec_b64 s[0:1], vcc
	s_cbranch_execz .LBB448_6
; %bb.5:
	v_mov_b32_e32 v4, 0
	v_mov_b32_e32 v5, v4
	ds_write_b64 v1, v[4:5]
.LBB448_6:
	s_or_b64 exec, exec, s[0:1]
	v_mbcnt_lo_u32_b32 v4, -1, 0
	v_mbcnt_hi_u32_b32 v9, -1, v4
	v_and_b32_e32 v10, 63, v9
	v_cmp_gt_u32_e64 s[0:1], 32, v10
	v_cndmask_b32_e64 v4, 0, 1, s[0:1]
	v_lshlrev_b32_e32 v4, 5, v4
	v_add_lshl_u32 v5, v4, v9, 2
	ds_bpermute_b32 v4, v5, v2
	ds_bpermute_b32 v5, v5, v3
	v_cmp_gt_u32_e64 s[0:1], 48, v10
	v_cndmask_b32_e64 v7, 0, 1, s[0:1]
	v_cmp_gt_u32_e64 s[0:1], 56, v10
	s_waitcnt lgkmcnt(0)
	v_add_f64 v[2:3], v[2:3], v[4:5]
	v_lshlrev_b32_e32 v4, 4, v7
	v_add_lshl_u32 v5, v4, v9, 2
	ds_bpermute_b32 v4, v5, v2
	ds_bpermute_b32 v5, v5, v3
	s_barrier
	s_waitcnt lgkmcnt(0)
	v_add_f64 v[2:3], v[2:3], v[4:5]
	v_cndmask_b32_e64 v4, 0, 1, s[0:1]
	v_lshlrev_b32_e32 v4, 3, v4
	v_add_lshl_u32 v5, v4, v9, 2
	ds_bpermute_b32 v4, v5, v2
	ds_bpermute_b32 v5, v5, v3
	v_cmp_gt_u32_e64 s[0:1], 60, v10
	s_waitcnt lgkmcnt(0)
	v_add_f64 v[2:3], v[2:3], v[4:5]
	v_cndmask_b32_e64 v4, 0, 1, s[0:1]
	v_lshlrev_b32_e32 v4, 2, v4
	v_add_lshl_u32 v7, v4, v9, 2
	ds_bpermute_b32 v4, v7, v2
	ds_bpermute_b32 v5, v7, v3
	v_cmp_gt_u32_e64 s[0:1], 62, v10
	s_waitcnt lgkmcnt(0)
	v_add_f64 v[2:3], v[2:3], v[4:5]
	v_cndmask_b32_e64 v4, 0, 1, s[0:1]
	v_lshlrev_b32_e32 v4, 1, v4
	v_add_lshl_u32 v8, v4, v9, 2
	ds_bpermute_b32 v4, v8, v2
	ds_bpermute_b32 v5, v8, v3
	v_cmp_ne_u32_e64 s[0:1], 63, v10
	s_waitcnt lgkmcnt(0)
	v_add_f64 v[2:3], v[2:3], v[4:5]
	v_addc_co_u32_e64 v4, s[0:1], 0, v9, s[0:1]
	v_lshlrev_b32_e32 v9, 2, v4
	ds_bpermute_b32 v4, v9, v2
	ds_bpermute_b32 v5, v9, v3
	v_cmp_eq_u32_e64 s[0:1], 0, v6
	s_and_saveexec_b64 s[8:9], s[0:1]
	s_cbranch_execz .LBB448_8
; %bb.7:
	s_waitcnt lgkmcnt(0)
	v_add_f64 v[2:3], v[2:3], v[4:5]
	v_lshrrev_b32_e32 v4, 3, v0
	v_and_b32_e32 v4, 56, v4
	ds_write_b64 v4, v[2:3]
.LBB448_8:
	s_or_b64 exec, exec, s[8:9]
	v_cmp_gt_u32_e64 s[0:1], 8, v0
	v_pk_mov_b32 v[2:3], 0, 0
	s_waitcnt lgkmcnt(0)
	s_barrier
	s_and_saveexec_b64 s[8:9], s[0:1]
	s_cbranch_execnz .LBB448_12
; %bb.9:
	s_or_b64 exec, exec, s[8:9]
	s_and_saveexec_b64 s[0:1], vcc
	s_cbranch_execnz .LBB448_13
.LBB448_10:
	s_or_b64 exec, exec, s[0:1]
	v_cmp_eq_u32_e32 vcc, 0, v0
	s_and_saveexec_b64 s[0:1], vcc
	s_cbranch_execnz .LBB448_14
.LBB448_11:
	s_endpgm
.LBB448_12:
	ds_read_b64 v[2:3], v1
	s_or_b64 exec, exec, s[8:9]
	s_and_saveexec_b64 s[0:1], vcc
	s_cbranch_execz .LBB448_10
.LBB448_13:
	s_waitcnt lgkmcnt(0)
	ds_bpermute_b32 v4, v7, v2
	ds_bpermute_b32 v5, v7, v3
	s_waitcnt lgkmcnt(0)
	v_add_f64 v[2:3], v[2:3], v[4:5]
	ds_bpermute_b32 v4, v8, v2
	ds_bpermute_b32 v5, v8, v3
	s_waitcnt lgkmcnt(0)
	v_add_f64 v[2:3], v[2:3], v[4:5]
	;; [unrolled: 4-line block ×3, first 2 shown]
	s_or_b64 exec, exec, s[0:1]
	v_cmp_eq_u32_e32 vcc, 0, v0
	s_and_saveexec_b64 s[0:1], vcc
	s_cbranch_execz .LBB448_11
.LBB448_14:
	s_cmp_lg_u32 s10, 1
	s_cbranch_scc0 .LBB448_16
; %bb.15:
	s_load_dwordx2 s[0:1], s[4:5], 0x30
	s_mul_hi_u32 s9, s10, s2
	s_mul_i32 s8, s10, s2
	s_lshl_b64 s[8:9], s[8:9], 3
	s_mov_b32 s7, 0
	s_waitcnt lgkmcnt(0)
	s_add_u32 s8, s0, s8
	s_addc_u32 s9, s1, s9
	s_lshl_b64 s[0:1], s[6:7], 3
	s_add_u32 s0, s8, s0
	s_addc_u32 s1, s9, s1
	s_cbranch_execz .LBB448_17
	s_branch .LBB448_18
.LBB448_16:
                                        ; implicit-def: $sgpr0_sgpr1
.LBB448_17:
	s_load_dwordx2 s[0:1], s[4:5], 0x38
	s_lshl_b64 s[2:3], s[2:3], 3
	s_waitcnt lgkmcnt(0)
	s_add_u32 s0, s0, s2
	s_addc_u32 s1, s1, s3
.LBB448_18:
	v_mov_b32_e32 v0, 0
	s_waitcnt lgkmcnt(0)
	global_store_dwordx2 v0, v[2:3], s[0:1]
	s_endpgm
	.section	.rodata,"a",@progbits
	.p2align	6, 0x0
	.amdhsa_kernel _ZL24rocblas_dot_kernel_magsqIiLb0ELi512ELi2ELb0EdPKPKfdEviT5_lT_liPT6_PT4_
		.amdhsa_group_segment_fixed_size 512
		.amdhsa_private_segment_fixed_size 0
		.amdhsa_kernarg_size 320
		.amdhsa_user_sgpr_count 6
		.amdhsa_user_sgpr_private_segment_buffer 1
		.amdhsa_user_sgpr_dispatch_ptr 0
		.amdhsa_user_sgpr_queue_ptr 0
		.amdhsa_user_sgpr_kernarg_segment_ptr 1
		.amdhsa_user_sgpr_dispatch_id 0
		.amdhsa_user_sgpr_flat_scratch_init 0
		.amdhsa_user_sgpr_kernarg_preload_length 0
		.amdhsa_user_sgpr_kernarg_preload_offset 0
		.amdhsa_user_sgpr_private_segment_size 0
		.amdhsa_uses_dynamic_stack 0
		.amdhsa_system_sgpr_private_segment_wavefront_offset 0
		.amdhsa_system_sgpr_workgroup_id_x 1
		.amdhsa_system_sgpr_workgroup_id_y 0
		.amdhsa_system_sgpr_workgroup_id_z 1
		.amdhsa_system_sgpr_workgroup_info 0
		.amdhsa_system_vgpr_workitem_id 0
		.amdhsa_next_free_vgpr 11
		.amdhsa_next_free_sgpr 16
		.amdhsa_accum_offset 12
		.amdhsa_reserve_vcc 1
		.amdhsa_reserve_flat_scratch 0
		.amdhsa_float_round_mode_32 0
		.amdhsa_float_round_mode_16_64 0
		.amdhsa_float_denorm_mode_32 3
		.amdhsa_float_denorm_mode_16_64 3
		.amdhsa_dx10_clamp 1
		.amdhsa_ieee_mode 1
		.amdhsa_fp16_overflow 0
		.amdhsa_tg_split 0
		.amdhsa_exception_fp_ieee_invalid_op 0
		.amdhsa_exception_fp_denorm_src 0
		.amdhsa_exception_fp_ieee_div_zero 0
		.amdhsa_exception_fp_ieee_overflow 0
		.amdhsa_exception_fp_ieee_underflow 0
		.amdhsa_exception_fp_ieee_inexact 0
		.amdhsa_exception_int_div_zero 0
	.end_amdhsa_kernel
	.section	.text._ZL24rocblas_dot_kernel_magsqIiLb0ELi512ELi2ELb0EdPKPKfdEviT5_lT_liPT6_PT4_,"axG",@progbits,_ZL24rocblas_dot_kernel_magsqIiLb0ELi512ELi2ELb0EdPKPKfdEviT5_lT_liPT6_PT4_,comdat
.Lfunc_end448:
	.size	_ZL24rocblas_dot_kernel_magsqIiLb0ELi512ELi2ELb0EdPKPKfdEviT5_lT_liPT6_PT4_, .Lfunc_end448-_ZL24rocblas_dot_kernel_magsqIiLb0ELi512ELi2ELb0EdPKPKfdEviT5_lT_liPT6_PT4_
                                        ; -- End function
	.section	.AMDGPU.csdata,"",@progbits
; Kernel info:
; codeLenInByte = 968
; NumSgprs: 20
; NumVgprs: 11
; NumAgprs: 0
; TotalNumVgprs: 11
; ScratchSize: 0
; MemoryBound: 0
; FloatMode: 240
; IeeeMode: 1
; LDSByteSize: 512 bytes/workgroup (compile time only)
; SGPRBlocks: 2
; VGPRBlocks: 1
; NumSGPRsForWavesPerEU: 20
; NumVGPRsForWavesPerEU: 11
; AccumOffset: 12
; Occupancy: 8
; WaveLimiterHint : 1
; COMPUTE_PGM_RSRC2:SCRATCH_EN: 0
; COMPUTE_PGM_RSRC2:USER_SGPR: 6
; COMPUTE_PGM_RSRC2:TRAP_HANDLER: 0
; COMPUTE_PGM_RSRC2:TGID_X_EN: 1
; COMPUTE_PGM_RSRC2:TGID_Y_EN: 0
; COMPUTE_PGM_RSRC2:TGID_Z_EN: 1
; COMPUTE_PGM_RSRC2:TIDIG_COMP_CNT: 0
; COMPUTE_PGM_RSRC3_GFX90A:ACCUM_OFFSET: 2
; COMPUTE_PGM_RSRC3_GFX90A:TG_SPLIT: 0
	.section	.text._ZL28rocblas_dot_batched_4_kernelIlLi32ELi4ELb0EddPKPKfEviT5_lT_lS4_lS5_liPT4_,"axG",@progbits,_ZL28rocblas_dot_batched_4_kernelIlLi32ELi4ELb0EddPKPKfEviT5_lT_lS4_lS5_liPT4_,comdat
	.globl	_ZL28rocblas_dot_batched_4_kernelIlLi32ELi4ELb0EddPKPKfEviT5_lT_lS4_lS5_liPT4_ ; -- Begin function _ZL28rocblas_dot_batched_4_kernelIlLi32ELi4ELb0EddPKPKfEviT5_lT_lS4_lS5_liPT4_
	.p2align	8
	.type	_ZL28rocblas_dot_batched_4_kernelIlLi32ELi4ELb0EddPKPKfEviT5_lT_lS4_lS5_liPT4_,@function
_ZL28rocblas_dot_batched_4_kernelIlLi32ELi4ELb0EddPKPKfEviT5_lT_lS4_lS5_liPT4_: ; @_ZL28rocblas_dot_batched_4_kernelIlLi32ELi4ELb0EddPKPKfEviT5_lT_lS4_lS5_liPT4_
; %bb.0:
	s_load_dword s0, s[4:5], 0x48
	v_bfe_u32 v1, v0, 10, 10
	v_lshl_add_u32 v4, s6, 2, v1
	s_waitcnt lgkmcnt(0)
	v_cmp_gt_u32_e32 vcc, s0, v4
	s_and_saveexec_b64 s[0:1], vcc
	s_cbranch_execz .LBB449_7
; %bb.1:
	s_load_dword s14, s[4:5], 0x0
	s_load_dwordx2 s[8:9], s[4:5], 0x50
	v_mov_b32_e32 v5, 0
	v_and_b32_e32 v8, 0x3ff, v0
	v_pk_mov_b32 v[2:3], 0, 0
	s_waitcnt lgkmcnt(0)
	v_cmp_gt_i32_e32 vcc, s14, v8
	v_lshlrev_b64 v[0:1], 3, v[4:5]
	s_and_saveexec_b64 s[10:11], vcc
	s_cbranch_execz .LBB449_5
; %bb.2:
	s_load_dwordx2 s[6:7], s[4:5], 0x8
	s_load_dwordx2 s[12:13], s[4:5], 0x28
	s_load_dwordx4 s[0:3], s[4:5], 0x10
	s_waitcnt lgkmcnt(0)
	v_mov_b32_e32 v3, s7
	v_add_co_u32_e32 v2, vcc, s6, v0
	v_addc_co_u32_e32 v3, vcc, v3, v1, vcc
	global_load_dwordx2 v[4:5], v[2:3], off
	v_mov_b32_e32 v3, s13
	v_add_co_u32_e32 v2, vcc, s12, v0
	v_addc_co_u32_e32 v3, vcc, v3, v1, vcc
	global_load_dwordx2 v[6:7], v[2:3], off
	s_load_dwordx4 s[4:7], s[4:5], 0x30
	v_mad_u64_u32 v[12:13], s[16:17], s2, v8, 0
	v_mov_b32_e32 v16, v13
	s_lshl_b64 s[16:17], s[0:1], 2
	s_lshl_b64 s[0:1], s[2:3], 7
	s_waitcnt lgkmcnt(0)
	v_mad_u64_u32 v[14:15], s[18:19], s6, v8, 0
	v_mad_u64_u32 v[16:17], s[2:3], s3, v8, v[16:17]
	v_mov_b32_e32 v18, v15
	v_mov_b32_e32 v13, v16
	v_mad_u64_u32 v[18:19], s[2:3], s7, v8, v[18:19]
	v_lshlrev_b64 v[12:13], 2, v[12:13]
	v_mov_b32_e32 v11, s17
	v_mov_b32_e32 v15, v18
	v_add_co_u32_e32 v12, vcc, s16, v12
	s_lshl_b64 s[18:19], s[4:5], 2
	v_lshlrev_b64 v[14:15], 2, v[14:15]
	v_addc_co_u32_e32 v11, vcc, v13, v11, vcc
	v_mov_b32_e32 v20, s19
	v_add_co_u32_e32 v13, vcc, s18, v14
	v_addc_co_u32_e32 v14, vcc, v15, v20, vcc
	s_lshl_b64 s[4:5], s[6:7], 7
	s_mov_b64 s[12:13], 0
	v_pk_mov_b32 v[2:3], 0, 0
	v_mov_b32_e32 v9, s1
	v_mov_b32_e32 v10, s5
	s_waitcnt vmcnt(1)
	v_add_co_u32_e32 v4, vcc, v4, v12
	v_addc_co_u32_e32 v5, vcc, v5, v11, vcc
	v_mov_b32_e32 v11, v8
	s_waitcnt vmcnt(0)
	v_add_co_u32_e32 v6, vcc, v6, v13
	v_addc_co_u32_e32 v7, vcc, v7, v14, vcc
.LBB449_3:                              ; =>This Inner Loop Header: Depth=1
	global_load_dword v12, v[4:5], off
	global_load_dword v14, v[6:7], off
	v_add_co_u32_e32 v4, vcc, s0, v4
	v_addc_co_u32_e32 v5, vcc, v5, v9, vcc
	v_add_co_u32_e32 v6, vcc, s4, v6
	v_add_u32_e32 v11, 32, v11
	v_addc_co_u32_e32 v7, vcc, v7, v10, vcc
	v_cmp_le_i32_e32 vcc, s14, v11
	s_or_b64 s[12:13], vcc, s[12:13]
	s_waitcnt vmcnt(1)
	v_cvt_f64_f32_e32 v[12:13], v12
	s_waitcnt vmcnt(0)
	v_cvt_f64_f32_e32 v[14:15], v14
	v_fmac_f64_e32 v[2:3], v[12:13], v[14:15]
	s_andn2_b64 exec, exec, s[12:13]
	s_cbranch_execnz .LBB449_3
; %bb.4:
	s_or_b64 exec, exec, s[12:13]
.LBB449_5:
	s_or_b64 exec, exec, s[10:11]
	v_mbcnt_lo_u32_b32 v4, -1, 0
	v_mbcnt_hi_u32_b32 v6, -1, v4
	v_and_b32_e32 v7, 63, v6
	v_cmp_gt_u32_e32 vcc, 48, v7
	v_cndmask_b32_e64 v4, 0, 1, vcc
	v_lshlrev_b32_e32 v4, 4, v4
	v_add_lshl_u32 v5, v4, v6, 2
	ds_bpermute_b32 v4, v5, v2
	ds_bpermute_b32 v5, v5, v3
	v_cmp_gt_u32_e32 vcc, 56, v7
	v_cndmask_b32_e64 v9, 0, 1, vcc
	v_cmp_gt_u32_e32 vcc, 60, v7
	s_waitcnt lgkmcnt(0)
	v_add_f64 v[2:3], v[2:3], v[4:5]
	v_lshlrev_b32_e32 v4, 3, v9
	v_add_lshl_u32 v5, v4, v6, 2
	ds_bpermute_b32 v4, v5, v2
	ds_bpermute_b32 v5, v5, v3
	s_barrier
	s_waitcnt lgkmcnt(0)
	v_add_f64 v[2:3], v[2:3], v[4:5]
	v_cndmask_b32_e64 v4, 0, 1, vcc
	v_lshlrev_b32_e32 v4, 2, v4
	v_add_lshl_u32 v5, v4, v6, 2
	ds_bpermute_b32 v4, v5, v2
	ds_bpermute_b32 v5, v5, v3
	v_cmp_gt_u32_e32 vcc, 62, v7
	s_waitcnt lgkmcnt(0)
	v_add_f64 v[2:3], v[2:3], v[4:5]
	v_cndmask_b32_e64 v4, 0, 1, vcc
	v_lshlrev_b32_e32 v4, 1, v4
	v_add_lshl_u32 v5, v4, v6, 2
	ds_bpermute_b32 v4, v5, v2
	ds_bpermute_b32 v5, v5, v3
	v_cmp_ne_u32_e32 vcc, 63, v7
	s_waitcnt lgkmcnt(0)
	v_add_f64 v[2:3], v[2:3], v[4:5]
	v_addc_co_u32_e32 v4, vcc, 0, v6, vcc
	v_lshlrev_b32_e32 v5, 2, v4
	ds_bpermute_b32 v4, v5, v2
	ds_bpermute_b32 v5, v5, v3
	v_cmp_eq_u32_e32 vcc, 0, v8
	s_and_b64 exec, exec, vcc
	s_cbranch_execz .LBB449_7
; %bb.6:
	v_mov_b32_e32 v6, s9
	v_add_co_u32_e32 v0, vcc, s8, v0
	v_addc_co_u32_e32 v1, vcc, v6, v1, vcc
	s_waitcnt lgkmcnt(0)
	v_add_f64 v[2:3], v[2:3], v[4:5]
	global_store_dwordx2 v[0:1], v[2:3], off
.LBB449_7:
	s_endpgm
	.section	.rodata,"a",@progbits
	.p2align	6, 0x0
	.amdhsa_kernel _ZL28rocblas_dot_batched_4_kernelIlLi32ELi4ELb0EddPKPKfEviT5_lT_lS4_lS5_liPT4_
		.amdhsa_group_segment_fixed_size 0
		.amdhsa_private_segment_fixed_size 0
		.amdhsa_kernarg_size 88
		.amdhsa_user_sgpr_count 6
		.amdhsa_user_sgpr_private_segment_buffer 1
		.amdhsa_user_sgpr_dispatch_ptr 0
		.amdhsa_user_sgpr_queue_ptr 0
		.amdhsa_user_sgpr_kernarg_segment_ptr 1
		.amdhsa_user_sgpr_dispatch_id 0
		.amdhsa_user_sgpr_flat_scratch_init 0
		.amdhsa_user_sgpr_kernarg_preload_length 0
		.amdhsa_user_sgpr_kernarg_preload_offset 0
		.amdhsa_user_sgpr_private_segment_size 0
		.amdhsa_uses_dynamic_stack 0
		.amdhsa_system_sgpr_private_segment_wavefront_offset 0
		.amdhsa_system_sgpr_workgroup_id_x 1
		.amdhsa_system_sgpr_workgroup_id_y 0
		.amdhsa_system_sgpr_workgroup_id_z 0
		.amdhsa_system_sgpr_workgroup_info 0
		.amdhsa_system_vgpr_workitem_id 1
		.amdhsa_next_free_vgpr 21
		.amdhsa_next_free_sgpr 20
		.amdhsa_accum_offset 24
		.amdhsa_reserve_vcc 1
		.amdhsa_reserve_flat_scratch 0
		.amdhsa_float_round_mode_32 0
		.amdhsa_float_round_mode_16_64 0
		.amdhsa_float_denorm_mode_32 3
		.amdhsa_float_denorm_mode_16_64 3
		.amdhsa_dx10_clamp 1
		.amdhsa_ieee_mode 1
		.amdhsa_fp16_overflow 0
		.amdhsa_tg_split 0
		.amdhsa_exception_fp_ieee_invalid_op 0
		.amdhsa_exception_fp_denorm_src 0
		.amdhsa_exception_fp_ieee_div_zero 0
		.amdhsa_exception_fp_ieee_overflow 0
		.amdhsa_exception_fp_ieee_underflow 0
		.amdhsa_exception_fp_ieee_inexact 0
		.amdhsa_exception_int_div_zero 0
	.end_amdhsa_kernel
	.section	.text._ZL28rocblas_dot_batched_4_kernelIlLi32ELi4ELb0EddPKPKfEviT5_lT_lS4_lS5_liPT4_,"axG",@progbits,_ZL28rocblas_dot_batched_4_kernelIlLi32ELi4ELb0EddPKPKfEviT5_lT_lS4_lS5_liPT4_,comdat
.Lfunc_end449:
	.size	_ZL28rocblas_dot_batched_4_kernelIlLi32ELi4ELb0EddPKPKfEviT5_lT_lS4_lS5_liPT4_, .Lfunc_end449-_ZL28rocblas_dot_batched_4_kernelIlLi32ELi4ELb0EddPKPKfEviT5_lT_lS4_lS5_liPT4_
                                        ; -- End function
	.section	.AMDGPU.csdata,"",@progbits
; Kernel info:
; codeLenInByte = 720
; NumSgprs: 24
; NumVgprs: 21
; NumAgprs: 0
; TotalNumVgprs: 21
; ScratchSize: 0
; MemoryBound: 0
; FloatMode: 240
; IeeeMode: 1
; LDSByteSize: 0 bytes/workgroup (compile time only)
; SGPRBlocks: 2
; VGPRBlocks: 2
; NumSGPRsForWavesPerEU: 24
; NumVGPRsForWavesPerEU: 21
; AccumOffset: 24
; Occupancy: 8
; WaveLimiterHint : 0
; COMPUTE_PGM_RSRC2:SCRATCH_EN: 0
; COMPUTE_PGM_RSRC2:USER_SGPR: 6
; COMPUTE_PGM_RSRC2:TRAP_HANDLER: 0
; COMPUTE_PGM_RSRC2:TGID_X_EN: 1
; COMPUTE_PGM_RSRC2:TGID_Y_EN: 0
; COMPUTE_PGM_RSRC2:TGID_Z_EN: 0
; COMPUTE_PGM_RSRC2:TIDIG_COMP_CNT: 1
; COMPUTE_PGM_RSRC3_GFX90A:ACCUM_OFFSET: 5
; COMPUTE_PGM_RSRC3_GFX90A:TG_SPLIT: 0
	.section	.text._ZL28rocblas_dot_batched_4_kernelIlLi64ELi4ELb0EddPKPKfEviT5_lT_lS4_lS5_liPT4_,"axG",@progbits,_ZL28rocblas_dot_batched_4_kernelIlLi64ELi4ELb0EddPKPKfEviT5_lT_lS4_lS5_liPT4_,comdat
	.globl	_ZL28rocblas_dot_batched_4_kernelIlLi64ELi4ELb0EddPKPKfEviT5_lT_lS4_lS5_liPT4_ ; -- Begin function _ZL28rocblas_dot_batched_4_kernelIlLi64ELi4ELb0EddPKPKfEviT5_lT_lS4_lS5_liPT4_
	.p2align	8
	.type	_ZL28rocblas_dot_batched_4_kernelIlLi64ELi4ELb0EddPKPKfEviT5_lT_lS4_lS5_liPT4_,@function
_ZL28rocblas_dot_batched_4_kernelIlLi64ELi4ELb0EddPKPKfEviT5_lT_lS4_lS5_liPT4_: ; @_ZL28rocblas_dot_batched_4_kernelIlLi64ELi4ELb0EddPKPKfEviT5_lT_lS4_lS5_liPT4_
; %bb.0:
	s_load_dword s0, s[4:5], 0x48
	v_bfe_u32 v1, v0, 10, 10
	v_lshl_add_u32 v4, s6, 2, v1
	s_waitcnt lgkmcnt(0)
	v_cmp_gt_u32_e32 vcc, s0, v4
	s_and_saveexec_b64 s[0:1], vcc
	s_cbranch_execz .LBB450_7
; %bb.1:
	s_load_dword s14, s[4:5], 0x0
	s_load_dwordx2 s[8:9], s[4:5], 0x50
	v_mov_b32_e32 v5, 0
	v_and_b32_e32 v8, 0x3ff, v0
	v_pk_mov_b32 v[2:3], 0, 0
	s_waitcnt lgkmcnt(0)
	v_cmp_gt_i32_e32 vcc, s14, v8
	v_lshlrev_b64 v[0:1], 3, v[4:5]
	s_and_saveexec_b64 s[10:11], vcc
	s_cbranch_execz .LBB450_5
; %bb.2:
	s_load_dwordx2 s[6:7], s[4:5], 0x8
	s_load_dwordx2 s[12:13], s[4:5], 0x28
	s_load_dwordx4 s[0:3], s[4:5], 0x10
	s_waitcnt lgkmcnt(0)
	v_mov_b32_e32 v3, s7
	v_add_co_u32_e32 v2, vcc, s6, v0
	v_addc_co_u32_e32 v3, vcc, v3, v1, vcc
	global_load_dwordx2 v[4:5], v[2:3], off
	v_mov_b32_e32 v3, s13
	v_add_co_u32_e32 v2, vcc, s12, v0
	v_addc_co_u32_e32 v3, vcc, v3, v1, vcc
	global_load_dwordx2 v[6:7], v[2:3], off
	s_load_dwordx4 s[4:7], s[4:5], 0x30
	v_mad_u64_u32 v[12:13], s[16:17], s2, v8, 0
	v_mov_b32_e32 v16, v13
	s_lshl_b64 s[16:17], s[0:1], 2
	s_lshl_b64 s[0:1], s[2:3], 8
	s_waitcnt lgkmcnt(0)
	v_mad_u64_u32 v[14:15], s[18:19], s6, v8, 0
	v_mad_u64_u32 v[16:17], s[2:3], s3, v8, v[16:17]
	v_mov_b32_e32 v18, v15
	v_mov_b32_e32 v13, v16
	v_mad_u64_u32 v[18:19], s[2:3], s7, v8, v[18:19]
	v_lshlrev_b64 v[12:13], 2, v[12:13]
	v_mov_b32_e32 v11, s17
	v_mov_b32_e32 v15, v18
	v_add_co_u32_e32 v12, vcc, s16, v12
	s_lshl_b64 s[18:19], s[4:5], 2
	v_lshlrev_b64 v[14:15], 2, v[14:15]
	v_addc_co_u32_e32 v11, vcc, v13, v11, vcc
	v_mov_b32_e32 v20, s19
	v_add_co_u32_e32 v13, vcc, s18, v14
	v_addc_co_u32_e32 v14, vcc, v15, v20, vcc
	s_lshl_b64 s[4:5], s[6:7], 8
	s_mov_b64 s[12:13], 0
	v_pk_mov_b32 v[2:3], 0, 0
	v_mov_b32_e32 v9, s1
	v_mov_b32_e32 v10, s5
	s_waitcnt vmcnt(1)
	v_add_co_u32_e32 v4, vcc, v4, v12
	v_addc_co_u32_e32 v5, vcc, v5, v11, vcc
	v_mov_b32_e32 v11, v8
	s_waitcnt vmcnt(0)
	v_add_co_u32_e32 v6, vcc, v6, v13
	v_addc_co_u32_e32 v7, vcc, v7, v14, vcc
.LBB450_3:                              ; =>This Inner Loop Header: Depth=1
	global_load_dword v12, v[4:5], off
	global_load_dword v14, v[6:7], off
	v_add_co_u32_e32 v4, vcc, s0, v4
	v_addc_co_u32_e32 v5, vcc, v5, v9, vcc
	v_add_co_u32_e32 v6, vcc, s4, v6
	v_add_u32_e32 v11, 64, v11
	v_addc_co_u32_e32 v7, vcc, v7, v10, vcc
	v_cmp_le_i32_e32 vcc, s14, v11
	s_or_b64 s[12:13], vcc, s[12:13]
	s_waitcnt vmcnt(1)
	v_cvt_f64_f32_e32 v[12:13], v12
	s_waitcnt vmcnt(0)
	v_cvt_f64_f32_e32 v[14:15], v14
	v_fmac_f64_e32 v[2:3], v[12:13], v[14:15]
	s_andn2_b64 exec, exec, s[12:13]
	s_cbranch_execnz .LBB450_3
; %bb.4:
	s_or_b64 exec, exec, s[12:13]
.LBB450_5:
	s_or_b64 exec, exec, s[10:11]
	v_mbcnt_lo_u32_b32 v4, -1, 0
	v_mbcnt_hi_u32_b32 v6, -1, v4
	v_and_b32_e32 v7, 63, v6
	v_cmp_gt_u32_e32 vcc, 32, v7
	v_cndmask_b32_e64 v4, 0, 1, vcc
	v_lshlrev_b32_e32 v4, 5, v4
	v_add_lshl_u32 v5, v4, v6, 2
	ds_bpermute_b32 v4, v5, v2
	ds_bpermute_b32 v5, v5, v3
	v_cmp_gt_u32_e32 vcc, 48, v7
	v_cndmask_b32_e64 v9, 0, 1, vcc
	v_cmp_gt_u32_e32 vcc, 56, v7
	s_waitcnt lgkmcnt(0)
	v_add_f64 v[2:3], v[2:3], v[4:5]
	v_lshlrev_b32_e32 v4, 4, v9
	v_add_lshl_u32 v5, v4, v6, 2
	ds_bpermute_b32 v4, v5, v2
	ds_bpermute_b32 v5, v5, v3
	s_barrier
	s_waitcnt lgkmcnt(0)
	v_add_f64 v[2:3], v[2:3], v[4:5]
	v_cndmask_b32_e64 v4, 0, 1, vcc
	v_lshlrev_b32_e32 v4, 3, v4
	v_add_lshl_u32 v5, v4, v6, 2
	ds_bpermute_b32 v4, v5, v2
	ds_bpermute_b32 v5, v5, v3
	v_cmp_gt_u32_e32 vcc, 60, v7
	s_waitcnt lgkmcnt(0)
	v_add_f64 v[2:3], v[2:3], v[4:5]
	v_cndmask_b32_e64 v4, 0, 1, vcc
	v_lshlrev_b32_e32 v4, 2, v4
	v_add_lshl_u32 v5, v4, v6, 2
	ds_bpermute_b32 v4, v5, v2
	ds_bpermute_b32 v5, v5, v3
	v_cmp_gt_u32_e32 vcc, 62, v7
	s_waitcnt lgkmcnt(0)
	v_add_f64 v[2:3], v[2:3], v[4:5]
	v_cndmask_b32_e64 v4, 0, 1, vcc
	v_lshlrev_b32_e32 v4, 1, v4
	v_add_lshl_u32 v5, v4, v6, 2
	ds_bpermute_b32 v4, v5, v2
	ds_bpermute_b32 v5, v5, v3
	v_cmp_ne_u32_e32 vcc, 63, v7
	s_waitcnt lgkmcnt(0)
	v_add_f64 v[2:3], v[2:3], v[4:5]
	v_addc_co_u32_e32 v4, vcc, 0, v6, vcc
	v_lshlrev_b32_e32 v5, 2, v4
	ds_bpermute_b32 v4, v5, v2
	ds_bpermute_b32 v5, v5, v3
	v_cmp_eq_u32_e32 vcc, 0, v8
	s_and_b64 exec, exec, vcc
	s_cbranch_execz .LBB450_7
; %bb.6:
	v_mov_b32_e32 v6, s9
	v_add_co_u32_e32 v0, vcc, s8, v0
	v_addc_co_u32_e32 v1, vcc, v6, v1, vcc
	s_waitcnt lgkmcnt(0)
	v_add_f64 v[2:3], v[2:3], v[4:5]
	global_store_dwordx2 v[0:1], v[2:3], off
.LBB450_7:
	s_endpgm
	.section	.rodata,"a",@progbits
	.p2align	6, 0x0
	.amdhsa_kernel _ZL28rocblas_dot_batched_4_kernelIlLi64ELi4ELb0EddPKPKfEviT5_lT_lS4_lS5_liPT4_
		.amdhsa_group_segment_fixed_size 0
		.amdhsa_private_segment_fixed_size 0
		.amdhsa_kernarg_size 88
		.amdhsa_user_sgpr_count 6
		.amdhsa_user_sgpr_private_segment_buffer 1
		.amdhsa_user_sgpr_dispatch_ptr 0
		.amdhsa_user_sgpr_queue_ptr 0
		.amdhsa_user_sgpr_kernarg_segment_ptr 1
		.amdhsa_user_sgpr_dispatch_id 0
		.amdhsa_user_sgpr_flat_scratch_init 0
		.amdhsa_user_sgpr_kernarg_preload_length 0
		.amdhsa_user_sgpr_kernarg_preload_offset 0
		.amdhsa_user_sgpr_private_segment_size 0
		.amdhsa_uses_dynamic_stack 0
		.amdhsa_system_sgpr_private_segment_wavefront_offset 0
		.amdhsa_system_sgpr_workgroup_id_x 1
		.amdhsa_system_sgpr_workgroup_id_y 0
		.amdhsa_system_sgpr_workgroup_id_z 0
		.amdhsa_system_sgpr_workgroup_info 0
		.amdhsa_system_vgpr_workitem_id 1
		.amdhsa_next_free_vgpr 21
		.amdhsa_next_free_sgpr 20
		.amdhsa_accum_offset 24
		.amdhsa_reserve_vcc 1
		.amdhsa_reserve_flat_scratch 0
		.amdhsa_float_round_mode_32 0
		.amdhsa_float_round_mode_16_64 0
		.amdhsa_float_denorm_mode_32 3
		.amdhsa_float_denorm_mode_16_64 3
		.amdhsa_dx10_clamp 1
		.amdhsa_ieee_mode 1
		.amdhsa_fp16_overflow 0
		.amdhsa_tg_split 0
		.amdhsa_exception_fp_ieee_invalid_op 0
		.amdhsa_exception_fp_denorm_src 0
		.amdhsa_exception_fp_ieee_div_zero 0
		.amdhsa_exception_fp_ieee_overflow 0
		.amdhsa_exception_fp_ieee_underflow 0
		.amdhsa_exception_fp_ieee_inexact 0
		.amdhsa_exception_int_div_zero 0
	.end_amdhsa_kernel
	.section	.text._ZL28rocblas_dot_batched_4_kernelIlLi64ELi4ELb0EddPKPKfEviT5_lT_lS4_lS5_liPT4_,"axG",@progbits,_ZL28rocblas_dot_batched_4_kernelIlLi64ELi4ELb0EddPKPKfEviT5_lT_lS4_lS5_liPT4_,comdat
.Lfunc_end450:
	.size	_ZL28rocblas_dot_batched_4_kernelIlLi64ELi4ELb0EddPKPKfEviT5_lT_lS4_lS5_liPT4_, .Lfunc_end450-_ZL28rocblas_dot_batched_4_kernelIlLi64ELi4ELb0EddPKPKfEviT5_lT_lS4_lS5_liPT4_
                                        ; -- End function
	.section	.AMDGPU.csdata,"",@progbits
; Kernel info:
; codeLenInByte = 772
; NumSgprs: 24
; NumVgprs: 21
; NumAgprs: 0
; TotalNumVgprs: 21
; ScratchSize: 0
; MemoryBound: 0
; FloatMode: 240
; IeeeMode: 1
; LDSByteSize: 0 bytes/workgroup (compile time only)
; SGPRBlocks: 2
; VGPRBlocks: 2
; NumSGPRsForWavesPerEU: 24
; NumVGPRsForWavesPerEU: 21
; AccumOffset: 24
; Occupancy: 8
; WaveLimiterHint : 0
; COMPUTE_PGM_RSRC2:SCRATCH_EN: 0
; COMPUTE_PGM_RSRC2:USER_SGPR: 6
; COMPUTE_PGM_RSRC2:TRAP_HANDLER: 0
; COMPUTE_PGM_RSRC2:TGID_X_EN: 1
; COMPUTE_PGM_RSRC2:TGID_Y_EN: 0
; COMPUTE_PGM_RSRC2:TGID_Z_EN: 0
; COMPUTE_PGM_RSRC2:TIDIG_COMP_CNT: 1
; COMPUTE_PGM_RSRC3_GFX90A:ACCUM_OFFSET: 5
; COMPUTE_PGM_RSRC3_GFX90A:TG_SPLIT: 0
	.section	.text._ZL18rocblas_dot_kernelIlLb1ELi1024ELi32ELb0EdPKPKfdEviT5_lT_lS4_lS5_liPT6_PT4_,"axG",@progbits,_ZL18rocblas_dot_kernelIlLb1ELi1024ELi32ELb0EdPKPKfdEviT5_lT_lS4_lS5_liPT6_PT4_,comdat
	.globl	_ZL18rocblas_dot_kernelIlLb1ELi1024ELi32ELb0EdPKPKfdEviT5_lT_lS4_lS5_liPT6_PT4_ ; -- Begin function _ZL18rocblas_dot_kernelIlLb1ELi1024ELi32ELb0EdPKPKfdEviT5_lT_lS4_lS5_liPT6_PT4_
	.p2align	8
	.type	_ZL18rocblas_dot_kernelIlLb1ELi1024ELi32ELb0EdPKPKfdEviT5_lT_lS4_lS5_liPT6_PT4_,@function
_ZL18rocblas_dot_kernelIlLb1ELi1024ELi32ELb0EdPKPKfdEviT5_lT_lS4_lS5_liPT6_PT4_: ; @_ZL18rocblas_dot_kernelIlLb1ELi1024ELi32ELb0EdPKPKfdEviT5_lT_lS4_lS5_liPT6_PT4_
; %bb.0:
	s_load_dword s16, s[4:5], 0x0
	s_load_dwordx2 s[12:13], s[4:5], 0x58
	s_mov_b32 s6, s7
	s_mov_b32 s7, 0
	v_pk_mov_b32 v[2:3], 0, 0
	s_waitcnt lgkmcnt(0)
	v_cmp_gt_i32_e32 vcc, s16, v0
	s_and_saveexec_b64 s[14:15], vcc
	s_cbranch_execz .LBB451_4
; %bb.1:
	s_load_dwordx2 s[18:19], s[4:5], 0x8
	s_load_dwordx4 s[8:11], s[4:5], 0x10
	s_load_dwordx2 s[20:21], s[4:5], 0x28
	s_load_dwordx4 s[0:3], s[4:5], 0x30
	s_lshl_b64 s[22:23], s[6:7], 3
	s_waitcnt lgkmcnt(0)
	s_add_u32 s18, s18, s22
	s_addc_u32 s19, s19, s23
	s_load_dword s17, s[4:5], 0x60
	s_load_dwordx2 s[24:25], s[18:19], 0x0
	s_add_u32 s4, s20, s22
	s_addc_u32 s5, s21, s23
	s_load_dwordx2 s[18:19], s[4:5], 0x0
	v_mad_u64_u32 v[2:3], s[4:5], s10, v0, 0
	v_mov_b32_e32 v4, v3
	v_mad_u64_u32 v[4:5], s[4:5], s11, v0, v[4:5]
	s_waitcnt lgkmcnt(0)
	s_lshl_b32 s17, s17, 10
	s_lshl_b64 s[4:5], s[8:9], 2
	v_mov_b32_e32 v3, v4
	s_add_u32 s4, s24, s4
	v_lshlrev_b64 v[2:3], 2, v[2:3]
	s_addc_u32 s5, s25, s5
	s_ashr_i32 s20, s17, 31
	v_mov_b32_e32 v5, s5
	v_add_co_u32_e32 v4, vcc, s4, v2
	s_mul_i32 s4, s10, s20
	s_mul_hi_u32 s5, s10, s17
	v_addc_co_u32_e32 v5, vcc, v5, v3, vcc
	s_add_i32 s4, s5, s4
	s_mul_i32 s5, s11, s17
	v_mad_u64_u32 v[2:3], s[8:9], s2, v0, 0
	s_add_i32 s5, s4, s5
	s_mul_i32 s4, s10, s17
	v_mov_b32_e32 v6, v3
	s_lshl_b64 s[4:5], s[4:5], 2
	v_mad_u64_u32 v[6:7], s[8:9], s3, v0, v[6:7]
	s_lshl_b64 s[0:1], s[0:1], 2
	v_mov_b32_e32 v3, v6
	s_add_u32 s0, s18, s0
	v_lshlrev_b64 v[2:3], 2, v[2:3]
	s_addc_u32 s1, s19, s1
	v_mov_b32_e32 v7, s1
	v_add_co_u32_e32 v6, vcc, s0, v2
	s_mul_i32 s0, s2, s20
	s_mul_hi_u32 s1, s2, s17
	s_add_i32 s0, s1, s0
	s_mul_i32 s1, s3, s17
	s_add_i32 s1, s0, s1
	s_mul_i32 s0, s2, s17
	s_lshl_b64 s[8:9], s[0:1], 2
	v_or_b32_e32 v1, s17, v0
	v_addc_co_u32_e32 v7, vcc, v7, v3, vcc
	s_mov_b64 s[2:3], 0
	v_pk_mov_b32 v[2:3], 0, 0
	v_mov_b32_e32 v8, s5
	v_mov_b32_e32 v9, s9
	s_mov_b32 s5, s7
.LBB451_2:                              ; =>This Inner Loop Header: Depth=1
	global_load_dword v10, v[6:7], off
	global_load_dword v12, v[4:5], off
	v_add_co_u32_e64 v4, s[0:1], s4, v4
	v_addc_co_u32_e64 v5, s[0:1], v5, v8, s[0:1]
	s_add_i32 s9, s5, 1
	v_add_co_u32_e64 v6, s[0:1], s8, v6
	v_addc_co_u32_e64 v7, s[0:1], v7, v9, s[0:1]
	s_cmp_gt_u32 s5, 30
	v_cmp_le_i32_e32 vcc, s16, v1
	s_cselect_b64 s[0:1], -1, 0
	s_or_b64 s[0:1], s[0:1], vcc
	s_and_b64 s[0:1], exec, s[0:1]
	v_add_u32_e32 v1, s17, v1
	s_mov_b32 s5, s9
	s_or_b64 s[2:3], s[0:1], s[2:3]
	s_waitcnt vmcnt(1)
	v_cvt_f64_f32_e32 v[10:11], v10
	s_waitcnt vmcnt(0)
	v_cvt_f64_f32_e32 v[12:13], v12
	v_fmac_f64_e32 v[2:3], v[10:11], v[12:13]
	s_andn2_b64 exec, exec, s[2:3]
	s_cbranch_execnz .LBB451_2
; %bb.3:
	s_or_b64 exec, exec, s[2:3]
.LBB451_4:
	s_or_b64 exec, exec, s[14:15]
	v_and_b32_e32 v6, 63, v0
	v_cmp_gt_u32_e32 vcc, 64, v0
	v_lshlrev_b32_e32 v1, 3, v6
	s_and_saveexec_b64 s[0:1], vcc
	s_cbranch_execz .LBB451_6
; %bb.5:
	v_mov_b32_e32 v4, 0
	v_mov_b32_e32 v5, v4
	ds_write_b64 v1, v[4:5]
.LBB451_6:
	s_or_b64 exec, exec, s[0:1]
	v_mbcnt_lo_u32_b32 v4, -1, 0
	v_mbcnt_hi_u32_b32 v10, -1, v4
	v_and_b32_e32 v11, 63, v10
	v_cmp_gt_u32_e64 s[0:1], 32, v11
	v_cndmask_b32_e64 v4, 0, 1, s[0:1]
	v_lshlrev_b32_e32 v4, 5, v4
	v_add_lshl_u32 v5, v4, v10, 2
	ds_bpermute_b32 v4, v5, v2
	ds_bpermute_b32 v5, v5, v3
	v_cmp_gt_u32_e64 s[0:1], 48, v11
	v_cndmask_b32_e64 v7, 0, 1, s[0:1]
	v_cmp_gt_u32_e64 s[0:1], 56, v11
	s_waitcnt lgkmcnt(0)
	v_add_f64 v[2:3], v[2:3], v[4:5]
	v_lshlrev_b32_e32 v4, 4, v7
	v_add_lshl_u32 v5, v4, v10, 2
	ds_bpermute_b32 v4, v5, v2
	ds_bpermute_b32 v5, v5, v3
	s_barrier
	s_waitcnt lgkmcnt(0)
	v_add_f64 v[2:3], v[2:3], v[4:5]
	v_cndmask_b32_e64 v4, 0, 1, s[0:1]
	v_lshlrev_b32_e32 v4, 3, v4
	v_add_lshl_u32 v7, v4, v10, 2
	ds_bpermute_b32 v4, v7, v2
	ds_bpermute_b32 v5, v7, v3
	v_cmp_gt_u32_e64 s[0:1], 60, v11
	s_waitcnt lgkmcnt(0)
	v_add_f64 v[2:3], v[2:3], v[4:5]
	v_cndmask_b32_e64 v4, 0, 1, s[0:1]
	v_lshlrev_b32_e32 v4, 2, v4
	v_add_lshl_u32 v8, v4, v10, 2
	ds_bpermute_b32 v4, v8, v2
	ds_bpermute_b32 v5, v8, v3
	v_cmp_gt_u32_e64 s[0:1], 62, v11
	s_waitcnt lgkmcnt(0)
	v_add_f64 v[2:3], v[2:3], v[4:5]
	v_cndmask_b32_e64 v4, 0, 1, s[0:1]
	v_lshlrev_b32_e32 v4, 1, v4
	v_add_lshl_u32 v9, v4, v10, 2
	ds_bpermute_b32 v4, v9, v2
	ds_bpermute_b32 v5, v9, v3
	v_cmp_ne_u32_e64 s[0:1], 63, v11
	s_waitcnt lgkmcnt(0)
	v_add_f64 v[2:3], v[2:3], v[4:5]
	v_addc_co_u32_e64 v4, s[0:1], 0, v10, s[0:1]
	v_lshlrev_b32_e32 v10, 2, v4
	ds_bpermute_b32 v4, v10, v2
	ds_bpermute_b32 v5, v10, v3
	v_cmp_eq_u32_e64 s[0:1], 0, v6
	s_and_saveexec_b64 s[2:3], s[0:1]
	s_cbranch_execz .LBB451_8
; %bb.7:
	s_waitcnt lgkmcnt(0)
	v_add_f64 v[2:3], v[2:3], v[4:5]
	v_lshrrev_b32_e32 v4, 3, v0
	v_and_b32_e32 v4, 0x78, v4
	ds_write_b64 v4, v[2:3]
.LBB451_8:
	s_or_b64 exec, exec, s[2:3]
	v_cmp_gt_u32_e64 s[0:1], 16, v0
	v_pk_mov_b32 v[2:3], 0, 0
	s_waitcnt lgkmcnt(0)
	s_barrier
	s_and_saveexec_b64 s[2:3], s[0:1]
	s_cbranch_execnz .LBB451_12
; %bb.9:
	s_or_b64 exec, exec, s[2:3]
	s_and_saveexec_b64 s[0:1], vcc
	s_cbranch_execnz .LBB451_13
.LBB451_10:
	s_or_b64 exec, exec, s[0:1]
	v_cmp_eq_u32_e32 vcc, 0, v0
	s_and_saveexec_b64 s[0:1], vcc
	s_cbranch_execnz .LBB451_14
.LBB451_11:
	s_endpgm
.LBB451_12:
	ds_read_b64 v[2:3], v1
	s_or_b64 exec, exec, s[2:3]
	s_and_saveexec_b64 s[0:1], vcc
	s_cbranch_execz .LBB451_10
.LBB451_13:
	s_waitcnt lgkmcnt(0)
	ds_bpermute_b32 v4, v7, v2
	ds_bpermute_b32 v5, v7, v3
	s_waitcnt lgkmcnt(0)
	v_add_f64 v[2:3], v[2:3], v[4:5]
	ds_bpermute_b32 v4, v8, v2
	ds_bpermute_b32 v5, v8, v3
	s_waitcnt lgkmcnt(0)
	v_add_f64 v[2:3], v[2:3], v[4:5]
	ds_bpermute_b32 v4, v9, v2
	ds_bpermute_b32 v5, v9, v3
	s_waitcnt lgkmcnt(0)
	v_add_f64 v[2:3], v[2:3], v[4:5]
	ds_bpermute_b32 v4, v10, v2
	ds_bpermute_b32 v5, v10, v3
	s_waitcnt lgkmcnt(0)
	v_add_f64 v[2:3], v[2:3], v[4:5]
	s_or_b64 exec, exec, s[0:1]
	v_cmp_eq_u32_e32 vcc, 0, v0
	s_and_saveexec_b64 s[0:1], vcc
	s_cbranch_execz .LBB451_11
.LBB451_14:
	s_lshl_b64 s[0:1], s[6:7], 3
	s_add_u32 s0, s12, s0
	s_addc_u32 s1, s13, s1
	v_mov_b32_e32 v0, 0
	s_waitcnt lgkmcnt(0)
	global_store_dwordx2 v0, v[2:3], s[0:1]
	s_endpgm
	.section	.rodata,"a",@progbits
	.p2align	6, 0x0
	.amdhsa_kernel _ZL18rocblas_dot_kernelIlLb1ELi1024ELi32ELb0EdPKPKfdEviT5_lT_lS4_lS5_liPT6_PT4_
		.amdhsa_group_segment_fixed_size 512
		.amdhsa_private_segment_fixed_size 0
		.amdhsa_kernarg_size 352
		.amdhsa_user_sgpr_count 6
		.amdhsa_user_sgpr_private_segment_buffer 1
		.amdhsa_user_sgpr_dispatch_ptr 0
		.amdhsa_user_sgpr_queue_ptr 0
		.amdhsa_user_sgpr_kernarg_segment_ptr 1
		.amdhsa_user_sgpr_dispatch_id 0
		.amdhsa_user_sgpr_flat_scratch_init 0
		.amdhsa_user_sgpr_kernarg_preload_length 0
		.amdhsa_user_sgpr_kernarg_preload_offset 0
		.amdhsa_user_sgpr_private_segment_size 0
		.amdhsa_uses_dynamic_stack 0
		.amdhsa_system_sgpr_private_segment_wavefront_offset 0
		.amdhsa_system_sgpr_workgroup_id_x 1
		.amdhsa_system_sgpr_workgroup_id_y 0
		.amdhsa_system_sgpr_workgroup_id_z 1
		.amdhsa_system_sgpr_workgroup_info 0
		.amdhsa_system_vgpr_workitem_id 0
		.amdhsa_next_free_vgpr 14
		.amdhsa_next_free_sgpr 26
		.amdhsa_accum_offset 16
		.amdhsa_reserve_vcc 1
		.amdhsa_reserve_flat_scratch 0
		.amdhsa_float_round_mode_32 0
		.amdhsa_float_round_mode_16_64 0
		.amdhsa_float_denorm_mode_32 3
		.amdhsa_float_denorm_mode_16_64 3
		.amdhsa_dx10_clamp 1
		.amdhsa_ieee_mode 1
		.amdhsa_fp16_overflow 0
		.amdhsa_tg_split 0
		.amdhsa_exception_fp_ieee_invalid_op 0
		.amdhsa_exception_fp_denorm_src 0
		.amdhsa_exception_fp_ieee_div_zero 0
		.amdhsa_exception_fp_ieee_overflow 0
		.amdhsa_exception_fp_ieee_underflow 0
		.amdhsa_exception_fp_ieee_inexact 0
		.amdhsa_exception_int_div_zero 0
	.end_amdhsa_kernel
	.section	.text._ZL18rocblas_dot_kernelIlLb1ELi1024ELi32ELb0EdPKPKfdEviT5_lT_lS4_lS5_liPT6_PT4_,"axG",@progbits,_ZL18rocblas_dot_kernelIlLb1ELi1024ELi32ELb0EdPKPKfdEviT5_lT_lS4_lS5_liPT6_PT4_,comdat
.Lfunc_end451:
	.size	_ZL18rocblas_dot_kernelIlLb1ELi1024ELi32ELb0EdPKPKfdEviT5_lT_lS4_lS5_liPT6_PT4_, .Lfunc_end451-_ZL18rocblas_dot_kernelIlLb1ELi1024ELi32ELb0EdPKPKfdEviT5_lT_lS4_lS5_liPT6_PT4_
                                        ; -- End function
	.section	.AMDGPU.csdata,"",@progbits
; Kernel info:
; codeLenInByte = 1136
; NumSgprs: 30
; NumVgprs: 14
; NumAgprs: 0
; TotalNumVgprs: 14
; ScratchSize: 0
; MemoryBound: 0
; FloatMode: 240
; IeeeMode: 1
; LDSByteSize: 512 bytes/workgroup (compile time only)
; SGPRBlocks: 3
; VGPRBlocks: 1
; NumSGPRsForWavesPerEU: 30
; NumVGPRsForWavesPerEU: 14
; AccumOffset: 16
; Occupancy: 8
; WaveLimiterHint : 0
; COMPUTE_PGM_RSRC2:SCRATCH_EN: 0
; COMPUTE_PGM_RSRC2:USER_SGPR: 6
; COMPUTE_PGM_RSRC2:TRAP_HANDLER: 0
; COMPUTE_PGM_RSRC2:TGID_X_EN: 1
; COMPUTE_PGM_RSRC2:TGID_Y_EN: 0
; COMPUTE_PGM_RSRC2:TGID_Z_EN: 1
; COMPUTE_PGM_RSRC2:TIDIG_COMP_CNT: 0
; COMPUTE_PGM_RSRC3_GFX90A:ACCUM_OFFSET: 3
; COMPUTE_PGM_RSRC3_GFX90A:TG_SPLIT: 0
	.section	.text._ZL24rocblas_dot_kernel_magsqIlLb1ELi1024ELi32ELb0EdPKPKfdEviT5_lT_liPT6_PT4_,"axG",@progbits,_ZL24rocblas_dot_kernel_magsqIlLb1ELi1024ELi32ELb0EdPKPKfdEviT5_lT_liPT6_PT4_,comdat
	.globl	_ZL24rocblas_dot_kernel_magsqIlLb1ELi1024ELi32ELb0EdPKPKfdEviT5_lT_liPT6_PT4_ ; -- Begin function _ZL24rocblas_dot_kernel_magsqIlLb1ELi1024ELi32ELb0EdPKPKfdEviT5_lT_liPT6_PT4_
	.p2align	8
	.type	_ZL24rocblas_dot_kernel_magsqIlLb1ELi1024ELi32ELb0EdPKPKfdEviT5_lT_liPT6_PT4_,@function
_ZL24rocblas_dot_kernel_magsqIlLb1ELi1024ELi32ELb0EdPKPKfdEviT5_lT_liPT6_PT4_: ; @_ZL24rocblas_dot_kernel_magsqIlLb1ELi1024ELi32ELb0EdPKPKfdEviT5_lT_liPT6_PT4_
; %bb.0:
	s_mov_b32 s2, s7
	s_load_dword s12, s[4:5], 0x0
	s_load_dwordx2 s[6:7], s[4:5], 0x38
	s_mov_b32 s3, 0
	v_pk_mov_b32 v[2:3], 0, 0
	s_waitcnt lgkmcnt(0)
	v_cmp_gt_i32_e32 vcc, s12, v0
	s_and_saveexec_b64 s[8:9], vcc
	s_cbranch_execz .LBB452_4
; %bb.1:
	s_load_dwordx2 s[0:1], s[4:5], 0x8
	s_load_dword s10, s[4:5], 0x40
	s_load_dwordx4 s[16:19], s[4:5], 0x10
	s_lshl_b64 s[4:5], s[2:3], 3
	s_waitcnt lgkmcnt(0)
	s_add_u32 s0, s0, s4
	s_addc_u32 s1, s1, s5
	s_load_dwordx2 s[0:1], s[0:1], 0x0
	v_mad_u64_u32 v[2:3], s[4:5], s18, v0, 0
	v_mov_b32_e32 v4, v3
	v_mad_u64_u32 v[4:5], s[4:5], s19, v0, v[4:5]
	s_lshl_b32 s13, s10, 10
	v_mov_b32_e32 v3, v4
	s_lshl_b64 s[4:5], s[16:17], 2
	v_lshlrev_b64 v[2:3], 2, v[2:3]
	s_waitcnt lgkmcnt(0)
	s_add_u32 s0, s0, s4
	s_addc_u32 s1, s1, s5
	v_add_co_u32_e32 v4, vcc, s0, v2
	s_ashr_i32 s0, s13, 31
	v_mov_b32_e32 v5, s1
	s_mul_i32 s0, s18, s0
	s_mul_hi_u32 s1, s18, s13
	s_add_i32 s0, s1, s0
	s_mul_i32 s1, s19, s13
	s_add_i32 s1, s0, s1
	s_mul_i32 s0, s18, s13
	s_lshl_b64 s[10:11], s[0:1], 2
	v_or_b32_e32 v1, s13, v0
	v_addc_co_u32_e32 v5, vcc, v5, v3, vcc
	s_mov_b64 s[4:5], 0
	v_pk_mov_b32 v[2:3], 0, 0
	v_mov_b32_e32 v6, s11
	s_mov_b32 s11, s3
.LBB452_2:                              ; =>This Inner Loop Header: Depth=1
	global_load_dword v7, v[4:5], off
	s_add_i32 s14, s11, 1
	v_add_co_u32_e64 v4, s[0:1], s10, v4
	v_addc_co_u32_e64 v5, s[0:1], v5, v6, s[0:1]
	s_cmp_gt_u32 s11, 30
	v_cmp_le_i32_e32 vcc, s12, v1
	s_cselect_b64 s[0:1], -1, 0
	s_or_b64 s[0:1], s[0:1], vcc
	s_and_b64 s[0:1], exec, s[0:1]
	v_add_u32_e32 v1, s13, v1
	s_mov_b32 s11, s14
	s_or_b64 s[4:5], s[0:1], s[4:5]
	s_waitcnt vmcnt(0)
	v_cvt_f64_f32_e32 v[8:9], v7
	v_fmac_f64_e32 v[2:3], v[8:9], v[8:9]
	s_andn2_b64 exec, exec, s[4:5]
	s_cbranch_execnz .LBB452_2
; %bb.3:
	s_or_b64 exec, exec, s[4:5]
.LBB452_4:
	s_or_b64 exec, exec, s[8:9]
	v_and_b32_e32 v6, 63, v0
	v_cmp_gt_u32_e32 vcc, 64, v0
	v_lshlrev_b32_e32 v1, 3, v6
	s_and_saveexec_b64 s[0:1], vcc
	s_cbranch_execz .LBB452_6
; %bb.5:
	v_mov_b32_e32 v4, 0
	v_mov_b32_e32 v5, v4
	ds_write_b64 v1, v[4:5]
.LBB452_6:
	s_or_b64 exec, exec, s[0:1]
	v_mbcnt_lo_u32_b32 v4, -1, 0
	v_mbcnt_hi_u32_b32 v10, -1, v4
	v_and_b32_e32 v11, 63, v10
	v_cmp_gt_u32_e64 s[0:1], 32, v11
	v_cndmask_b32_e64 v4, 0, 1, s[0:1]
	v_lshlrev_b32_e32 v4, 5, v4
	v_add_lshl_u32 v5, v4, v10, 2
	ds_bpermute_b32 v4, v5, v2
	ds_bpermute_b32 v5, v5, v3
	v_cmp_gt_u32_e64 s[0:1], 48, v11
	v_cndmask_b32_e64 v7, 0, 1, s[0:1]
	v_cmp_gt_u32_e64 s[0:1], 56, v11
	s_waitcnt lgkmcnt(0)
	v_add_f64 v[2:3], v[2:3], v[4:5]
	v_lshlrev_b32_e32 v4, 4, v7
	v_add_lshl_u32 v5, v4, v10, 2
	ds_bpermute_b32 v4, v5, v2
	ds_bpermute_b32 v5, v5, v3
	s_barrier
	s_waitcnt lgkmcnt(0)
	v_add_f64 v[2:3], v[2:3], v[4:5]
	v_cndmask_b32_e64 v4, 0, 1, s[0:1]
	v_lshlrev_b32_e32 v4, 3, v4
	v_add_lshl_u32 v7, v4, v10, 2
	ds_bpermute_b32 v4, v7, v2
	ds_bpermute_b32 v5, v7, v3
	v_cmp_gt_u32_e64 s[0:1], 60, v11
	s_waitcnt lgkmcnt(0)
	v_add_f64 v[2:3], v[2:3], v[4:5]
	v_cndmask_b32_e64 v4, 0, 1, s[0:1]
	v_lshlrev_b32_e32 v4, 2, v4
	v_add_lshl_u32 v8, v4, v10, 2
	ds_bpermute_b32 v4, v8, v2
	ds_bpermute_b32 v5, v8, v3
	v_cmp_gt_u32_e64 s[0:1], 62, v11
	s_waitcnt lgkmcnt(0)
	v_add_f64 v[2:3], v[2:3], v[4:5]
	v_cndmask_b32_e64 v4, 0, 1, s[0:1]
	v_lshlrev_b32_e32 v4, 1, v4
	v_add_lshl_u32 v9, v4, v10, 2
	ds_bpermute_b32 v4, v9, v2
	ds_bpermute_b32 v5, v9, v3
	v_cmp_ne_u32_e64 s[0:1], 63, v11
	s_waitcnt lgkmcnt(0)
	v_add_f64 v[2:3], v[2:3], v[4:5]
	v_addc_co_u32_e64 v4, s[0:1], 0, v10, s[0:1]
	v_lshlrev_b32_e32 v10, 2, v4
	ds_bpermute_b32 v4, v10, v2
	ds_bpermute_b32 v5, v10, v3
	v_cmp_eq_u32_e64 s[0:1], 0, v6
	s_and_saveexec_b64 s[4:5], s[0:1]
	s_cbranch_execz .LBB452_8
; %bb.7:
	s_waitcnt lgkmcnt(0)
	v_add_f64 v[2:3], v[2:3], v[4:5]
	v_lshrrev_b32_e32 v4, 3, v0
	v_and_b32_e32 v4, 0x78, v4
	ds_write_b64 v4, v[2:3]
.LBB452_8:
	s_or_b64 exec, exec, s[4:5]
	v_cmp_gt_u32_e64 s[0:1], 16, v0
	v_pk_mov_b32 v[2:3], 0, 0
	s_waitcnt lgkmcnt(0)
	s_barrier
	s_and_saveexec_b64 s[4:5], s[0:1]
	s_cbranch_execnz .LBB452_12
; %bb.9:
	s_or_b64 exec, exec, s[4:5]
	s_and_saveexec_b64 s[0:1], vcc
	s_cbranch_execnz .LBB452_13
.LBB452_10:
	s_or_b64 exec, exec, s[0:1]
	v_cmp_eq_u32_e32 vcc, 0, v0
	s_and_saveexec_b64 s[0:1], vcc
	s_cbranch_execnz .LBB452_14
.LBB452_11:
	s_endpgm
.LBB452_12:
	ds_read_b64 v[2:3], v1
	s_or_b64 exec, exec, s[4:5]
	s_and_saveexec_b64 s[0:1], vcc
	s_cbranch_execz .LBB452_10
.LBB452_13:
	s_waitcnt lgkmcnt(0)
	ds_bpermute_b32 v4, v7, v2
	ds_bpermute_b32 v5, v7, v3
	s_waitcnt lgkmcnt(0)
	v_add_f64 v[2:3], v[2:3], v[4:5]
	ds_bpermute_b32 v4, v8, v2
	ds_bpermute_b32 v5, v8, v3
	s_waitcnt lgkmcnt(0)
	v_add_f64 v[2:3], v[2:3], v[4:5]
	;; [unrolled: 4-line block ×4, first 2 shown]
	s_or_b64 exec, exec, s[0:1]
	v_cmp_eq_u32_e32 vcc, 0, v0
	s_and_saveexec_b64 s[0:1], vcc
	s_cbranch_execz .LBB452_11
.LBB452_14:
	s_lshl_b64 s[0:1], s[2:3], 3
	s_add_u32 s0, s6, s0
	s_addc_u32 s1, s7, s1
	v_mov_b32_e32 v0, 0
	s_waitcnt lgkmcnt(0)
	global_store_dwordx2 v0, v[2:3], s[0:1]
	s_endpgm
	.section	.rodata,"a",@progbits
	.p2align	6, 0x0
	.amdhsa_kernel _ZL24rocblas_dot_kernel_magsqIlLb1ELi1024ELi32ELb0EdPKPKfdEviT5_lT_liPT6_PT4_
		.amdhsa_group_segment_fixed_size 512
		.amdhsa_private_segment_fixed_size 0
		.amdhsa_kernarg_size 320
		.amdhsa_user_sgpr_count 6
		.amdhsa_user_sgpr_private_segment_buffer 1
		.amdhsa_user_sgpr_dispatch_ptr 0
		.amdhsa_user_sgpr_queue_ptr 0
		.amdhsa_user_sgpr_kernarg_segment_ptr 1
		.amdhsa_user_sgpr_dispatch_id 0
		.amdhsa_user_sgpr_flat_scratch_init 0
		.amdhsa_user_sgpr_kernarg_preload_length 0
		.amdhsa_user_sgpr_kernarg_preload_offset 0
		.amdhsa_user_sgpr_private_segment_size 0
		.amdhsa_uses_dynamic_stack 0
		.amdhsa_system_sgpr_private_segment_wavefront_offset 0
		.amdhsa_system_sgpr_workgroup_id_x 1
		.amdhsa_system_sgpr_workgroup_id_y 0
		.amdhsa_system_sgpr_workgroup_id_z 1
		.amdhsa_system_sgpr_workgroup_info 0
		.amdhsa_system_vgpr_workitem_id 0
		.amdhsa_next_free_vgpr 12
		.amdhsa_next_free_sgpr 20
		.amdhsa_accum_offset 12
		.amdhsa_reserve_vcc 1
		.amdhsa_reserve_flat_scratch 0
		.amdhsa_float_round_mode_32 0
		.amdhsa_float_round_mode_16_64 0
		.amdhsa_float_denorm_mode_32 3
		.amdhsa_float_denorm_mode_16_64 3
		.amdhsa_dx10_clamp 1
		.amdhsa_ieee_mode 1
		.amdhsa_fp16_overflow 0
		.amdhsa_tg_split 0
		.amdhsa_exception_fp_ieee_invalid_op 0
		.amdhsa_exception_fp_denorm_src 0
		.amdhsa_exception_fp_ieee_div_zero 0
		.amdhsa_exception_fp_ieee_overflow 0
		.amdhsa_exception_fp_ieee_underflow 0
		.amdhsa_exception_fp_ieee_inexact 0
		.amdhsa_exception_int_div_zero 0
	.end_amdhsa_kernel
	.section	.text._ZL24rocblas_dot_kernel_magsqIlLb1ELi1024ELi32ELb0EdPKPKfdEviT5_lT_liPT6_PT4_,"axG",@progbits,_ZL24rocblas_dot_kernel_magsqIlLb1ELi1024ELi32ELb0EdPKPKfdEviT5_lT_liPT6_PT4_,comdat
.Lfunc_end452:
	.size	_ZL24rocblas_dot_kernel_magsqIlLb1ELi1024ELi32ELb0EdPKPKfdEviT5_lT_liPT6_PT4_, .Lfunc_end452-_ZL24rocblas_dot_kernel_magsqIlLb1ELi1024ELi32ELb0EdPKPKfdEviT5_lT_liPT6_PT4_
                                        ; -- End function
	.section	.AMDGPU.csdata,"",@progbits
; Kernel info:
; codeLenInByte = 984
; NumSgprs: 24
; NumVgprs: 12
; NumAgprs: 0
; TotalNumVgprs: 12
; ScratchSize: 0
; MemoryBound: 0
; FloatMode: 240
; IeeeMode: 1
; LDSByteSize: 512 bytes/workgroup (compile time only)
; SGPRBlocks: 2
; VGPRBlocks: 1
; NumSGPRsForWavesPerEU: 24
; NumVGPRsForWavesPerEU: 12
; AccumOffset: 12
; Occupancy: 8
; WaveLimiterHint : 0
; COMPUTE_PGM_RSRC2:SCRATCH_EN: 0
; COMPUTE_PGM_RSRC2:USER_SGPR: 6
; COMPUTE_PGM_RSRC2:TRAP_HANDLER: 0
; COMPUTE_PGM_RSRC2:TGID_X_EN: 1
; COMPUTE_PGM_RSRC2:TGID_Y_EN: 0
; COMPUTE_PGM_RSRC2:TGID_Z_EN: 1
; COMPUTE_PGM_RSRC2:TIDIG_COMP_CNT: 0
; COMPUTE_PGM_RSRC3_GFX90A:ACCUM_OFFSET: 2
; COMPUTE_PGM_RSRC3_GFX90A:TG_SPLIT: 0
	.section	.text._ZL38rocblas_dot_kernel_gfx942_float_doubleIlLi1024EdPKPKfdEviT2_lT_lS4_lS5_lPT3_PT1_,"axG",@progbits,_ZL38rocblas_dot_kernel_gfx942_float_doubleIlLi1024EdPKPKfdEviT2_lT_lS4_lS5_lPT3_PT1_,comdat
	.globl	_ZL38rocblas_dot_kernel_gfx942_float_doubleIlLi1024EdPKPKfdEviT2_lT_lS4_lS5_lPT3_PT1_ ; -- Begin function _ZL38rocblas_dot_kernel_gfx942_float_doubleIlLi1024EdPKPKfdEviT2_lT_lS4_lS5_lPT3_PT1_
	.p2align	8
	.type	_ZL38rocblas_dot_kernel_gfx942_float_doubleIlLi1024EdPKPKfdEviT2_lT_lS4_lS5_lPT3_PT1_,@function
_ZL38rocblas_dot_kernel_gfx942_float_doubleIlLi1024EdPKPKfdEviT2_lT_lS4_lS5_lPT3_PT1_: ; @_ZL38rocblas_dot_kernel_gfx942_float_doubleIlLi1024EdPKPKfdEviT2_lT_lS4_lS5_lPT3_PT1_
; %bb.0:
	s_endpgm
	.section	.rodata,"a",@progbits
	.p2align	6, 0x0
	.amdhsa_kernel _ZL38rocblas_dot_kernel_gfx942_float_doubleIlLi1024EdPKPKfdEviT2_lT_lS4_lS5_lPT3_PT1_
		.amdhsa_group_segment_fixed_size 0
		.amdhsa_private_segment_fixed_size 0
		.amdhsa_kernarg_size 88
		.amdhsa_user_sgpr_count 6
		.amdhsa_user_sgpr_private_segment_buffer 1
		.amdhsa_user_sgpr_dispatch_ptr 0
		.amdhsa_user_sgpr_queue_ptr 0
		.amdhsa_user_sgpr_kernarg_segment_ptr 1
		.amdhsa_user_sgpr_dispatch_id 0
		.amdhsa_user_sgpr_flat_scratch_init 0
		.amdhsa_user_sgpr_kernarg_preload_length 0
		.amdhsa_user_sgpr_kernarg_preload_offset 0
		.amdhsa_user_sgpr_private_segment_size 0
		.amdhsa_uses_dynamic_stack 0
		.amdhsa_system_sgpr_private_segment_wavefront_offset 0
		.amdhsa_system_sgpr_workgroup_id_x 1
		.amdhsa_system_sgpr_workgroup_id_y 0
		.amdhsa_system_sgpr_workgroup_id_z 0
		.amdhsa_system_sgpr_workgroup_info 0
		.amdhsa_system_vgpr_workitem_id 0
		.amdhsa_next_free_vgpr 1
		.amdhsa_next_free_sgpr 0
		.amdhsa_accum_offset 4
		.amdhsa_reserve_vcc 0
		.amdhsa_reserve_flat_scratch 0
		.amdhsa_float_round_mode_32 0
		.amdhsa_float_round_mode_16_64 0
		.amdhsa_float_denorm_mode_32 3
		.amdhsa_float_denorm_mode_16_64 3
		.amdhsa_dx10_clamp 1
		.amdhsa_ieee_mode 1
		.amdhsa_fp16_overflow 0
		.amdhsa_tg_split 0
		.amdhsa_exception_fp_ieee_invalid_op 0
		.amdhsa_exception_fp_denorm_src 0
		.amdhsa_exception_fp_ieee_div_zero 0
		.amdhsa_exception_fp_ieee_overflow 0
		.amdhsa_exception_fp_ieee_underflow 0
		.amdhsa_exception_fp_ieee_inexact 0
		.amdhsa_exception_int_div_zero 0
	.end_amdhsa_kernel
	.section	.text._ZL38rocblas_dot_kernel_gfx942_float_doubleIlLi1024EdPKPKfdEviT2_lT_lS4_lS5_lPT3_PT1_,"axG",@progbits,_ZL38rocblas_dot_kernel_gfx942_float_doubleIlLi1024EdPKPKfdEviT2_lT_lS4_lS5_lPT3_PT1_,comdat
.Lfunc_end453:
	.size	_ZL38rocblas_dot_kernel_gfx942_float_doubleIlLi1024EdPKPKfdEviT2_lT_lS4_lS5_lPT3_PT1_, .Lfunc_end453-_ZL38rocblas_dot_kernel_gfx942_float_doubleIlLi1024EdPKPKfdEviT2_lT_lS4_lS5_lPT3_PT1_
                                        ; -- End function
	.section	.AMDGPU.csdata,"",@progbits
; Kernel info:
; codeLenInByte = 4
; NumSgprs: 4
; NumVgprs: 0
; NumAgprs: 0
; TotalNumVgprs: 0
; ScratchSize: 0
; MemoryBound: 0
; FloatMode: 240
; IeeeMode: 1
; LDSByteSize: 0 bytes/workgroup (compile time only)
; SGPRBlocks: 0
; VGPRBlocks: 0
; NumSGPRsForWavesPerEU: 4
; NumVGPRsForWavesPerEU: 1
; AccumOffset: 4
; Occupancy: 8
; WaveLimiterHint : 0
; COMPUTE_PGM_RSRC2:SCRATCH_EN: 0
; COMPUTE_PGM_RSRC2:USER_SGPR: 6
; COMPUTE_PGM_RSRC2:TRAP_HANDLER: 0
; COMPUTE_PGM_RSRC2:TGID_X_EN: 1
; COMPUTE_PGM_RSRC2:TGID_Y_EN: 0
; COMPUTE_PGM_RSRC2:TGID_Z_EN: 0
; COMPUTE_PGM_RSRC2:TIDIG_COMP_CNT: 0
; COMPUTE_PGM_RSRC3_GFX90A:ACCUM_OFFSET: 0
; COMPUTE_PGM_RSRC3_GFX90A:TG_SPLIT: 0
	.section	.text._ZL18rocblas_dot_kernelIlLb0ELi512ELi2ELb0EdPKPKfdEviT5_lT_lS4_lS5_liPT6_PT4_,"axG",@progbits,_ZL18rocblas_dot_kernelIlLb0ELi512ELi2ELb0EdPKPKfdEviT5_lT_lS4_lS5_liPT6_PT4_,comdat
	.globl	_ZL18rocblas_dot_kernelIlLb0ELi512ELi2ELb0EdPKPKfdEviT5_lT_lS4_lS5_liPT6_PT4_ ; -- Begin function _ZL18rocblas_dot_kernelIlLb0ELi512ELi2ELb0EdPKPKfdEviT5_lT_lS4_lS5_liPT6_PT4_
	.p2align	8
	.type	_ZL18rocblas_dot_kernelIlLb0ELi512ELi2ELb0EdPKPKfdEviT5_lT_lS4_lS5_liPT6_PT4_,@function
_ZL18rocblas_dot_kernelIlLb0ELi512ELi2ELb0EdPKPKfdEviT5_lT_lS4_lS5_liPT6_PT4_: ; @_ZL18rocblas_dot_kernelIlLb0ELi512ELi2ELb0EdPKPKfdEviT5_lT_lS4_lS5_liPT6_PT4_
; %bb.0:
	s_mov_b32 s12, s7
	s_load_dword s7, s[4:5], 0x0
	s_load_dword s16, s[4:5], 0x60
	v_lshl_or_b32 v1, s6, 9, v0
	s_mov_b32 s13, 0
	v_pk_mov_b32 v[2:3], 0, 0
	s_waitcnt lgkmcnt(0)
	v_cmp_gt_i32_e32 vcc, s7, v1
	s_and_saveexec_b64 s[14:15], vcc
	s_cbranch_execz .LBB454_4
; %bb.1:
	s_load_dwordx2 s[18:19], s[4:5], 0x8
	s_load_dwordx4 s[0:3], s[4:5], 0x10
	s_load_dwordx2 s[20:21], s[4:5], 0x28
	s_load_dwordx4 s[8:11], s[4:5], 0x30
	s_lshl_b64 s[22:23], s[12:13], 3
	s_waitcnt lgkmcnt(0)
	s_add_u32 s18, s18, s22
	s_addc_u32 s19, s19, s23
	s_load_dwordx2 s[18:19], s[18:19], 0x0
	s_lshl_b64 s[0:1], s[0:1], 2
	v_ashrrev_i32_e32 v4, 31, v1
	v_mul_lo_u32 v5, v1, s11
	v_mul_lo_u32 v6, v4, s10
	s_waitcnt lgkmcnt(0)
	s_add_u32 s17, s18, s0
	s_addc_u32 s18, s19, s1
	s_add_u32 s0, s20, s22
	s_addc_u32 s1, s21, s23
	s_load_dwordx2 s[0:1], s[0:1], 0x0
	v_mad_u64_u32 v[2:3], s[20:21], v1, s10, 0
	s_lshl_b64 s[8:9], s[8:9], 2
	v_add3_u32 v3, v3, v5, v6
	s_waitcnt lgkmcnt(0)
	s_add_u32 s8, s0, s8
	s_addc_u32 s9, s1, s9
	v_lshlrev_b64 v[2:3], 2, v[2:3]
	v_mov_b32_e32 v5, s9
	v_add_co_u32_e32 v2, vcc, s8, v2
	v_addc_co_u32_e32 v3, vcc, v5, v3, vcc
	v_mul_lo_u32 v6, v1, s3
	v_mul_lo_u32 v7, v4, s2
	v_mad_u64_u32 v[4:5], s[0:1], v1, s2, 0
	v_add3_u32 v5, v5, v6, v7
	v_lshlrev_b64 v[4:5], 2, v[4:5]
	v_mov_b32_e32 v1, s18
	v_add_co_u32_e32 v4, vcc, s17, v4
	v_addc_co_u32_e32 v5, vcc, v1, v5, vcc
	global_load_dword v6, v[4:5], off
	global_load_dword v7, v[2:3], off
	s_add_i32 s0, s6, s16
	v_lshl_or_b32 v1, s0, 9, v0
	v_cmp_gt_i32_e32 vcc, s7, v1
	s_waitcnt vmcnt(1)
	v_cvt_f64_f32_e32 v[2:3], v6
	s_waitcnt vmcnt(0)
	v_cvt_f64_f32_e32 v[4:5], v7
	v_fma_f64 v[2:3], v[4:5], v[2:3], 0
	s_and_saveexec_b64 s[0:1], vcc
	s_cbranch_execz .LBB454_3
; %bb.2:
	v_ashrrev_i32_e32 v6, 31, v1
	v_mul_lo_u32 v7, v1, s11
	v_mul_lo_u32 v8, v6, s10
	v_mad_u64_u32 v[4:5], s[10:11], v1, s10, 0
	v_add3_u32 v5, v5, v7, v8
	v_lshlrev_b64 v[4:5], 2, v[4:5]
	v_mov_b32_e32 v7, s9
	v_add_co_u32_e32 v4, vcc, s8, v4
	v_addc_co_u32_e32 v5, vcc, v7, v5, vcc
	global_load_dword v7, v[4:5], off
	v_mul_lo_u32 v8, v1, s3
	v_mul_lo_u32 v6, v6, s2
	v_mad_u64_u32 v[4:5], s[2:3], v1, s2, 0
	v_add3_u32 v5, v5, v8, v6
	v_lshlrev_b64 v[4:5], 2, v[4:5]
	v_mov_b32_e32 v1, s18
	v_add_co_u32_e32 v4, vcc, s17, v4
	v_addc_co_u32_e32 v5, vcc, v1, v5, vcc
	global_load_dword v1, v[4:5], off
	s_waitcnt vmcnt(1)
	v_cvt_f64_f32_e32 v[4:5], v7
	s_waitcnt vmcnt(0)
	v_cvt_f64_f32_e32 v[6:7], v1
	v_fmac_f64_e32 v[2:3], v[4:5], v[6:7]
.LBB454_3:
	s_or_b64 exec, exec, s[0:1]
.LBB454_4:
	s_or_b64 exec, exec, s[14:15]
	v_and_b32_e32 v6, 63, v0
	v_cmp_gt_u32_e32 vcc, 64, v0
	v_lshlrev_b32_e32 v1, 3, v6
	s_and_saveexec_b64 s[0:1], vcc
	s_cbranch_execz .LBB454_6
; %bb.5:
	v_mov_b32_e32 v4, 0
	v_mov_b32_e32 v5, v4
	ds_write_b64 v1, v[4:5]
.LBB454_6:
	s_or_b64 exec, exec, s[0:1]
	v_mbcnt_lo_u32_b32 v4, -1, 0
	v_mbcnt_hi_u32_b32 v9, -1, v4
	v_and_b32_e32 v10, 63, v9
	v_cmp_gt_u32_e64 s[0:1], 32, v10
	v_cndmask_b32_e64 v4, 0, 1, s[0:1]
	v_lshlrev_b32_e32 v4, 5, v4
	v_add_lshl_u32 v5, v4, v9, 2
	ds_bpermute_b32 v4, v5, v2
	ds_bpermute_b32 v5, v5, v3
	v_cmp_gt_u32_e64 s[0:1], 48, v10
	v_cndmask_b32_e64 v7, 0, 1, s[0:1]
	v_cmp_gt_u32_e64 s[0:1], 56, v10
	s_waitcnt lgkmcnt(0)
	v_add_f64 v[2:3], v[2:3], v[4:5]
	v_lshlrev_b32_e32 v4, 4, v7
	v_add_lshl_u32 v5, v4, v9, 2
	ds_bpermute_b32 v4, v5, v2
	ds_bpermute_b32 v5, v5, v3
	s_barrier
	s_waitcnt lgkmcnt(0)
	v_add_f64 v[2:3], v[2:3], v[4:5]
	v_cndmask_b32_e64 v4, 0, 1, s[0:1]
	v_lshlrev_b32_e32 v4, 3, v4
	v_add_lshl_u32 v5, v4, v9, 2
	ds_bpermute_b32 v4, v5, v2
	ds_bpermute_b32 v5, v5, v3
	v_cmp_gt_u32_e64 s[0:1], 60, v10
	s_waitcnt lgkmcnt(0)
	v_add_f64 v[2:3], v[2:3], v[4:5]
	v_cndmask_b32_e64 v4, 0, 1, s[0:1]
	v_lshlrev_b32_e32 v4, 2, v4
	v_add_lshl_u32 v7, v4, v9, 2
	ds_bpermute_b32 v4, v7, v2
	ds_bpermute_b32 v5, v7, v3
	v_cmp_gt_u32_e64 s[0:1], 62, v10
	s_waitcnt lgkmcnt(0)
	v_add_f64 v[2:3], v[2:3], v[4:5]
	v_cndmask_b32_e64 v4, 0, 1, s[0:1]
	v_lshlrev_b32_e32 v4, 1, v4
	v_add_lshl_u32 v8, v4, v9, 2
	ds_bpermute_b32 v4, v8, v2
	ds_bpermute_b32 v5, v8, v3
	v_cmp_ne_u32_e64 s[0:1], 63, v10
	s_waitcnt lgkmcnt(0)
	v_add_f64 v[2:3], v[2:3], v[4:5]
	v_addc_co_u32_e64 v4, s[0:1], 0, v9, s[0:1]
	v_lshlrev_b32_e32 v9, 2, v4
	ds_bpermute_b32 v4, v9, v2
	ds_bpermute_b32 v5, v9, v3
	v_cmp_eq_u32_e64 s[0:1], 0, v6
	s_and_saveexec_b64 s[2:3], s[0:1]
	s_cbranch_execz .LBB454_8
; %bb.7:
	s_waitcnt lgkmcnt(0)
	v_add_f64 v[2:3], v[2:3], v[4:5]
	v_lshrrev_b32_e32 v4, 3, v0
	v_and_b32_e32 v4, 56, v4
	ds_write_b64 v4, v[2:3]
.LBB454_8:
	s_or_b64 exec, exec, s[2:3]
	v_cmp_gt_u32_e64 s[0:1], 8, v0
	v_pk_mov_b32 v[2:3], 0, 0
	s_waitcnt lgkmcnt(0)
	s_barrier
	s_and_saveexec_b64 s[2:3], s[0:1]
	s_cbranch_execnz .LBB454_12
; %bb.9:
	s_or_b64 exec, exec, s[2:3]
	s_and_saveexec_b64 s[0:1], vcc
	s_cbranch_execnz .LBB454_13
.LBB454_10:
	s_or_b64 exec, exec, s[0:1]
	v_cmp_eq_u32_e32 vcc, 0, v0
	s_and_saveexec_b64 s[0:1], vcc
	s_cbranch_execnz .LBB454_14
.LBB454_11:
	s_endpgm
.LBB454_12:
	ds_read_b64 v[2:3], v1
	s_or_b64 exec, exec, s[2:3]
	s_and_saveexec_b64 s[0:1], vcc
	s_cbranch_execz .LBB454_10
.LBB454_13:
	s_waitcnt lgkmcnt(0)
	ds_bpermute_b32 v4, v7, v2
	ds_bpermute_b32 v5, v7, v3
	s_waitcnt lgkmcnt(0)
	v_add_f64 v[2:3], v[2:3], v[4:5]
	ds_bpermute_b32 v4, v8, v2
	ds_bpermute_b32 v5, v8, v3
	s_waitcnt lgkmcnt(0)
	v_add_f64 v[2:3], v[2:3], v[4:5]
	ds_bpermute_b32 v4, v9, v2
	ds_bpermute_b32 v5, v9, v3
	s_waitcnt lgkmcnt(0)
	v_add_f64 v[2:3], v[2:3], v[4:5]
	s_or_b64 exec, exec, s[0:1]
	v_cmp_eq_u32_e32 vcc, 0, v0
	s_and_saveexec_b64 s[0:1], vcc
	s_cbranch_execz .LBB454_11
.LBB454_14:
	s_cmp_lg_u32 s16, 1
	s_cbranch_scc0 .LBB454_16
; %bb.15:
	s_load_dwordx2 s[0:1], s[4:5], 0x50
	s_mul_hi_u32 s3, s16, s12
	s_mul_i32 s2, s16, s12
	s_lshl_b64 s[2:3], s[2:3], 3
	s_mov_b32 s7, 0
	s_waitcnt lgkmcnt(0)
	s_add_u32 s2, s0, s2
	s_addc_u32 s3, s1, s3
	s_lshl_b64 s[0:1], s[6:7], 3
	s_add_u32 s0, s2, s0
	s_addc_u32 s1, s3, s1
	s_cbranch_execz .LBB454_17
	s_branch .LBB454_18
.LBB454_16:
                                        ; implicit-def: $sgpr0_sgpr1
.LBB454_17:
	s_load_dwordx2 s[0:1], s[4:5], 0x58
	s_lshl_b64 s[2:3], s[12:13], 3
	s_waitcnt lgkmcnt(0)
	s_add_u32 s0, s0, s2
	s_addc_u32 s1, s1, s3
.LBB454_18:
	v_mov_b32_e32 v0, 0
	s_waitcnt lgkmcnt(0)
	global_store_dwordx2 v0, v[2:3], s[0:1]
	s_endpgm
	.section	.rodata,"a",@progbits
	.p2align	6, 0x0
	.amdhsa_kernel _ZL18rocblas_dot_kernelIlLb0ELi512ELi2ELb0EdPKPKfdEviT5_lT_lS4_lS5_liPT6_PT4_
		.amdhsa_group_segment_fixed_size 512
		.amdhsa_private_segment_fixed_size 0
		.amdhsa_kernarg_size 352
		.amdhsa_user_sgpr_count 6
		.amdhsa_user_sgpr_private_segment_buffer 1
		.amdhsa_user_sgpr_dispatch_ptr 0
		.amdhsa_user_sgpr_queue_ptr 0
		.amdhsa_user_sgpr_kernarg_segment_ptr 1
		.amdhsa_user_sgpr_dispatch_id 0
		.amdhsa_user_sgpr_flat_scratch_init 0
		.amdhsa_user_sgpr_kernarg_preload_length 0
		.amdhsa_user_sgpr_kernarg_preload_offset 0
		.amdhsa_user_sgpr_private_segment_size 0
		.amdhsa_uses_dynamic_stack 0
		.amdhsa_system_sgpr_private_segment_wavefront_offset 0
		.amdhsa_system_sgpr_workgroup_id_x 1
		.amdhsa_system_sgpr_workgroup_id_y 0
		.amdhsa_system_sgpr_workgroup_id_z 1
		.amdhsa_system_sgpr_workgroup_info 0
		.amdhsa_system_vgpr_workitem_id 0
		.amdhsa_next_free_vgpr 11
		.amdhsa_next_free_sgpr 24
		.amdhsa_accum_offset 12
		.amdhsa_reserve_vcc 1
		.amdhsa_reserve_flat_scratch 0
		.amdhsa_float_round_mode_32 0
		.amdhsa_float_round_mode_16_64 0
		.amdhsa_float_denorm_mode_32 3
		.amdhsa_float_denorm_mode_16_64 3
		.amdhsa_dx10_clamp 1
		.amdhsa_ieee_mode 1
		.amdhsa_fp16_overflow 0
		.amdhsa_tg_split 0
		.amdhsa_exception_fp_ieee_invalid_op 0
		.amdhsa_exception_fp_denorm_src 0
		.amdhsa_exception_fp_ieee_div_zero 0
		.amdhsa_exception_fp_ieee_overflow 0
		.amdhsa_exception_fp_ieee_underflow 0
		.amdhsa_exception_fp_ieee_inexact 0
		.amdhsa_exception_int_div_zero 0
	.end_amdhsa_kernel
	.section	.text._ZL18rocblas_dot_kernelIlLb0ELi512ELi2ELb0EdPKPKfdEviT5_lT_lS4_lS5_liPT6_PT4_,"axG",@progbits,_ZL18rocblas_dot_kernelIlLb0ELi512ELi2ELb0EdPKPKfdEviT5_lT_lS4_lS5_liPT6_PT4_,comdat
.Lfunc_end454:
	.size	_ZL18rocblas_dot_kernelIlLb0ELi512ELi2ELb0EdPKPKfdEviT5_lT_lS4_lS5_liPT6_PT4_, .Lfunc_end454-_ZL18rocblas_dot_kernelIlLb0ELi512ELi2ELb0EdPKPKfdEviT5_lT_lS4_lS5_liPT6_PT4_
                                        ; -- End function
	.section	.AMDGPU.csdata,"",@progbits
; Kernel info:
; codeLenInByte = 1208
; NumSgprs: 28
; NumVgprs: 11
; NumAgprs: 0
; TotalNumVgprs: 11
; ScratchSize: 0
; MemoryBound: 0
; FloatMode: 240
; IeeeMode: 1
; LDSByteSize: 512 bytes/workgroup (compile time only)
; SGPRBlocks: 3
; VGPRBlocks: 1
; NumSGPRsForWavesPerEU: 28
; NumVGPRsForWavesPerEU: 11
; AccumOffset: 12
; Occupancy: 8
; WaveLimiterHint : 1
; COMPUTE_PGM_RSRC2:SCRATCH_EN: 0
; COMPUTE_PGM_RSRC2:USER_SGPR: 6
; COMPUTE_PGM_RSRC2:TRAP_HANDLER: 0
; COMPUTE_PGM_RSRC2:TGID_X_EN: 1
; COMPUTE_PGM_RSRC2:TGID_Y_EN: 0
; COMPUTE_PGM_RSRC2:TGID_Z_EN: 1
; COMPUTE_PGM_RSRC2:TIDIG_COMP_CNT: 0
; COMPUTE_PGM_RSRC3_GFX90A:ACCUM_OFFSET: 2
; COMPUTE_PGM_RSRC3_GFX90A:TG_SPLIT: 0
	.section	.text._ZL24rocblas_dot_kernel_magsqIlLb0ELi512ELi2ELb0EdPKPKfdEviT5_lT_liPT6_PT4_,"axG",@progbits,_ZL24rocblas_dot_kernel_magsqIlLb0ELi512ELi2ELb0EdPKPKfdEviT5_lT_liPT6_PT4_,comdat
	.globl	_ZL24rocblas_dot_kernel_magsqIlLb0ELi512ELi2ELb0EdPKPKfdEviT5_lT_liPT6_PT4_ ; -- Begin function _ZL24rocblas_dot_kernel_magsqIlLb0ELi512ELi2ELb0EdPKPKfdEviT5_lT_liPT6_PT4_
	.p2align	8
	.type	_ZL24rocblas_dot_kernel_magsqIlLb0ELi512ELi2ELb0EdPKPKfdEviT5_lT_liPT6_PT4_,@function
_ZL24rocblas_dot_kernel_magsqIlLb0ELi512ELi2ELb0EdPKPKfdEviT5_lT_liPT6_PT4_: ; @_ZL24rocblas_dot_kernel_magsqIlLb0ELi512ELi2ELb0EdPKPKfdEviT5_lT_liPT6_PT4_
; %bb.0:
	s_mov_b32 s8, s7
	s_load_dword s7, s[4:5], 0x0
	s_load_dword s12, s[4:5], 0x40
	v_lshl_or_b32 v1, s6, 9, v0
	s_mov_b32 s9, 0
	v_pk_mov_b32 v[2:3], 0, 0
	s_waitcnt lgkmcnt(0)
	v_cmp_gt_i32_e32 vcc, s7, v1
	s_and_saveexec_b64 s[10:11], vcc
	s_cbranch_execz .LBB455_4
; %bb.1:
	s_load_dwordx2 s[14:15], s[4:5], 0x8
	s_load_dwordx4 s[0:3], s[4:5], 0x10
	s_lshl_b64 s[16:17], s[8:9], 3
	v_ashrrev_i32_e32 v2, 31, v1
	s_waitcnt lgkmcnt(0)
	s_add_u32 s14, s14, s16
	s_addc_u32 s15, s15, s17
	s_load_dwordx2 s[14:15], s[14:15], 0x0
	v_mul_lo_u32 v4, v1, s3
	v_mul_lo_u32 v5, v2, s2
	v_mad_u64_u32 v[2:3], s[16:17], v1, s2, 0
	s_lshl_b64 s[0:1], s[0:1], 2
	s_waitcnt lgkmcnt(0)
	s_add_u32 s13, s14, s0
	v_add3_u32 v3, v3, v4, v5
	s_addc_u32 s14, s15, s1
	v_lshlrev_b64 v[2:3], 2, v[2:3]
	v_mov_b32_e32 v1, s14
	v_add_co_u32_e32 v2, vcc, s13, v2
	v_addc_co_u32_e32 v3, vcc, v1, v3, vcc
	global_load_dword v2, v[2:3], off
	s_add_i32 s0, s6, s12
	v_lshl_or_b32 v1, s0, 9, v0
	v_cmp_gt_i32_e32 vcc, s7, v1
	s_waitcnt vmcnt(0)
	v_cvt_f64_f32_e32 v[2:3], v2
	v_mul_f64 v[2:3], v[2:3], v[2:3]
	s_and_saveexec_b64 s[0:1], vcc
	s_cbranch_execz .LBB455_3
; %bb.2:
	v_ashrrev_i32_e32 v4, 31, v1
	v_mul_lo_u32 v6, v1, s3
	v_mul_lo_u32 v7, v4, s2
	v_mad_u64_u32 v[4:5], s[2:3], v1, s2, 0
	v_add3_u32 v5, v5, v6, v7
	v_lshlrev_b64 v[4:5], 2, v[4:5]
	v_mov_b32_e32 v1, s14
	v_add_co_u32_e32 v4, vcc, s13, v4
	v_addc_co_u32_e32 v5, vcc, v1, v5, vcc
	global_load_dword v1, v[4:5], off
	s_waitcnt vmcnt(0)
	v_cvt_f64_f32_e32 v[4:5], v1
	v_fmac_f64_e32 v[2:3], v[4:5], v[4:5]
.LBB455_3:
	s_or_b64 exec, exec, s[0:1]
.LBB455_4:
	s_or_b64 exec, exec, s[10:11]
	v_and_b32_e32 v6, 63, v0
	v_cmp_gt_u32_e32 vcc, 64, v0
	v_lshlrev_b32_e32 v1, 3, v6
	s_and_saveexec_b64 s[0:1], vcc
	s_cbranch_execz .LBB455_6
; %bb.5:
	v_mov_b32_e32 v4, 0
	v_mov_b32_e32 v5, v4
	ds_write_b64 v1, v[4:5]
.LBB455_6:
	s_or_b64 exec, exec, s[0:1]
	v_mbcnt_lo_u32_b32 v4, -1, 0
	v_mbcnt_hi_u32_b32 v9, -1, v4
	v_and_b32_e32 v10, 63, v9
	v_cmp_gt_u32_e64 s[0:1], 32, v10
	v_cndmask_b32_e64 v4, 0, 1, s[0:1]
	v_lshlrev_b32_e32 v4, 5, v4
	v_add_lshl_u32 v5, v4, v9, 2
	ds_bpermute_b32 v4, v5, v2
	ds_bpermute_b32 v5, v5, v3
	v_cmp_gt_u32_e64 s[0:1], 48, v10
	v_cndmask_b32_e64 v7, 0, 1, s[0:1]
	v_cmp_gt_u32_e64 s[0:1], 56, v10
	s_waitcnt lgkmcnt(0)
	v_add_f64 v[2:3], v[2:3], v[4:5]
	v_lshlrev_b32_e32 v4, 4, v7
	v_add_lshl_u32 v5, v4, v9, 2
	ds_bpermute_b32 v4, v5, v2
	ds_bpermute_b32 v5, v5, v3
	s_barrier
	s_waitcnt lgkmcnt(0)
	v_add_f64 v[2:3], v[2:3], v[4:5]
	v_cndmask_b32_e64 v4, 0, 1, s[0:1]
	v_lshlrev_b32_e32 v4, 3, v4
	v_add_lshl_u32 v5, v4, v9, 2
	ds_bpermute_b32 v4, v5, v2
	ds_bpermute_b32 v5, v5, v3
	v_cmp_gt_u32_e64 s[0:1], 60, v10
	s_waitcnt lgkmcnt(0)
	v_add_f64 v[2:3], v[2:3], v[4:5]
	v_cndmask_b32_e64 v4, 0, 1, s[0:1]
	v_lshlrev_b32_e32 v4, 2, v4
	v_add_lshl_u32 v7, v4, v9, 2
	ds_bpermute_b32 v4, v7, v2
	ds_bpermute_b32 v5, v7, v3
	v_cmp_gt_u32_e64 s[0:1], 62, v10
	s_waitcnt lgkmcnt(0)
	v_add_f64 v[2:3], v[2:3], v[4:5]
	v_cndmask_b32_e64 v4, 0, 1, s[0:1]
	v_lshlrev_b32_e32 v4, 1, v4
	v_add_lshl_u32 v8, v4, v9, 2
	ds_bpermute_b32 v4, v8, v2
	ds_bpermute_b32 v5, v8, v3
	v_cmp_ne_u32_e64 s[0:1], 63, v10
	s_waitcnt lgkmcnt(0)
	v_add_f64 v[2:3], v[2:3], v[4:5]
	v_addc_co_u32_e64 v4, s[0:1], 0, v9, s[0:1]
	v_lshlrev_b32_e32 v9, 2, v4
	ds_bpermute_b32 v4, v9, v2
	ds_bpermute_b32 v5, v9, v3
	v_cmp_eq_u32_e64 s[0:1], 0, v6
	s_and_saveexec_b64 s[2:3], s[0:1]
	s_cbranch_execz .LBB455_8
; %bb.7:
	s_waitcnt lgkmcnt(0)
	v_add_f64 v[2:3], v[2:3], v[4:5]
	v_lshrrev_b32_e32 v4, 3, v0
	v_and_b32_e32 v4, 56, v4
	ds_write_b64 v4, v[2:3]
.LBB455_8:
	s_or_b64 exec, exec, s[2:3]
	v_cmp_gt_u32_e64 s[0:1], 8, v0
	v_pk_mov_b32 v[2:3], 0, 0
	s_waitcnt lgkmcnt(0)
	s_barrier
	s_and_saveexec_b64 s[2:3], s[0:1]
	s_cbranch_execnz .LBB455_12
; %bb.9:
	s_or_b64 exec, exec, s[2:3]
	s_and_saveexec_b64 s[0:1], vcc
	s_cbranch_execnz .LBB455_13
.LBB455_10:
	s_or_b64 exec, exec, s[0:1]
	v_cmp_eq_u32_e32 vcc, 0, v0
	s_and_saveexec_b64 s[0:1], vcc
	s_cbranch_execnz .LBB455_14
.LBB455_11:
	s_endpgm
.LBB455_12:
	ds_read_b64 v[2:3], v1
	s_or_b64 exec, exec, s[2:3]
	s_and_saveexec_b64 s[0:1], vcc
	s_cbranch_execz .LBB455_10
.LBB455_13:
	s_waitcnt lgkmcnt(0)
	ds_bpermute_b32 v4, v7, v2
	ds_bpermute_b32 v5, v7, v3
	s_waitcnt lgkmcnt(0)
	v_add_f64 v[2:3], v[2:3], v[4:5]
	ds_bpermute_b32 v4, v8, v2
	ds_bpermute_b32 v5, v8, v3
	s_waitcnt lgkmcnt(0)
	v_add_f64 v[2:3], v[2:3], v[4:5]
	;; [unrolled: 4-line block ×3, first 2 shown]
	s_or_b64 exec, exec, s[0:1]
	v_cmp_eq_u32_e32 vcc, 0, v0
	s_and_saveexec_b64 s[0:1], vcc
	s_cbranch_execz .LBB455_11
.LBB455_14:
	s_cmp_lg_u32 s12, 1
	s_cbranch_scc0 .LBB455_16
; %bb.15:
	s_load_dwordx2 s[0:1], s[4:5], 0x30
	s_mul_hi_u32 s3, s12, s8
	s_mul_i32 s2, s12, s8
	s_lshl_b64 s[2:3], s[2:3], 3
	s_mov_b32 s7, 0
	s_waitcnt lgkmcnt(0)
	s_add_u32 s2, s0, s2
	s_addc_u32 s3, s1, s3
	s_lshl_b64 s[0:1], s[6:7], 3
	s_add_u32 s0, s2, s0
	s_addc_u32 s1, s3, s1
	s_cbranch_execz .LBB455_17
	s_branch .LBB455_18
.LBB455_16:
                                        ; implicit-def: $sgpr0_sgpr1
.LBB455_17:
	s_load_dwordx2 s[0:1], s[4:5], 0x38
	s_lshl_b64 s[2:3], s[8:9], 3
	s_waitcnt lgkmcnt(0)
	s_add_u32 s0, s0, s2
	s_addc_u32 s1, s1, s3
.LBB455_18:
	v_mov_b32_e32 v0, 0
	s_waitcnt lgkmcnt(0)
	global_store_dwordx2 v0, v[2:3], s[0:1]
	s_endpgm
	.section	.rodata,"a",@progbits
	.p2align	6, 0x0
	.amdhsa_kernel _ZL24rocblas_dot_kernel_magsqIlLb0ELi512ELi2ELb0EdPKPKfdEviT5_lT_liPT6_PT4_
		.amdhsa_group_segment_fixed_size 512
		.amdhsa_private_segment_fixed_size 0
		.amdhsa_kernarg_size 320
		.amdhsa_user_sgpr_count 6
		.amdhsa_user_sgpr_private_segment_buffer 1
		.amdhsa_user_sgpr_dispatch_ptr 0
		.amdhsa_user_sgpr_queue_ptr 0
		.amdhsa_user_sgpr_kernarg_segment_ptr 1
		.amdhsa_user_sgpr_dispatch_id 0
		.amdhsa_user_sgpr_flat_scratch_init 0
		.amdhsa_user_sgpr_kernarg_preload_length 0
		.amdhsa_user_sgpr_kernarg_preload_offset 0
		.amdhsa_user_sgpr_private_segment_size 0
		.amdhsa_uses_dynamic_stack 0
		.amdhsa_system_sgpr_private_segment_wavefront_offset 0
		.amdhsa_system_sgpr_workgroup_id_x 1
		.amdhsa_system_sgpr_workgroup_id_y 0
		.amdhsa_system_sgpr_workgroup_id_z 1
		.amdhsa_system_sgpr_workgroup_info 0
		.amdhsa_system_vgpr_workitem_id 0
		.amdhsa_next_free_vgpr 11
		.amdhsa_next_free_sgpr 18
		.amdhsa_accum_offset 12
		.amdhsa_reserve_vcc 1
		.amdhsa_reserve_flat_scratch 0
		.amdhsa_float_round_mode_32 0
		.amdhsa_float_round_mode_16_64 0
		.amdhsa_float_denorm_mode_32 3
		.amdhsa_float_denorm_mode_16_64 3
		.amdhsa_dx10_clamp 1
		.amdhsa_ieee_mode 1
		.amdhsa_fp16_overflow 0
		.amdhsa_tg_split 0
		.amdhsa_exception_fp_ieee_invalid_op 0
		.amdhsa_exception_fp_denorm_src 0
		.amdhsa_exception_fp_ieee_div_zero 0
		.amdhsa_exception_fp_ieee_overflow 0
		.amdhsa_exception_fp_ieee_underflow 0
		.amdhsa_exception_fp_ieee_inexact 0
		.amdhsa_exception_int_div_zero 0
	.end_amdhsa_kernel
	.section	.text._ZL24rocblas_dot_kernel_magsqIlLb0ELi512ELi2ELb0EdPKPKfdEviT5_lT_liPT6_PT4_,"axG",@progbits,_ZL24rocblas_dot_kernel_magsqIlLb0ELi512ELi2ELb0EdPKPKfdEviT5_lT_liPT6_PT4_,comdat
.Lfunc_end455:
	.size	_ZL24rocblas_dot_kernel_magsqIlLb0ELi512ELi2ELb0EdPKPKfdEviT5_lT_liPT6_PT4_, .Lfunc_end455-_ZL24rocblas_dot_kernel_magsqIlLb0ELi512ELi2ELb0EdPKPKfdEviT5_lT_liPT6_PT4_
                                        ; -- End function
	.section	.AMDGPU.csdata,"",@progbits
; Kernel info:
; codeLenInByte = 1024
; NumSgprs: 22
; NumVgprs: 11
; NumAgprs: 0
; TotalNumVgprs: 11
; ScratchSize: 0
; MemoryBound: 0
; FloatMode: 240
; IeeeMode: 1
; LDSByteSize: 512 bytes/workgroup (compile time only)
; SGPRBlocks: 2
; VGPRBlocks: 1
; NumSGPRsForWavesPerEU: 22
; NumVGPRsForWavesPerEU: 11
; AccumOffset: 12
; Occupancy: 8
; WaveLimiterHint : 1
; COMPUTE_PGM_RSRC2:SCRATCH_EN: 0
; COMPUTE_PGM_RSRC2:USER_SGPR: 6
; COMPUTE_PGM_RSRC2:TRAP_HANDLER: 0
; COMPUTE_PGM_RSRC2:TGID_X_EN: 1
; COMPUTE_PGM_RSRC2:TGID_Y_EN: 0
; COMPUTE_PGM_RSRC2:TGID_Z_EN: 1
; COMPUTE_PGM_RSRC2:TIDIG_COMP_CNT: 0
; COMPUTE_PGM_RSRC3_GFX90A:ACCUM_OFFSET: 2
; COMPUTE_PGM_RSRC3_GFX90A:TG_SPLIT: 0
	.section	.text._ZL28rocblas_dot_batched_4_kernelIiLi32ELi4ELb1EfDF16_PKDF16_EviT5_lT_lS2_lS3_liPT4_,"axG",@progbits,_ZL28rocblas_dot_batched_4_kernelIiLi32ELi4ELb1EfDF16_PKDF16_EviT5_lT_lS2_lS3_liPT4_,comdat
	.globl	_ZL28rocblas_dot_batched_4_kernelIiLi32ELi4ELb1EfDF16_PKDF16_EviT5_lT_lS2_lS3_liPT4_ ; -- Begin function _ZL28rocblas_dot_batched_4_kernelIiLi32ELi4ELb1EfDF16_PKDF16_EviT5_lT_lS2_lS3_liPT4_
	.p2align	8
	.type	_ZL28rocblas_dot_batched_4_kernelIiLi32ELi4ELb1EfDF16_PKDF16_EviT5_lT_lS2_lS3_liPT4_,@function
_ZL28rocblas_dot_batched_4_kernelIiLi32ELi4ELb1EfDF16_PKDF16_EviT5_lT_lS2_lS3_liPT4_: ; @_ZL28rocblas_dot_batched_4_kernelIiLi32ELi4ELb1EfDF16_PKDF16_EviT5_lT_lS2_lS3_liPT4_
; %bb.0:
	s_load_dword s0, s[4:5], 0x48
	v_bfe_u32 v1, v0, 10, 10
	v_lshl_add_u32 v2, s6, 2, v1
	s_waitcnt lgkmcnt(0)
	v_cmp_gt_u32_e32 vcc, s0, v2
	s_and_saveexec_b64 s[0:1], vcc
	s_cbranch_execz .LBB456_7
; %bb.1:
	s_load_dword s10, s[4:5], 0x0
	s_load_dwordx2 s[0:1], s[4:5], 0x50
	v_mov_b32_e32 v3, 0
	v_and_b32_e32 v6, 0x3ff, v0
	v_mov_b32_e32 v7, v3
	s_waitcnt lgkmcnt(0)
	v_cmp_gt_i32_e32 vcc, s10, v6
	s_and_saveexec_b64 s[2:3], vcc
	s_cbranch_execz .LBB456_5
; %bb.2:
	s_load_dwordx4 s[12:15], s[4:5], 0x8
	s_load_dword s6, s[4:5], 0x18
	s_load_dword s8, s[4:5], 0x38
	s_load_dwordx4 s[16:19], s[4:5], 0x20
	s_load_dwordx2 s[20:21], s[4:5], 0x30
	s_load_dwordx2 s[22:23], s[4:5], 0x40
	s_waitcnt lgkmcnt(0)
	v_mad_i64_i32 v[0:1], s[4:5], s6, v6, 0
	v_mad_u64_u32 v[4:5], s[4:5], s16, v2, 0
	v_mov_b32_e32 v8, v5
	v_mad_u64_u32 v[8:9], s[4:5], s17, v2, v[8:9]
	v_mov_b32_e32 v5, v8
	s_ashr_i32 s7, s6, 31
	s_ashr_i32 s9, s8, 31
	v_lshlrev_b64 v[0:1], 1, v[0:1]
	v_lshlrev_b64 v[4:5], 1, v[4:5]
	s_lshl_b64 s[4:5], s[14:15], 1
	v_add_co_u32_e32 v0, vcc, v0, v4
	s_add_u32 s4, s12, s4
	v_addc_co_u32_e32 v1, vcc, v1, v5, vcc
	s_addc_u32 s5, s13, s5
	v_mov_b32_e32 v4, s5
	v_add_co_u32_e32 v0, vcc, s4, v0
	s_lshl_b64 s[4:5], s[6:7], 6
	v_mad_u64_u32 v[8:9], s[6:7], s22, v2, 0
	v_mov_b32_e32 v10, v9
	v_mad_u64_u32 v[10:11], s[6:7], s23, v2, v[10:11]
	v_addc_co_u32_e32 v1, vcc, v4, v1, vcc
	v_mad_i64_i32 v[4:5], s[6:7], s8, v6, 0
	v_mov_b32_e32 v9, v10
	v_lshlrev_b64 v[4:5], 1, v[4:5]
	v_lshlrev_b64 v[8:9], 1, v[8:9]
	s_lshl_b64 s[6:7], s[20:21], 1
	v_add_co_u32_e32 v4, vcc, v4, v8
	s_add_u32 s6, s18, s6
	v_addc_co_u32_e32 v5, vcc, v5, v9, vcc
	s_addc_u32 s7, s19, s7
	v_mov_b32_e32 v7, s7
	v_add_co_u32_e32 v4, vcc, s6, v4
	s_lshl_b64 s[8:9], s[8:9], 6
	v_addc_co_u32_e32 v5, vcc, v7, v5, vcc
	s_mov_b64 s[6:7], 0
	v_mov_b32_e32 v7, 0
	v_mov_b32_e32 v8, s5
	;; [unrolled: 1-line block ×4, first 2 shown]
.LBB456_3:                              ; =>This Inner Loop Header: Depth=1
	global_load_ushort v11, v[0:1], off
	global_load_ushort v12, v[4:5], off
	v_add_co_u32_e32 v0, vcc, s4, v0
	v_addc_co_u32_e32 v1, vcc, v1, v8, vcc
	v_add_co_u32_e32 v4, vcc, s8, v4
	v_add_u32_e32 v10, 32, v10
	v_addc_co_u32_e32 v5, vcc, v5, v9, vcc
	v_cmp_le_i32_e32 vcc, s10, v10
	s_or_b64 s[6:7], vcc, s[6:7]
	s_waitcnt vmcnt(0)
	v_fma_mix_f32 v7, v11, v12, v7 op_sel_hi:[1,1,0]
	s_andn2_b64 exec, exec, s[6:7]
	s_cbranch_execnz .LBB456_3
; %bb.4:
	s_or_b64 exec, exec, s[6:7]
.LBB456_5:
	s_or_b64 exec, exec, s[2:3]
	v_mbcnt_lo_u32_b32 v0, -1, 0
	v_mbcnt_hi_u32_b32 v0, -1, v0
	v_and_b32_e32 v1, 63, v0
	v_cmp_gt_u32_e32 vcc, 48, v1
	v_cndmask_b32_e64 v4, 0, 1, vcc
	v_lshlrev_b32_e32 v4, 4, v4
	v_add_lshl_u32 v4, v4, v0, 2
	ds_bpermute_b32 v4, v4, v7
	v_cmp_gt_u32_e32 vcc, 56, v1
	v_cndmask_b32_e64 v5, 0, 1, vcc
	v_lshlrev_b32_e32 v5, 3, v5
	v_add_lshl_u32 v5, v5, v0, 2
	s_waitcnt lgkmcnt(0)
	v_add_f32_e32 v4, v7, v4
	ds_bpermute_b32 v5, v5, v4
	v_cmp_gt_u32_e32 vcc, 60, v1
	v_cndmask_b32_e64 v7, 0, 1, vcc
	v_lshlrev_b32_e32 v7, 2, v7
	v_cmp_gt_u32_e32 vcc, 62, v1
	s_waitcnt lgkmcnt(0)
	v_add_f32_e32 v4, v4, v5
	v_add_lshl_u32 v5, v7, v0, 2
	ds_bpermute_b32 v5, v5, v4
	v_cndmask_b32_e64 v7, 0, 1, vcc
	v_lshlrev_b32_e32 v7, 1, v7
	v_cmp_ne_u32_e32 vcc, 63, v1
	v_addc_co_u32_e32 v1, vcc, 0, v0, vcc
	s_waitcnt lgkmcnt(0)
	v_add_f32_e32 v4, v4, v5
	v_add_lshl_u32 v5, v7, v0, 2
	ds_bpermute_b32 v5, v5, v4
	v_lshlrev_b32_e32 v1, 2, v1
	v_cmp_eq_u32_e32 vcc, 0, v6
	s_waitcnt lgkmcnt(0)
	s_barrier
	v_add_f32_e32 v0, v4, v5
	ds_bpermute_b32 v1, v1, v0
	s_waitcnt lgkmcnt(0)
	s_and_b64 exec, exec, vcc
	s_cbranch_execz .LBB456_7
; %bb.6:
	v_add_f32_e32 v0, v0, v1
	v_cvt_f16_f32_e32 v5, v0
	v_lshlrev_b64 v[2:3], 1, v[2:3]
	v_mov_b32_e32 v4, s1
	v_add_co_u32_e32 v0, vcc, s0, v2
	v_addc_co_u32_e32 v1, vcc, v4, v3, vcc
	global_store_short v[0:1], v5, off
.LBB456_7:
	s_endpgm
	.section	.rodata,"a",@progbits
	.p2align	6, 0x0
	.amdhsa_kernel _ZL28rocblas_dot_batched_4_kernelIiLi32ELi4ELb1EfDF16_PKDF16_EviT5_lT_lS2_lS3_liPT4_
		.amdhsa_group_segment_fixed_size 0
		.amdhsa_private_segment_fixed_size 0
		.amdhsa_kernarg_size 88
		.amdhsa_user_sgpr_count 6
		.amdhsa_user_sgpr_private_segment_buffer 1
		.amdhsa_user_sgpr_dispatch_ptr 0
		.amdhsa_user_sgpr_queue_ptr 0
		.amdhsa_user_sgpr_kernarg_segment_ptr 1
		.amdhsa_user_sgpr_dispatch_id 0
		.amdhsa_user_sgpr_flat_scratch_init 0
		.amdhsa_user_sgpr_kernarg_preload_length 0
		.amdhsa_user_sgpr_kernarg_preload_offset 0
		.amdhsa_user_sgpr_private_segment_size 0
		.amdhsa_uses_dynamic_stack 0
		.amdhsa_system_sgpr_private_segment_wavefront_offset 0
		.amdhsa_system_sgpr_workgroup_id_x 1
		.amdhsa_system_sgpr_workgroup_id_y 0
		.amdhsa_system_sgpr_workgroup_id_z 0
		.amdhsa_system_sgpr_workgroup_info 0
		.amdhsa_system_vgpr_workitem_id 1
		.amdhsa_next_free_vgpr 13
		.amdhsa_next_free_sgpr 24
		.amdhsa_accum_offset 16
		.amdhsa_reserve_vcc 1
		.amdhsa_reserve_flat_scratch 0
		.amdhsa_float_round_mode_32 0
		.amdhsa_float_round_mode_16_64 0
		.amdhsa_float_denorm_mode_32 3
		.amdhsa_float_denorm_mode_16_64 3
		.amdhsa_dx10_clamp 1
		.amdhsa_ieee_mode 1
		.amdhsa_fp16_overflow 0
		.amdhsa_tg_split 0
		.amdhsa_exception_fp_ieee_invalid_op 0
		.amdhsa_exception_fp_denorm_src 0
		.amdhsa_exception_fp_ieee_div_zero 0
		.amdhsa_exception_fp_ieee_overflow 0
		.amdhsa_exception_fp_ieee_underflow 0
		.amdhsa_exception_fp_ieee_inexact 0
		.amdhsa_exception_int_div_zero 0
	.end_amdhsa_kernel
	.section	.text._ZL28rocblas_dot_batched_4_kernelIiLi32ELi4ELb1EfDF16_PKDF16_EviT5_lT_lS2_lS3_liPT4_,"axG",@progbits,_ZL28rocblas_dot_batched_4_kernelIiLi32ELi4ELb1EfDF16_PKDF16_EviT5_lT_lS2_lS3_liPT4_,comdat
.Lfunc_end456:
	.size	_ZL28rocblas_dot_batched_4_kernelIiLi32ELi4ELb1EfDF16_PKDF16_EviT5_lT_lS2_lS3_liPT4_, .Lfunc_end456-_ZL28rocblas_dot_batched_4_kernelIiLi32ELi4ELb1EfDF16_PKDF16_EviT5_lT_lS2_lS3_liPT4_
                                        ; -- End function
	.section	.AMDGPU.csdata,"",@progbits
; Kernel info:
; codeLenInByte = 668
; NumSgprs: 28
; NumVgprs: 13
; NumAgprs: 0
; TotalNumVgprs: 13
; ScratchSize: 0
; MemoryBound: 0
; FloatMode: 240
; IeeeMode: 1
; LDSByteSize: 0 bytes/workgroup (compile time only)
; SGPRBlocks: 3
; VGPRBlocks: 1
; NumSGPRsForWavesPerEU: 28
; NumVGPRsForWavesPerEU: 13
; AccumOffset: 16
; Occupancy: 8
; WaveLimiterHint : 0
; COMPUTE_PGM_RSRC2:SCRATCH_EN: 0
; COMPUTE_PGM_RSRC2:USER_SGPR: 6
; COMPUTE_PGM_RSRC2:TRAP_HANDLER: 0
; COMPUTE_PGM_RSRC2:TGID_X_EN: 1
; COMPUTE_PGM_RSRC2:TGID_Y_EN: 0
; COMPUTE_PGM_RSRC2:TGID_Z_EN: 0
; COMPUTE_PGM_RSRC2:TIDIG_COMP_CNT: 1
; COMPUTE_PGM_RSRC3_GFX90A:ACCUM_OFFSET: 3
; COMPUTE_PGM_RSRC3_GFX90A:TG_SPLIT: 0
	.section	.text._ZL28rocblas_dot_batched_4_kernelIiLi64ELi4ELb1EfDF16_PKDF16_EviT5_lT_lS2_lS3_liPT4_,"axG",@progbits,_ZL28rocblas_dot_batched_4_kernelIiLi64ELi4ELb1EfDF16_PKDF16_EviT5_lT_lS2_lS3_liPT4_,comdat
	.globl	_ZL28rocblas_dot_batched_4_kernelIiLi64ELi4ELb1EfDF16_PKDF16_EviT5_lT_lS2_lS3_liPT4_ ; -- Begin function _ZL28rocblas_dot_batched_4_kernelIiLi64ELi4ELb1EfDF16_PKDF16_EviT5_lT_lS2_lS3_liPT4_
	.p2align	8
	.type	_ZL28rocblas_dot_batched_4_kernelIiLi64ELi4ELb1EfDF16_PKDF16_EviT5_lT_lS2_lS3_liPT4_,@function
_ZL28rocblas_dot_batched_4_kernelIiLi64ELi4ELb1EfDF16_PKDF16_EviT5_lT_lS2_lS3_liPT4_: ; @_ZL28rocblas_dot_batched_4_kernelIiLi64ELi4ELb1EfDF16_PKDF16_EviT5_lT_lS2_lS3_liPT4_
; %bb.0:
	s_load_dword s0, s[4:5], 0x48
	v_bfe_u32 v1, v0, 10, 10
	v_lshl_add_u32 v2, s6, 2, v1
	s_waitcnt lgkmcnt(0)
	v_cmp_gt_u32_e32 vcc, s0, v2
	s_and_saveexec_b64 s[0:1], vcc
	s_cbranch_execz .LBB457_7
; %bb.1:
	s_load_dword s10, s[4:5], 0x0
	s_load_dwordx2 s[0:1], s[4:5], 0x50
	v_mov_b32_e32 v3, 0
	v_and_b32_e32 v6, 0x3ff, v0
	v_mov_b32_e32 v7, v3
	s_waitcnt lgkmcnt(0)
	v_cmp_gt_i32_e32 vcc, s10, v6
	s_and_saveexec_b64 s[2:3], vcc
	s_cbranch_execz .LBB457_5
; %bb.2:
	s_load_dwordx4 s[12:15], s[4:5], 0x8
	s_load_dword s6, s[4:5], 0x18
	s_load_dword s8, s[4:5], 0x38
	s_load_dwordx4 s[16:19], s[4:5], 0x20
	s_load_dwordx2 s[20:21], s[4:5], 0x30
	s_load_dwordx2 s[22:23], s[4:5], 0x40
	s_waitcnt lgkmcnt(0)
	v_mad_i64_i32 v[0:1], s[4:5], s6, v6, 0
	v_mad_u64_u32 v[4:5], s[4:5], s16, v2, 0
	v_mov_b32_e32 v8, v5
	v_mad_u64_u32 v[8:9], s[4:5], s17, v2, v[8:9]
	v_mov_b32_e32 v5, v8
	s_ashr_i32 s7, s6, 31
	s_ashr_i32 s9, s8, 31
	v_lshlrev_b64 v[0:1], 1, v[0:1]
	v_lshlrev_b64 v[4:5], 1, v[4:5]
	s_lshl_b64 s[4:5], s[14:15], 1
	v_add_co_u32_e32 v0, vcc, v0, v4
	s_add_u32 s4, s12, s4
	v_addc_co_u32_e32 v1, vcc, v1, v5, vcc
	s_addc_u32 s5, s13, s5
	v_mov_b32_e32 v4, s5
	v_add_co_u32_e32 v0, vcc, s4, v0
	s_lshl_b64 s[4:5], s[6:7], 7
	v_mad_u64_u32 v[8:9], s[6:7], s22, v2, 0
	v_mov_b32_e32 v10, v9
	v_mad_u64_u32 v[10:11], s[6:7], s23, v2, v[10:11]
	v_addc_co_u32_e32 v1, vcc, v4, v1, vcc
	v_mad_i64_i32 v[4:5], s[6:7], s8, v6, 0
	v_mov_b32_e32 v9, v10
	v_lshlrev_b64 v[4:5], 1, v[4:5]
	v_lshlrev_b64 v[8:9], 1, v[8:9]
	s_lshl_b64 s[6:7], s[20:21], 1
	v_add_co_u32_e32 v4, vcc, v4, v8
	s_add_u32 s6, s18, s6
	v_addc_co_u32_e32 v5, vcc, v5, v9, vcc
	s_addc_u32 s7, s19, s7
	v_mov_b32_e32 v7, s7
	v_add_co_u32_e32 v4, vcc, s6, v4
	s_lshl_b64 s[8:9], s[8:9], 7
	v_addc_co_u32_e32 v5, vcc, v7, v5, vcc
	s_mov_b64 s[6:7], 0
	v_mov_b32_e32 v7, 0
	v_mov_b32_e32 v8, s5
	;; [unrolled: 1-line block ×4, first 2 shown]
.LBB457_3:                              ; =>This Inner Loop Header: Depth=1
	global_load_ushort v11, v[0:1], off
	global_load_ushort v12, v[4:5], off
	v_add_co_u32_e32 v0, vcc, s4, v0
	v_addc_co_u32_e32 v1, vcc, v1, v8, vcc
	v_add_co_u32_e32 v4, vcc, s8, v4
	v_add_u32_e32 v10, 64, v10
	v_addc_co_u32_e32 v5, vcc, v5, v9, vcc
	v_cmp_le_i32_e32 vcc, s10, v10
	s_or_b64 s[6:7], vcc, s[6:7]
	s_waitcnt vmcnt(0)
	v_fma_mix_f32 v7, v11, v12, v7 op_sel_hi:[1,1,0]
	s_andn2_b64 exec, exec, s[6:7]
	s_cbranch_execnz .LBB457_3
; %bb.4:
	s_or_b64 exec, exec, s[6:7]
.LBB457_5:
	s_or_b64 exec, exec, s[2:3]
	v_mbcnt_lo_u32_b32 v0, -1, 0
	v_mbcnt_hi_u32_b32 v0, -1, v0
	v_and_b32_e32 v1, 63, v0
	v_cmp_gt_u32_e32 vcc, 32, v1
	v_cndmask_b32_e64 v4, 0, 1, vcc
	v_lshlrev_b32_e32 v4, 5, v4
	v_add_lshl_u32 v4, v4, v0, 2
	ds_bpermute_b32 v4, v4, v7
	v_cmp_gt_u32_e32 vcc, 48, v1
	v_cndmask_b32_e64 v5, 0, 1, vcc
	v_lshlrev_b32_e32 v5, 4, v5
	v_add_lshl_u32 v5, v5, v0, 2
	s_waitcnt lgkmcnt(0)
	v_add_f32_e32 v4, v7, v4
	ds_bpermute_b32 v5, v5, v4
	v_cmp_gt_u32_e32 vcc, 56, v1
	v_cndmask_b32_e64 v7, 0, 1, vcc
	v_lshlrev_b32_e32 v7, 3, v7
	v_cmp_gt_u32_e32 vcc, 60, v1
	s_waitcnt lgkmcnt(0)
	v_add_f32_e32 v4, v4, v5
	v_add_lshl_u32 v5, v7, v0, 2
	ds_bpermute_b32 v5, v5, v4
	v_cndmask_b32_e64 v7, 0, 1, vcc
	v_lshlrev_b32_e32 v7, 2, v7
	v_cmp_gt_u32_e32 vcc, 62, v1
	s_waitcnt lgkmcnt(0)
	v_add_f32_e32 v4, v4, v5
	v_add_lshl_u32 v5, v7, v0, 2
	ds_bpermute_b32 v5, v5, v4
	v_cndmask_b32_e64 v7, 0, 1, vcc
	v_lshlrev_b32_e32 v7, 1, v7
	v_cmp_ne_u32_e32 vcc, 63, v1
	v_addc_co_u32_e32 v1, vcc, 0, v0, vcc
	s_waitcnt lgkmcnt(0)
	v_add_f32_e32 v4, v4, v5
	v_add_lshl_u32 v5, v7, v0, 2
	ds_bpermute_b32 v5, v5, v4
	v_lshlrev_b32_e32 v1, 2, v1
	v_cmp_eq_u32_e32 vcc, 0, v6
	s_barrier
	s_waitcnt lgkmcnt(0)
	v_add_f32_e32 v0, v4, v5
	ds_bpermute_b32 v1, v1, v0
	s_and_b64 exec, exec, vcc
	s_cbranch_execz .LBB457_7
; %bb.6:
	s_waitcnt lgkmcnt(0)
	v_add_f32_e32 v0, v0, v1
	v_cvt_f16_f32_e32 v5, v0
	v_lshlrev_b64 v[2:3], 1, v[2:3]
	v_mov_b32_e32 v4, s1
	v_add_co_u32_e32 v0, vcc, s0, v2
	v_addc_co_u32_e32 v1, vcc, v4, v3, vcc
	global_store_short v[0:1], v5, off
.LBB457_7:
	s_endpgm
	.section	.rodata,"a",@progbits
	.p2align	6, 0x0
	.amdhsa_kernel _ZL28rocblas_dot_batched_4_kernelIiLi64ELi4ELb1EfDF16_PKDF16_EviT5_lT_lS2_lS3_liPT4_
		.amdhsa_group_segment_fixed_size 0
		.amdhsa_private_segment_fixed_size 0
		.amdhsa_kernarg_size 88
		.amdhsa_user_sgpr_count 6
		.amdhsa_user_sgpr_private_segment_buffer 1
		.amdhsa_user_sgpr_dispatch_ptr 0
		.amdhsa_user_sgpr_queue_ptr 0
		.amdhsa_user_sgpr_kernarg_segment_ptr 1
		.amdhsa_user_sgpr_dispatch_id 0
		.amdhsa_user_sgpr_flat_scratch_init 0
		.amdhsa_user_sgpr_kernarg_preload_length 0
		.amdhsa_user_sgpr_kernarg_preload_offset 0
		.amdhsa_user_sgpr_private_segment_size 0
		.amdhsa_uses_dynamic_stack 0
		.amdhsa_system_sgpr_private_segment_wavefront_offset 0
		.amdhsa_system_sgpr_workgroup_id_x 1
		.amdhsa_system_sgpr_workgroup_id_y 0
		.amdhsa_system_sgpr_workgroup_id_z 0
		.amdhsa_system_sgpr_workgroup_info 0
		.amdhsa_system_vgpr_workitem_id 1
		.amdhsa_next_free_vgpr 13
		.amdhsa_next_free_sgpr 24
		.amdhsa_accum_offset 16
		.amdhsa_reserve_vcc 1
		.amdhsa_reserve_flat_scratch 0
		.amdhsa_float_round_mode_32 0
		.amdhsa_float_round_mode_16_64 0
		.amdhsa_float_denorm_mode_32 3
		.amdhsa_float_denorm_mode_16_64 3
		.amdhsa_dx10_clamp 1
		.amdhsa_ieee_mode 1
		.amdhsa_fp16_overflow 0
		.amdhsa_tg_split 0
		.amdhsa_exception_fp_ieee_invalid_op 0
		.amdhsa_exception_fp_denorm_src 0
		.amdhsa_exception_fp_ieee_div_zero 0
		.amdhsa_exception_fp_ieee_overflow 0
		.amdhsa_exception_fp_ieee_underflow 0
		.amdhsa_exception_fp_ieee_inexact 0
		.amdhsa_exception_int_div_zero 0
	.end_amdhsa_kernel
	.section	.text._ZL28rocblas_dot_batched_4_kernelIiLi64ELi4ELb1EfDF16_PKDF16_EviT5_lT_lS2_lS3_liPT4_,"axG",@progbits,_ZL28rocblas_dot_batched_4_kernelIiLi64ELi4ELb1EfDF16_PKDF16_EviT5_lT_lS2_lS3_liPT4_,comdat
.Lfunc_end457:
	.size	_ZL28rocblas_dot_batched_4_kernelIiLi64ELi4ELb1EfDF16_PKDF16_EviT5_lT_lS2_lS3_liPT4_, .Lfunc_end457-_ZL28rocblas_dot_batched_4_kernelIiLi64ELi4ELb1EfDF16_PKDF16_EviT5_lT_lS2_lS3_liPT4_
                                        ; -- End function
	.section	.AMDGPU.csdata,"",@progbits
; Kernel info:
; codeLenInByte = 708
; NumSgprs: 28
; NumVgprs: 13
; NumAgprs: 0
; TotalNumVgprs: 13
; ScratchSize: 0
; MemoryBound: 0
; FloatMode: 240
; IeeeMode: 1
; LDSByteSize: 0 bytes/workgroup (compile time only)
; SGPRBlocks: 3
; VGPRBlocks: 1
; NumSGPRsForWavesPerEU: 28
; NumVGPRsForWavesPerEU: 13
; AccumOffset: 16
; Occupancy: 8
; WaveLimiterHint : 0
; COMPUTE_PGM_RSRC2:SCRATCH_EN: 0
; COMPUTE_PGM_RSRC2:USER_SGPR: 6
; COMPUTE_PGM_RSRC2:TRAP_HANDLER: 0
; COMPUTE_PGM_RSRC2:TGID_X_EN: 1
; COMPUTE_PGM_RSRC2:TGID_Y_EN: 0
; COMPUTE_PGM_RSRC2:TGID_Z_EN: 0
; COMPUTE_PGM_RSRC2:TIDIG_COMP_CNT: 1
; COMPUTE_PGM_RSRC3_GFX90A:ACCUM_OFFSET: 3
; COMPUTE_PGM_RSRC3_GFX90A:TG_SPLIT: 0
	.section	.text._ZL26rocblas_dot_kernel_inc1by2ILb1ELi1024ELi32ELb1EDF16_PKDF16_fEviT4_llS2_lliPT5_PT3_,"axG",@progbits,_ZL26rocblas_dot_kernel_inc1by2ILb1ELi1024ELi32ELb1EDF16_PKDF16_fEviT4_llS2_lliPT5_PT3_,comdat
	.globl	_ZL26rocblas_dot_kernel_inc1by2ILb1ELi1024ELi32ELb1EDF16_PKDF16_fEviT4_llS2_lliPT5_PT3_ ; -- Begin function _ZL26rocblas_dot_kernel_inc1by2ILb1ELi1024ELi32ELb1EDF16_PKDF16_fEviT4_llS2_lliPT5_PT3_
	.p2align	8
	.type	_ZL26rocblas_dot_kernel_inc1by2ILb1ELi1024ELi32ELb1EDF16_PKDF16_fEviT4_llS2_lliPT5_PT3_,@function
_ZL26rocblas_dot_kernel_inc1by2ILb1ELi1024ELi32ELb1EDF16_PKDF16_fEviT4_llS2_lliPT5_PT3_: ; @_ZL26rocblas_dot_kernel_inc1by2ILb1ELi1024ELi32ELb1EDF16_PKDF16_fEviT4_llS2_lliPT5_PT3_
; %bb.0:
	s_mov_b32 s2, s7
	s_load_dword s24, s[4:5], 0x0
	s_load_dwordx2 s[18:19], s[4:5], 0x8
	s_load_dwordx4 s[12:15], s[4:5], 0x10
	s_load_dwordx2 s[16:17], s[4:5], 0x20
	s_load_dwordx2 s[6:7], s[4:5], 0x48
	s_load_dwordx4 s[8:11], s[4:5], 0x28
	v_lshlrev_b32_e32 v6, 1, v0
	s_waitcnt lgkmcnt(0)
	s_mul_i32 s0, s2, s15
	s_mul_hi_u32 s1, s2, s14
	s_add_i32 s15, s1, s0
	s_mul_i32 s0, s2, s11
	s_mul_hi_u32 s1, s2, s10
	s_add_i32 s4, s24, -1
	s_mov_b32 s3, 0
	s_mul_i32 s14, s2, s14
	s_add_i32 s11, s1, s0
	s_mul_i32 s10, s2, s10
	v_cmp_gt_i32_e32 vcc, s4, v6
	v_mov_b32_e32 v1, 0
	s_and_saveexec_b64 s[20:21], vcc
	s_cbranch_execz .LBB458_4
; %bb.1:
	s_lshl_b64 s[0:1], s[10:11], 1
	s_lshl_b64 s[22:23], s[8:9], 1
	s_add_u32 s5, s16, s22
	s_addc_u32 s22, s17, s23
	s_add_u32 s0, s5, s0
	v_lshlrev_b32_e32 v4, 2, v0
	s_addc_u32 s1, s22, s1
	v_mov_b32_e32 v3, s1
	v_add_co_u32_e32 v2, vcc, s0, v4
	s_lshl_b64 s[0:1], s[14:15], 1
	s_lshl_b64 s[22:23], s[12:13], 1
	s_add_u32 s5, s18, s22
	s_addc_u32 s22, s19, s23
	s_add_u32 s0, s5, s0
	v_addc_co_u32_e32 v3, vcc, 0, v3, vcc
	s_addc_u32 s1, s22, s1
	v_mov_b32_e32 v5, s1
	v_add_co_u32_e32 v4, vcc, s0, v4
	v_mov_b32_e32 v1, 0
	v_addc_co_u32_e32 v5, vcc, 0, v5, vcc
	s_mov_b64 s[22:23], 0
	s_mov_b32 s5, s3
.LBB458_2:                              ; =>This Inner Loop Header: Depth=1
	global_load_dword v7, v[2:3], off
	global_load_dword v10, v[4:5], off
	s_add_i32 s25, s5, 1
	v_add_u32_e32 v6, 0x800, v6
	s_cmp_gt_u32 s5, 30
	v_add_co_u32_e32 v2, vcc, 0x1000, v2
	v_cmp_le_i32_e64 s[0:1], s4, v6
	s_cselect_b64 s[26:27], -1, 0
	v_addc_co_u32_e32 v3, vcc, 0, v3, vcc
	s_or_b64 s[0:1], s[26:27], s[0:1]
	v_add_co_u32_e32 v4, vcc, 0x1000, v4
	s_and_b64 s[0:1], exec, s[0:1]
	s_mov_b32 s5, s25
	v_addc_co_u32_e32 v5, vcc, 0, v5, vcc
	s_or_b64 s[22:23], s[0:1], s[22:23]
	s_waitcnt vmcnt(1)
	v_cvt_f32_f16_sdwa v9, v7 dst_sel:DWORD dst_unused:UNUSED_PAD src0_sel:WORD_1
	v_cvt_f32_f16_e32 v8, v7
	s_waitcnt vmcnt(0)
	v_cvt_f32_f16_sdwa v11, v10 dst_sel:DWORD dst_unused:UNUSED_PAD src0_sel:WORD_1
	v_cvt_f32_f16_e32 v10, v10
	v_pk_mul_f32 v[8:9], v[8:9], v[10:11]
	v_add_f32_e32 v1, v1, v8
	v_add_f32_e32 v1, v1, v9
	s_andn2_b64 exec, exec, s[22:23]
	s_cbranch_execnz .LBB458_2
; %bb.3:
	s_or_b64 exec, exec, s[22:23]
.LBB458_4:
	s_or_b64 exec, exec, s[20:21]
	s_bitcmp1_b32 s24, 0
	s_cselect_b64 s[0:1], -1, 0
	v_cmp_eq_u32_e32 vcc, s4, v6
	s_and_b64 s[20:21], s[0:1], vcc
	s_and_saveexec_b64 s[0:1], s[20:21]
	s_cbranch_execz .LBB458_6
; %bb.5:
	s_lshl_b64 s[14:15], s[14:15], 1
	s_add_u32 s5, s18, s14
	s_addc_u32 s14, s19, s15
	s_lshl_b64 s[12:13], s[12:13], 1
	s_add_u32 s12, s5, s12
	s_addc_u32 s13, s14, s13
	;; [unrolled: 3-line block ×3, first 2 shown]
	s_lshl_b64 s[8:9], s[8:9], 1
	s_add_u32 s8, s5, s8
	s_mov_b32 s5, 0
	s_addc_u32 s9, s10, s9
	s_lshl_b64 s[4:5], s[4:5], 1
	s_add_u32 s8, s8, s4
	s_addc_u32 s9, s9, s5
	v_mov_b32_e32 v2, 0
	s_add_u32 s4, s12, s4
	s_addc_u32 s5, s13, s5
	global_load_ushort v3, v2, s[8:9]
	global_load_ushort v4, v2, s[4:5]
	s_waitcnt vmcnt(0)
	v_fma_mix_f32 v1, v3, v4, v1 op_sel_hi:[1,1,0]
.LBB458_6:
	s_or_b64 exec, exec, s[0:1]
	v_and_b32_e32 v3, 63, v0
	v_cmp_gt_u32_e32 vcc, 64, v0
	v_lshlrev_b32_e32 v2, 2, v3
	s_and_saveexec_b64 s[0:1], vcc
	s_cbranch_execz .LBB458_8
; %bb.7:
	v_mov_b32_e32 v4, 0
	ds_write_b32 v2, v4
.LBB458_8:
	s_or_b64 exec, exec, s[0:1]
	v_mbcnt_lo_u32_b32 v4, -1, 0
	v_mbcnt_hi_u32_b32 v6, -1, v4
	v_and_b32_e32 v7, 63, v6
	v_cmp_gt_u32_e64 s[0:1], 32, v7
	v_cndmask_b32_e64 v4, 0, 1, s[0:1]
	v_lshlrev_b32_e32 v4, 5, v4
	v_add_lshl_u32 v4, v4, v6, 2
	ds_bpermute_b32 v4, v4, v1
	v_cmp_gt_u32_e64 s[0:1], 48, v7
	v_cndmask_b32_e64 v5, 0, 1, s[0:1]
	v_lshlrev_b32_e32 v5, 4, v5
	v_cmp_gt_u32_e64 s[0:1], 56, v7
	s_waitcnt lgkmcnt(0)
	v_add_f32_e32 v1, v1, v4
	v_add_lshl_u32 v4, v5, v6, 2
	ds_bpermute_b32 v4, v4, v1
	v_cndmask_b32_e64 v5, 0, 1, s[0:1]
	v_lshlrev_b32_e32 v5, 3, v5
	v_cmp_gt_u32_e64 s[0:1], 60, v7
	v_cndmask_b32_e64 v8, 0, 1, s[0:1]
	s_waitcnt lgkmcnt(0)
	v_add_f32_e32 v4, v1, v4
	v_add_lshl_u32 v1, v5, v6, 2
	ds_bpermute_b32 v5, v1, v4
	v_lshlrev_b32_e32 v8, 2, v8
	v_cmp_gt_u32_e64 s[0:1], 62, v7
	v_cndmask_b32_e64 v9, 0, 1, s[0:1]
	v_lshlrev_b32_e32 v9, 1, v9
	s_waitcnt lgkmcnt(0)
	v_add_f32_e32 v5, v4, v5
	v_add_lshl_u32 v4, v8, v6, 2
	ds_bpermute_b32 v8, v4, v5
	v_cmp_ne_u32_e64 s[0:1], 63, v7
	s_waitcnt lgkmcnt(0)
	s_barrier
	v_add_f32_e32 v8, v5, v8
	v_add_lshl_u32 v5, v9, v6, 2
	ds_bpermute_b32 v9, v5, v8
	v_addc_co_u32_e64 v6, s[0:1], 0, v6, s[0:1]
	v_lshlrev_b32_e32 v6, 2, v6
	v_cmp_eq_u32_e64 s[0:1], 0, v3
	s_waitcnt lgkmcnt(0)
	v_add_f32_e32 v7, v8, v9
	ds_bpermute_b32 v8, v6, v7
	s_and_saveexec_b64 s[4:5], s[0:1]
	s_cbranch_execz .LBB458_10
; %bb.9:
	s_waitcnt lgkmcnt(0)
	v_add_f32_e32 v3, v7, v8
	v_lshrrev_b32_e32 v7, 4, v0
	v_and_b32_e32 v7, 60, v7
	ds_write_b32 v7, v3
.LBB458_10:
	s_or_b64 exec, exec, s[4:5]
	v_cmp_gt_u32_e64 s[0:1], 16, v0
	v_mov_b32_e32 v3, 0
	s_waitcnt lgkmcnt(0)
	s_barrier
	s_and_saveexec_b64 s[4:5], s[0:1]
	s_cbranch_execnz .LBB458_14
; %bb.11:
	s_or_b64 exec, exec, s[4:5]
	s_and_saveexec_b64 s[0:1], vcc
	s_cbranch_execnz .LBB458_15
.LBB458_12:
	s_or_b64 exec, exec, s[0:1]
	v_cmp_eq_u32_e32 vcc, 0, v0
	s_and_saveexec_b64 s[0:1], vcc
	s_cbranch_execnz .LBB458_16
.LBB458_13:
	s_endpgm
.LBB458_14:
	ds_read_b32 v3, v2
	s_or_b64 exec, exec, s[4:5]
	s_and_saveexec_b64 s[0:1], vcc
	s_cbranch_execz .LBB458_12
.LBB458_15:
	s_waitcnt lgkmcnt(0)
	ds_bpermute_b32 v1, v1, v3
	s_waitcnt lgkmcnt(0)
	v_add_f32_e32 v1, v3, v1
	ds_bpermute_b32 v2, v4, v1
	s_waitcnt lgkmcnt(0)
	v_add_f32_e32 v1, v1, v2
	ds_bpermute_b32 v2, v5, v1
	s_waitcnt lgkmcnt(0)
	v_add_f32_e32 v1, v1, v2
	ds_bpermute_b32 v2, v6, v1
	s_waitcnt lgkmcnt(0)
	v_add_f32_e32 v3, v1, v2
	s_or_b64 exec, exec, s[0:1]
	v_cmp_eq_u32_e32 vcc, 0, v0
	s_and_saveexec_b64 s[0:1], vcc
	s_cbranch_execz .LBB458_13
.LBB458_16:
	s_waitcnt lgkmcnt(0)
	v_cvt_f16_f32_e32 v0, v3
	s_lshl_b64 s[0:1], s[2:3], 1
	s_add_u32 s0, s6, s0
	s_addc_u32 s1, s7, s1
	v_mov_b32_e32 v1, 0
	global_store_short v1, v0, s[0:1]
	s_endpgm
	.section	.rodata,"a",@progbits
	.p2align	6, 0x0
	.amdhsa_kernel _ZL26rocblas_dot_kernel_inc1by2ILb1ELi1024ELi32ELb1EDF16_PKDF16_fEviT4_llS2_lliPT5_PT3_
		.amdhsa_group_segment_fixed_size 256
		.amdhsa_private_segment_fixed_size 0
		.amdhsa_kernarg_size 80
		.amdhsa_user_sgpr_count 6
		.amdhsa_user_sgpr_private_segment_buffer 1
		.amdhsa_user_sgpr_dispatch_ptr 0
		.amdhsa_user_sgpr_queue_ptr 0
		.amdhsa_user_sgpr_kernarg_segment_ptr 1
		.amdhsa_user_sgpr_dispatch_id 0
		.amdhsa_user_sgpr_flat_scratch_init 0
		.amdhsa_user_sgpr_kernarg_preload_length 0
		.amdhsa_user_sgpr_kernarg_preload_offset 0
		.amdhsa_user_sgpr_private_segment_size 0
		.amdhsa_uses_dynamic_stack 0
		.amdhsa_system_sgpr_private_segment_wavefront_offset 0
		.amdhsa_system_sgpr_workgroup_id_x 1
		.amdhsa_system_sgpr_workgroup_id_y 0
		.amdhsa_system_sgpr_workgroup_id_z 1
		.amdhsa_system_sgpr_workgroup_info 0
		.amdhsa_system_vgpr_workitem_id 0
		.amdhsa_next_free_vgpr 12
		.amdhsa_next_free_sgpr 28
		.amdhsa_accum_offset 12
		.amdhsa_reserve_vcc 1
		.amdhsa_reserve_flat_scratch 0
		.amdhsa_float_round_mode_32 0
		.amdhsa_float_round_mode_16_64 0
		.amdhsa_float_denorm_mode_32 3
		.amdhsa_float_denorm_mode_16_64 3
		.amdhsa_dx10_clamp 1
		.amdhsa_ieee_mode 1
		.amdhsa_fp16_overflow 0
		.amdhsa_tg_split 0
		.amdhsa_exception_fp_ieee_invalid_op 0
		.amdhsa_exception_fp_denorm_src 0
		.amdhsa_exception_fp_ieee_div_zero 0
		.amdhsa_exception_fp_ieee_overflow 0
		.amdhsa_exception_fp_ieee_underflow 0
		.amdhsa_exception_fp_ieee_inexact 0
		.amdhsa_exception_int_div_zero 0
	.end_amdhsa_kernel
	.section	.text._ZL26rocblas_dot_kernel_inc1by2ILb1ELi1024ELi32ELb1EDF16_PKDF16_fEviT4_llS2_lliPT5_PT3_,"axG",@progbits,_ZL26rocblas_dot_kernel_inc1by2ILb1ELi1024ELi32ELb1EDF16_PKDF16_fEviT4_llS2_lliPT5_PT3_,comdat
.Lfunc_end458:
	.size	_ZL26rocblas_dot_kernel_inc1by2ILb1ELi1024ELi32ELb1EDF16_PKDF16_fEviT4_llS2_lliPT5_PT3_, .Lfunc_end458-_ZL26rocblas_dot_kernel_inc1by2ILb1ELi1024ELi32ELb1EDF16_PKDF16_fEviT4_llS2_lliPT5_PT3_
                                        ; -- End function
	.section	.AMDGPU.csdata,"",@progbits
; Kernel info:
; codeLenInByte = 1036
; NumSgprs: 32
; NumVgprs: 12
; NumAgprs: 0
; TotalNumVgprs: 12
; ScratchSize: 0
; MemoryBound: 0
; FloatMode: 240
; IeeeMode: 1
; LDSByteSize: 256 bytes/workgroup (compile time only)
; SGPRBlocks: 3
; VGPRBlocks: 1
; NumSGPRsForWavesPerEU: 32
; NumVGPRsForWavesPerEU: 12
; AccumOffset: 12
; Occupancy: 8
; WaveLimiterHint : 0
; COMPUTE_PGM_RSRC2:SCRATCH_EN: 0
; COMPUTE_PGM_RSRC2:USER_SGPR: 6
; COMPUTE_PGM_RSRC2:TRAP_HANDLER: 0
; COMPUTE_PGM_RSRC2:TGID_X_EN: 1
; COMPUTE_PGM_RSRC2:TGID_Y_EN: 0
; COMPUTE_PGM_RSRC2:TGID_Z_EN: 1
; COMPUTE_PGM_RSRC2:TIDIG_COMP_CNT: 0
; COMPUTE_PGM_RSRC3_GFX90A:ACCUM_OFFSET: 2
; COMPUTE_PGM_RSRC3_GFX90A:TG_SPLIT: 0
	.section	.text._ZL18rocblas_dot_kernelIiLb1ELi1024ELi32ELb1EDF16_PKDF16_fEviT5_lT_lS2_lS3_liPT6_PT4_,"axG",@progbits,_ZL18rocblas_dot_kernelIiLb1ELi1024ELi32ELb1EDF16_PKDF16_fEviT5_lT_lS2_lS3_liPT6_PT4_,comdat
	.globl	_ZL18rocblas_dot_kernelIiLb1ELi1024ELi32ELb1EDF16_PKDF16_fEviT5_lT_lS2_lS3_liPT6_PT4_ ; -- Begin function _ZL18rocblas_dot_kernelIiLb1ELi1024ELi32ELb1EDF16_PKDF16_fEviT5_lT_lS2_lS3_liPT6_PT4_
	.p2align	8
	.type	_ZL18rocblas_dot_kernelIiLb1ELi1024ELi32ELb1EDF16_PKDF16_fEviT5_lT_lS2_lS3_liPT6_PT4_,@function
_ZL18rocblas_dot_kernelIiLb1ELi1024ELi32ELb1EDF16_PKDF16_fEviT5_lT_lS2_lS3_liPT6_PT4_: ; @_ZL18rocblas_dot_kernelIiLb1ELi1024ELi32ELb1EDF16_PKDF16_fEviT5_lT_lS2_lS3_liPT6_PT4_
; %bb.0:
	s_load_dword s14, s[4:5], 0x0
	s_load_dwordx2 s[8:9], s[4:5], 0x58
	s_mov_b32 s6, s7
	s_mov_b32 s7, 0
	v_mov_b32_e32 v6, 0
	s_waitcnt lgkmcnt(0)
	v_cmp_gt_i32_e32 vcc, s14, v0
	s_and_saveexec_b64 s[10:11], vcc
	s_cbranch_execz .LBB459_4
; %bb.1:
	s_load_dword s22, s[4:5], 0x38
	s_load_dwordx2 s[12:13], s[4:5], 0x40
	s_load_dword s15, s[4:5], 0x60
	s_load_dwordx4 s[0:3], s[4:5], 0x20
	s_load_dwordx4 s[16:19], s[4:5], 0x8
	s_load_dword s23, s[4:5], 0x18
	s_load_dwordx2 s[20:21], s[4:5], 0x30
	s_waitcnt lgkmcnt(0)
	s_lshl_b32 s15, s15, 10
	s_mul_i32 s1, s1, s6
	s_mul_hi_u32 s4, s0, s6
	s_add_i32 s1, s4, s1
	s_mul_i32 s0, s0, s6
	v_mad_i64_i32 v[2:3], s[4:5], s23, v0, 0
	s_lshl_b64 s[0:1], s[0:1], 1
	s_lshl_b64 s[4:5], s[18:19], 1
	s_add_u32 s4, s16, s4
	s_addc_u32 s5, s17, s5
	s_add_u32 s0, s4, s0
	v_lshlrev_b64 v[2:3], 1, v[2:3]
	s_addc_u32 s1, s5, s1
	v_mov_b32_e32 v4, s1
	v_add_co_u32_e32 v2, vcc, s0, v2
	s_mul_hi_i32 s1, s23, s15
	s_mul_i32 s0, s23, s15
	s_lshl_b64 s[4:5], s[0:1], 1
	s_mul_i32 s0, s13, s6
	s_mul_hi_u32 s1, s12, s6
	v_addc_co_u32_e32 v3, vcc, v4, v3, vcc
	s_add_i32 s1, s1, s0
	s_mul_i32 s0, s12, s6
	v_mad_i64_i32 v[4:5], s[12:13], s22, v0, 0
	s_lshl_b64 s[0:1], s[0:1], 1
	s_lshl_b64 s[12:13], s[20:21], 1
	s_add_u32 s2, s2, s12
	s_addc_u32 s3, s3, s13
	s_add_u32 s0, s2, s0
	v_lshlrev_b64 v[4:5], 1, v[4:5]
	s_addc_u32 s1, s3, s1
	v_mov_b32_e32 v6, s1
	v_add_co_u32_e32 v4, vcc, s0, v4
	s_mul_hi_i32 s1, s22, s15
	s_mul_i32 s0, s22, s15
	s_lshl_b64 s[12:13], s[0:1], 1
	v_or_b32_e32 v1, s15, v0
	v_addc_co_u32_e32 v5, vcc, v6, v5, vcc
	s_mov_b64 s[2:3], 0
	v_mov_b32_e32 v6, 0
	v_mov_b32_e32 v7, s5
	;; [unrolled: 1-line block ×3, first 2 shown]
	s_mov_b32 s5, s7
.LBB459_2:                              ; =>This Inner Loop Header: Depth=1
	global_load_ushort v9, v[4:5], off
	global_load_ushort v10, v[2:3], off
	v_add_co_u32_e64 v2, s[0:1], s4, v2
	v_addc_co_u32_e64 v3, s[0:1], v3, v7, s[0:1]
	s_add_i32 s13, s5, 1
	v_add_co_u32_e64 v4, s[0:1], s12, v4
	v_addc_co_u32_e64 v5, s[0:1], v5, v8, s[0:1]
	s_cmp_gt_u32 s5, 30
	v_cmp_le_i32_e32 vcc, s14, v1
	s_cselect_b64 s[0:1], -1, 0
	s_or_b64 s[0:1], s[0:1], vcc
	s_and_b64 s[0:1], exec, s[0:1]
	v_add_u32_e32 v1, s15, v1
	s_mov_b32 s5, s13
	s_or_b64 s[2:3], s[0:1], s[2:3]
	s_waitcnt vmcnt(0)
	v_fma_mix_f32 v6, v9, v10, v6 op_sel_hi:[1,1,0]
	s_andn2_b64 exec, exec, s[2:3]
	s_cbranch_execnz .LBB459_2
; %bb.3:
	s_or_b64 exec, exec, s[2:3]
.LBB459_4:
	s_or_b64 exec, exec, s[10:11]
	v_and_b32_e32 v2, 63, v0
	v_cmp_gt_u32_e32 vcc, 64, v0
	v_lshlrev_b32_e32 v1, 2, v2
	s_and_saveexec_b64 s[0:1], vcc
	s_cbranch_execz .LBB459_6
; %bb.5:
	v_mov_b32_e32 v3, 0
	ds_write_b32 v1, v3
.LBB459_6:
	s_or_b64 exec, exec, s[0:1]
	v_mbcnt_lo_u32_b32 v3, -1, 0
	v_mbcnt_hi_u32_b32 v7, -1, v3
	v_and_b32_e32 v8, 63, v7
	v_cmp_gt_u32_e64 s[0:1], 32, v8
	v_cndmask_b32_e64 v3, 0, 1, s[0:1]
	v_lshlrev_b32_e32 v3, 5, v3
	v_add_lshl_u32 v3, v3, v7, 2
	ds_bpermute_b32 v3, v3, v6
	v_cmp_gt_u32_e64 s[0:1], 48, v8
	v_cndmask_b32_e64 v4, 0, 1, s[0:1]
	v_lshlrev_b32_e32 v4, 4, v4
	v_add_lshl_u32 v4, v4, v7, 2
	s_waitcnt lgkmcnt(0)
	v_add_f32_e32 v3, v6, v3
	ds_bpermute_b32 v4, v4, v3
	v_cmp_gt_u32_e64 s[0:1], 56, v8
	v_cndmask_b32_e64 v5, 0, 1, s[0:1]
	v_lshlrev_b32_e32 v5, 3, v5
	v_cmp_gt_u32_e64 s[0:1], 60, v8
	s_waitcnt lgkmcnt(0)
	v_add_f32_e32 v4, v3, v4
	v_add_lshl_u32 v3, v5, v7, 2
	ds_bpermute_b32 v5, v3, v4
	v_cndmask_b32_e64 v6, 0, 1, s[0:1]
	v_lshlrev_b32_e32 v6, 2, v6
	v_cmp_gt_u32_e64 s[0:1], 62, v8
	v_cndmask_b32_e64 v9, 0, 1, s[0:1]
	s_waitcnt lgkmcnt(0)
	v_add_f32_e32 v5, v4, v5
	v_add_lshl_u32 v4, v6, v7, 2
	ds_bpermute_b32 v6, v4, v5
	v_lshlrev_b32_e32 v9, 1, v9
	v_cmp_ne_u32_e64 s[0:1], 63, v8
	v_addc_co_u32_e64 v8, s[0:1], 0, v7, s[0:1]
	s_waitcnt lgkmcnt(0)
	v_add_f32_e32 v6, v5, v6
	v_add_lshl_u32 v5, v9, v7, 2
	ds_bpermute_b32 v9, v5, v6
	v_cmp_eq_u32_e64 s[0:1], 0, v2
	s_waitcnt lgkmcnt(0)
	s_barrier
	v_add_f32_e32 v7, v6, v9
	v_lshlrev_b32_e32 v6, 2, v8
	ds_bpermute_b32 v8, v6, v7
	s_and_saveexec_b64 s[2:3], s[0:1]
	s_cbranch_execz .LBB459_8
; %bb.7:
	s_waitcnt lgkmcnt(0)
	v_add_f32_e32 v2, v7, v8
	v_lshrrev_b32_e32 v7, 4, v0
	v_and_b32_e32 v7, 60, v7
	ds_write_b32 v7, v2
.LBB459_8:
	s_or_b64 exec, exec, s[2:3]
	v_cmp_gt_u32_e64 s[0:1], 16, v0
	v_mov_b32_e32 v2, 0
	s_waitcnt lgkmcnt(0)
	s_barrier
	s_and_saveexec_b64 s[2:3], s[0:1]
	s_cbranch_execnz .LBB459_12
; %bb.9:
	s_or_b64 exec, exec, s[2:3]
	s_and_saveexec_b64 s[0:1], vcc
	s_cbranch_execnz .LBB459_13
.LBB459_10:
	s_or_b64 exec, exec, s[0:1]
	v_cmp_eq_u32_e32 vcc, 0, v0
	s_and_saveexec_b64 s[0:1], vcc
	s_cbranch_execnz .LBB459_14
.LBB459_11:
	s_endpgm
.LBB459_12:
	ds_read_b32 v2, v1
	s_or_b64 exec, exec, s[2:3]
	s_and_saveexec_b64 s[0:1], vcc
	s_cbranch_execz .LBB459_10
.LBB459_13:
	s_waitcnt lgkmcnt(0)
	ds_bpermute_b32 v1, v3, v2
	s_waitcnt lgkmcnt(0)
	v_add_f32_e32 v1, v2, v1
	ds_bpermute_b32 v2, v4, v1
	s_waitcnt lgkmcnt(0)
	v_add_f32_e32 v1, v1, v2
	;; [unrolled: 3-line block ×4, first 2 shown]
	s_or_b64 exec, exec, s[0:1]
	v_cmp_eq_u32_e32 vcc, 0, v0
	s_and_saveexec_b64 s[0:1], vcc
	s_cbranch_execz .LBB459_11
.LBB459_14:
	s_waitcnt lgkmcnt(0)
	v_cvt_f16_f32_e32 v0, v2
	s_lshl_b64 s[0:1], s[6:7], 1
	s_add_u32 s0, s8, s0
	s_addc_u32 s1, s9, s1
	v_mov_b32_e32 v1, 0
	global_store_short v1, v0, s[0:1]
	s_endpgm
	.section	.rodata,"a",@progbits
	.p2align	6, 0x0
	.amdhsa_kernel _ZL18rocblas_dot_kernelIiLb1ELi1024ELi32ELb1EDF16_PKDF16_fEviT5_lT_lS2_lS3_liPT6_PT4_
		.amdhsa_group_segment_fixed_size 256
		.amdhsa_private_segment_fixed_size 0
		.amdhsa_kernarg_size 352
		.amdhsa_user_sgpr_count 6
		.amdhsa_user_sgpr_private_segment_buffer 1
		.amdhsa_user_sgpr_dispatch_ptr 0
		.amdhsa_user_sgpr_queue_ptr 0
		.amdhsa_user_sgpr_kernarg_segment_ptr 1
		.amdhsa_user_sgpr_dispatch_id 0
		.amdhsa_user_sgpr_flat_scratch_init 0
		.amdhsa_user_sgpr_kernarg_preload_length 0
		.amdhsa_user_sgpr_kernarg_preload_offset 0
		.amdhsa_user_sgpr_private_segment_size 0
		.amdhsa_uses_dynamic_stack 0
		.amdhsa_system_sgpr_private_segment_wavefront_offset 0
		.amdhsa_system_sgpr_workgroup_id_x 1
		.amdhsa_system_sgpr_workgroup_id_y 0
		.amdhsa_system_sgpr_workgroup_id_z 1
		.amdhsa_system_sgpr_workgroup_info 0
		.amdhsa_system_vgpr_workitem_id 0
		.amdhsa_next_free_vgpr 11
		.amdhsa_next_free_sgpr 24
		.amdhsa_accum_offset 12
		.amdhsa_reserve_vcc 1
		.amdhsa_reserve_flat_scratch 0
		.amdhsa_float_round_mode_32 0
		.amdhsa_float_round_mode_16_64 0
		.amdhsa_float_denorm_mode_32 3
		.amdhsa_float_denorm_mode_16_64 3
		.amdhsa_dx10_clamp 1
		.amdhsa_ieee_mode 1
		.amdhsa_fp16_overflow 0
		.amdhsa_tg_split 0
		.amdhsa_exception_fp_ieee_invalid_op 0
		.amdhsa_exception_fp_denorm_src 0
		.amdhsa_exception_fp_ieee_div_zero 0
		.amdhsa_exception_fp_ieee_overflow 0
		.amdhsa_exception_fp_ieee_underflow 0
		.amdhsa_exception_fp_ieee_inexact 0
		.amdhsa_exception_int_div_zero 0
	.end_amdhsa_kernel
	.section	.text._ZL18rocblas_dot_kernelIiLb1ELi1024ELi32ELb1EDF16_PKDF16_fEviT5_lT_lS2_lS3_liPT6_PT4_,"axG",@progbits,_ZL18rocblas_dot_kernelIiLb1ELi1024ELi32ELb1EDF16_PKDF16_fEviT5_lT_lS2_lS3_liPT6_PT4_,comdat
.Lfunc_end459:
	.size	_ZL18rocblas_dot_kernelIiLb1ELi1024ELi32ELb1EDF16_PKDF16_fEviT5_lT_lS2_lS3_liPT6_PT4_, .Lfunc_end459-_ZL18rocblas_dot_kernelIiLb1ELi1024ELi32ELb1EDF16_PKDF16_fEviT5_lT_lS2_lS3_liPT6_PT4_
                                        ; -- End function
	.section	.AMDGPU.csdata,"",@progbits
; Kernel info:
; codeLenInByte = 956
; NumSgprs: 28
; NumVgprs: 11
; NumAgprs: 0
; TotalNumVgprs: 11
; ScratchSize: 0
; MemoryBound: 0
; FloatMode: 240
; IeeeMode: 1
; LDSByteSize: 256 bytes/workgroup (compile time only)
; SGPRBlocks: 3
; VGPRBlocks: 1
; NumSGPRsForWavesPerEU: 28
; NumVGPRsForWavesPerEU: 11
; AccumOffset: 12
; Occupancy: 8
; WaveLimiterHint : 0
; COMPUTE_PGM_RSRC2:SCRATCH_EN: 0
; COMPUTE_PGM_RSRC2:USER_SGPR: 6
; COMPUTE_PGM_RSRC2:TRAP_HANDLER: 0
; COMPUTE_PGM_RSRC2:TGID_X_EN: 1
; COMPUTE_PGM_RSRC2:TGID_Y_EN: 0
; COMPUTE_PGM_RSRC2:TGID_Z_EN: 1
; COMPUTE_PGM_RSRC2:TIDIG_COMP_CNT: 0
; COMPUTE_PGM_RSRC3_GFX90A:ACCUM_OFFSET: 2
; COMPUTE_PGM_RSRC3_GFX90A:TG_SPLIT: 0
	.section	.text._ZL24rocblas_dot_kernel_magsqIiLb1ELi1024ELi32ELb1EDF16_PKDF16_fEviT5_lT_liPT6_PT4_,"axG",@progbits,_ZL24rocblas_dot_kernel_magsqIiLb1ELi1024ELi32ELb1EDF16_PKDF16_fEviT5_lT_liPT6_PT4_,comdat
	.globl	_ZL24rocblas_dot_kernel_magsqIiLb1ELi1024ELi32ELb1EDF16_PKDF16_fEviT5_lT_liPT6_PT4_ ; -- Begin function _ZL24rocblas_dot_kernel_magsqIiLb1ELi1024ELi32ELb1EDF16_PKDF16_fEviT5_lT_liPT6_PT4_
	.p2align	8
	.type	_ZL24rocblas_dot_kernel_magsqIiLb1ELi1024ELi32ELb1EDF16_PKDF16_fEviT5_lT_liPT6_PT4_,@function
_ZL24rocblas_dot_kernel_magsqIiLb1ELi1024ELi32ELb1EDF16_PKDF16_fEviT5_lT_liPT6_PT4_: ; @_ZL24rocblas_dot_kernel_magsqIiLb1ELi1024ELi32ELb1EDF16_PKDF16_fEviT5_lT_liPT6_PT4_
; %bb.0:
	s_mov_b32 s2, s7
	s_load_dword s12, s[4:5], 0x0
	s_load_dwordx2 s[6:7], s[4:5], 0x38
	s_mov_b32 s3, 0
	v_mov_b32_e32 v1, 0
	s_waitcnt lgkmcnt(0)
	v_cmp_gt_i32_e32 vcc, s12, v0
	s_and_saveexec_b64 s[8:9], vcc
	s_cbranch_execz .LBB460_4
; %bb.1:
	s_load_dword s10, s[4:5], 0x40
	s_load_dwordx2 s[0:1], s[4:5], 0x20
	s_load_dwordx4 s[16:19], s[4:5], 0x8
	s_load_dword s11, s[4:5], 0x18
	s_waitcnt lgkmcnt(0)
	s_lshl_b32 s13, s10, 10
	s_mul_i32 s1, s1, s2
	s_mul_hi_u32 s4, s0, s2
	s_add_i32 s1, s4, s1
	s_mul_i32 s0, s0, s2
	v_mad_i64_i32 v[2:3], s[4:5], s11, v0, 0
	s_lshl_b64 s[0:1], s[0:1], 1
	s_lshl_b64 s[4:5], s[18:19], 1
	s_add_u32 s4, s16, s4
	s_addc_u32 s5, s17, s5
	s_add_u32 s0, s4, s0
	v_lshlrev_b64 v[2:3], 1, v[2:3]
	s_addc_u32 s1, s5, s1
	v_mov_b32_e32 v1, s1
	v_add_co_u32_e32 v2, vcc, s0, v2
	s_mul_hi_i32 s1, s11, s13
	s_mul_i32 s0, s11, s13
	s_lshl_b64 s[10:11], s[0:1], 1
	v_or_b32_e32 v4, s13, v0
	v_addc_co_u32_e32 v3, vcc, v1, v3, vcc
	s_mov_b64 s[4:5], 0
	v_mov_b32_e32 v1, 0
	v_mov_b32_e32 v5, s11
	s_mov_b32 s11, s3
.LBB460_2:                              ; =>This Inner Loop Header: Depth=1
	global_load_ushort v6, v[2:3], off
	s_add_i32 s14, s11, 1
	v_add_co_u32_e64 v2, s[0:1], s10, v2
	v_addc_co_u32_e64 v3, s[0:1], v3, v5, s[0:1]
	s_cmp_gt_u32 s11, 30
	v_cmp_le_i32_e32 vcc, s12, v4
	s_cselect_b64 s[0:1], -1, 0
	s_or_b64 s[0:1], s[0:1], vcc
	s_and_b64 s[0:1], exec, s[0:1]
	v_add_u32_e32 v4, s13, v4
	s_mov_b32 s11, s14
	s_or_b64 s[4:5], s[0:1], s[4:5]
	s_waitcnt vmcnt(0)
	v_fma_mix_f32 v1, v6, v6, v1 op_sel_hi:[1,1,0]
	s_andn2_b64 exec, exec, s[4:5]
	s_cbranch_execnz .LBB460_2
; %bb.3:
	s_or_b64 exec, exec, s[4:5]
.LBB460_4:
	s_or_b64 exec, exec, s[8:9]
	v_and_b32_e32 v3, 63, v0
	v_cmp_gt_u32_e32 vcc, 64, v0
	v_lshlrev_b32_e32 v2, 2, v3
	s_and_saveexec_b64 s[0:1], vcc
	s_cbranch_execz .LBB460_6
; %bb.5:
	v_mov_b32_e32 v4, 0
	ds_write_b32 v2, v4
.LBB460_6:
	s_or_b64 exec, exec, s[0:1]
	v_mbcnt_lo_u32_b32 v4, -1, 0
	v_mbcnt_hi_u32_b32 v6, -1, v4
	v_and_b32_e32 v7, 63, v6
	v_cmp_gt_u32_e64 s[0:1], 32, v7
	v_cndmask_b32_e64 v4, 0, 1, s[0:1]
	v_lshlrev_b32_e32 v4, 5, v4
	v_add_lshl_u32 v4, v4, v6, 2
	ds_bpermute_b32 v4, v4, v1
	v_cmp_gt_u32_e64 s[0:1], 48, v7
	v_cndmask_b32_e64 v5, 0, 1, s[0:1]
	v_lshlrev_b32_e32 v5, 4, v5
	v_cmp_gt_u32_e64 s[0:1], 56, v7
	s_waitcnt lgkmcnt(0)
	v_add_f32_e32 v1, v1, v4
	v_add_lshl_u32 v4, v5, v6, 2
	ds_bpermute_b32 v4, v4, v1
	v_cndmask_b32_e64 v5, 0, 1, s[0:1]
	v_lshlrev_b32_e32 v5, 3, v5
	v_cmp_gt_u32_e64 s[0:1], 60, v7
	v_cndmask_b32_e64 v8, 0, 1, s[0:1]
	s_waitcnt lgkmcnt(0)
	v_add_f32_e32 v4, v1, v4
	v_add_lshl_u32 v1, v5, v6, 2
	ds_bpermute_b32 v5, v1, v4
	v_lshlrev_b32_e32 v8, 2, v8
	v_cmp_gt_u32_e64 s[0:1], 62, v7
	v_cndmask_b32_e64 v9, 0, 1, s[0:1]
	v_lshlrev_b32_e32 v9, 1, v9
	s_waitcnt lgkmcnt(0)
	v_add_f32_e32 v5, v4, v5
	v_add_lshl_u32 v4, v8, v6, 2
	ds_bpermute_b32 v8, v4, v5
	v_cmp_ne_u32_e64 s[0:1], 63, v7
	s_waitcnt lgkmcnt(0)
	s_barrier
	v_add_f32_e32 v8, v5, v8
	v_add_lshl_u32 v5, v9, v6, 2
	ds_bpermute_b32 v9, v5, v8
	v_addc_co_u32_e64 v6, s[0:1], 0, v6, s[0:1]
	v_lshlrev_b32_e32 v6, 2, v6
	v_cmp_eq_u32_e64 s[0:1], 0, v3
	s_waitcnt lgkmcnt(0)
	v_add_f32_e32 v7, v8, v9
	ds_bpermute_b32 v8, v6, v7
	s_and_saveexec_b64 s[4:5], s[0:1]
	s_cbranch_execz .LBB460_8
; %bb.7:
	s_waitcnt lgkmcnt(0)
	v_add_f32_e32 v3, v7, v8
	v_lshrrev_b32_e32 v7, 4, v0
	v_and_b32_e32 v7, 60, v7
	ds_write_b32 v7, v3
.LBB460_8:
	s_or_b64 exec, exec, s[4:5]
	v_cmp_gt_u32_e64 s[0:1], 16, v0
	v_mov_b32_e32 v3, 0
	s_waitcnt lgkmcnt(0)
	s_barrier
	s_and_saveexec_b64 s[4:5], s[0:1]
	s_cbranch_execnz .LBB460_12
; %bb.9:
	s_or_b64 exec, exec, s[4:5]
	s_and_saveexec_b64 s[0:1], vcc
	s_cbranch_execnz .LBB460_13
.LBB460_10:
	s_or_b64 exec, exec, s[0:1]
	v_cmp_eq_u32_e32 vcc, 0, v0
	s_and_saveexec_b64 s[0:1], vcc
	s_cbranch_execnz .LBB460_14
.LBB460_11:
	s_endpgm
.LBB460_12:
	ds_read_b32 v3, v2
	s_or_b64 exec, exec, s[4:5]
	s_and_saveexec_b64 s[0:1], vcc
	s_cbranch_execz .LBB460_10
.LBB460_13:
	s_waitcnt lgkmcnt(0)
	ds_bpermute_b32 v1, v1, v3
	s_waitcnt lgkmcnt(0)
	v_add_f32_e32 v1, v3, v1
	ds_bpermute_b32 v2, v4, v1
	s_waitcnt lgkmcnt(0)
	v_add_f32_e32 v1, v1, v2
	;; [unrolled: 3-line block ×4, first 2 shown]
	s_or_b64 exec, exec, s[0:1]
	v_cmp_eq_u32_e32 vcc, 0, v0
	s_and_saveexec_b64 s[0:1], vcc
	s_cbranch_execz .LBB460_11
.LBB460_14:
	s_waitcnt lgkmcnt(0)
	v_cvt_f16_f32_e32 v0, v3
	s_lshl_b64 s[0:1], s[2:3], 1
	s_add_u32 s0, s6, s0
	s_addc_u32 s1, s7, s1
	v_mov_b32_e32 v1, 0
	global_store_short v1, v0, s[0:1]
	s_endpgm
	.section	.rodata,"a",@progbits
	.p2align	6, 0x0
	.amdhsa_kernel _ZL24rocblas_dot_kernel_magsqIiLb1ELi1024ELi32ELb1EDF16_PKDF16_fEviT5_lT_liPT6_PT4_
		.amdhsa_group_segment_fixed_size 256
		.amdhsa_private_segment_fixed_size 0
		.amdhsa_kernarg_size 320
		.amdhsa_user_sgpr_count 6
		.amdhsa_user_sgpr_private_segment_buffer 1
		.amdhsa_user_sgpr_dispatch_ptr 0
		.amdhsa_user_sgpr_queue_ptr 0
		.amdhsa_user_sgpr_kernarg_segment_ptr 1
		.amdhsa_user_sgpr_dispatch_id 0
		.amdhsa_user_sgpr_flat_scratch_init 0
		.amdhsa_user_sgpr_kernarg_preload_length 0
		.amdhsa_user_sgpr_kernarg_preload_offset 0
		.amdhsa_user_sgpr_private_segment_size 0
		.amdhsa_uses_dynamic_stack 0
		.amdhsa_system_sgpr_private_segment_wavefront_offset 0
		.amdhsa_system_sgpr_workgroup_id_x 1
		.amdhsa_system_sgpr_workgroup_id_y 0
		.amdhsa_system_sgpr_workgroup_id_z 1
		.amdhsa_system_sgpr_workgroup_info 0
		.amdhsa_system_vgpr_workitem_id 0
		.amdhsa_next_free_vgpr 10
		.amdhsa_next_free_sgpr 20
		.amdhsa_accum_offset 12
		.amdhsa_reserve_vcc 1
		.amdhsa_reserve_flat_scratch 0
		.amdhsa_float_round_mode_32 0
		.amdhsa_float_round_mode_16_64 0
		.amdhsa_float_denorm_mode_32 3
		.amdhsa_float_denorm_mode_16_64 3
		.amdhsa_dx10_clamp 1
		.amdhsa_ieee_mode 1
		.amdhsa_fp16_overflow 0
		.amdhsa_tg_split 0
		.amdhsa_exception_fp_ieee_invalid_op 0
		.amdhsa_exception_fp_denorm_src 0
		.amdhsa_exception_fp_ieee_div_zero 0
		.amdhsa_exception_fp_ieee_overflow 0
		.amdhsa_exception_fp_ieee_underflow 0
		.amdhsa_exception_fp_ieee_inexact 0
		.amdhsa_exception_int_div_zero 0
	.end_amdhsa_kernel
	.section	.text._ZL24rocblas_dot_kernel_magsqIiLb1ELi1024ELi32ELb1EDF16_PKDF16_fEviT5_lT_liPT6_PT4_,"axG",@progbits,_ZL24rocblas_dot_kernel_magsqIiLb1ELi1024ELi32ELb1EDF16_PKDF16_fEviT5_lT_liPT6_PT4_,comdat
.Lfunc_end460:
	.size	_ZL24rocblas_dot_kernel_magsqIiLb1ELi1024ELi32ELb1EDF16_PKDF16_fEviT5_lT_liPT6_PT4_, .Lfunc_end460-_ZL24rocblas_dot_kernel_magsqIiLb1ELi1024ELi32ELb1EDF16_PKDF16_fEviT5_lT_liPT6_PT4_
                                        ; -- End function
	.section	.AMDGPU.csdata,"",@progbits
; Kernel info:
; codeLenInByte = 824
; NumSgprs: 24
; NumVgprs: 10
; NumAgprs: 0
; TotalNumVgprs: 10
; ScratchSize: 0
; MemoryBound: 0
; FloatMode: 240
; IeeeMode: 1
; LDSByteSize: 256 bytes/workgroup (compile time only)
; SGPRBlocks: 2
; VGPRBlocks: 1
; NumSGPRsForWavesPerEU: 24
; NumVGPRsForWavesPerEU: 10
; AccumOffset: 12
; Occupancy: 8
; WaveLimiterHint : 0
; COMPUTE_PGM_RSRC2:SCRATCH_EN: 0
; COMPUTE_PGM_RSRC2:USER_SGPR: 6
; COMPUTE_PGM_RSRC2:TRAP_HANDLER: 0
; COMPUTE_PGM_RSRC2:TGID_X_EN: 1
; COMPUTE_PGM_RSRC2:TGID_Y_EN: 0
; COMPUTE_PGM_RSRC2:TGID_Z_EN: 1
; COMPUTE_PGM_RSRC2:TIDIG_COMP_CNT: 0
; COMPUTE_PGM_RSRC3_GFX90A:ACCUM_OFFSET: 2
; COMPUTE_PGM_RSRC3_GFX90A:TG_SPLIT: 0
	.section	.text._ZL23rocblas_dot_kernel_inc1ILb0ELi512ELi8ELb1EDF16_PKDF16_fEviT4_llS2_lliPT5_PT3_,"axG",@progbits,_ZL23rocblas_dot_kernel_inc1ILb0ELi512ELi8ELb1EDF16_PKDF16_fEviT4_llS2_lliPT5_PT3_,comdat
	.globl	_ZL23rocblas_dot_kernel_inc1ILb0ELi512ELi8ELb1EDF16_PKDF16_fEviT4_llS2_lliPT5_PT3_ ; -- Begin function _ZL23rocblas_dot_kernel_inc1ILb0ELi512ELi8ELb1EDF16_PKDF16_fEviT4_llS2_lliPT5_PT3_
	.p2align	8
	.type	_ZL23rocblas_dot_kernel_inc1ILb0ELi512ELi8ELb1EDF16_PKDF16_fEviT4_llS2_lliPT5_PT3_,@function
_ZL23rocblas_dot_kernel_inc1ILb0ELi512ELi8ELb1EDF16_PKDF16_fEviT4_llS2_lliPT5_PT3_: ; @_ZL23rocblas_dot_kernel_inc1ILb0ELi512ELi8ELb1EDF16_PKDF16_fEviT4_llS2_lliPT5_PT3_
; %bb.0:
	s_mov_b32 s2, s7
	s_load_dword s18, s[4:5], 0x50
	s_load_dword s7, s[4:5], 0x0
	s_load_dwordx4 s[8:11], s[4:5], 0x40
	v_lshl_or_b32 v2, s6, 9, v0
	s_mov_b32 s3, 0
	v_mov_b32_e32 v1, 0
	s_waitcnt lgkmcnt(0)
	v_cmp_gt_i32_e32 vcc, s7, v2
	s_and_saveexec_b64 s[12:13], vcc
	s_cbranch_execz .LBB461_4
; %bb.1:
	s_load_dwordx4 s[20:23], s[4:5], 0x10
	s_load_dwordx2 s[0:1], s[4:5], 0x8
	s_load_dwordx2 s[14:15], s[4:5], 0x20
	s_load_dwordx4 s[24:27], s[4:5], 0x28
	v_ashrrev_i32_e32 v3, 31, v2
	s_waitcnt lgkmcnt(0)
	s_mul_i32 s4, s2, s23
	s_mul_hi_u32 s5, s2, s22
	s_add_i32 s5, s5, s4
	s_mul_i32 s4, s2, s22
	s_lshl_b64 s[4:5], s[4:5], 1
	s_add_u32 s4, s0, s4
	s_addc_u32 s5, s1, s5
	s_lshl_b64 s[0:1], s[20:21], 1
	s_add_u32 s19, s4, s0
	s_addc_u32 s21, s5, s1
	s_mul_i32 s0, s2, s27
	s_mul_hi_u32 s1, s2, s26
	s_add_i32 s1, s1, s0
	s_mul_i32 s0, s2, s26
	s_lshl_b64 s[0:1], s[0:1], 1
	s_add_u32 s4, s14, s0
	s_addc_u32 s5, s15, s1
	s_lshl_b64 s[0:1], s[24:25], 1
	s_add_u32 s20, s4, s0
	s_addc_u32 s0, s5, s1
	s_lshl_b32 s4, s18, 9
	s_ashr_i32 s5, s4, 31
	s_lshl_b64 s[16:17], s[4:5], 1
	v_add_u32_e32 v4, s4, v2
	v_lshlrev_b64 v[2:3], 1, v[2:3]
	s_mov_b64 s[14:15], 0
	v_mov_b32_e32 v1, 0
	v_mov_b32_e32 v5, s0
	;; [unrolled: 1-line block ×4, first 2 shown]
	s_mov_b32 s5, s3
.LBB461_2:                              ; =>This Inner Loop Header: Depth=1
	v_add_co_u32_e32 v8, vcc, s20, v2
	v_addc_co_u32_e32 v9, vcc, v5, v3, vcc
	v_add_co_u32_e32 v10, vcc, s19, v2
	v_addc_co_u32_e32 v11, vcc, v6, v3, vcc
	global_load_ushort v12, v[8:9], off
	global_load_ushort v13, v[10:11], off
	s_add_i32 s17, s5, 1
	v_add_co_u32_e64 v2, s[0:1], s16, v2
	v_addc_co_u32_e64 v3, s[0:1], v3, v7, s[0:1]
	s_cmp_gt_u32 s5, 6
	v_cmp_le_i32_e32 vcc, s7, v4
	s_cselect_b64 s[0:1], -1, 0
	s_or_b64 s[0:1], s[0:1], vcc
	s_and_b64 s[0:1], exec, s[0:1]
	v_add_u32_e32 v4, s4, v4
	s_mov_b32 s5, s17
	s_or_b64 s[14:15], s[0:1], s[14:15]
	s_waitcnt vmcnt(0)
	v_fma_mix_f32 v1, v12, v13, v1 op_sel_hi:[1,1,0]
	s_andn2_b64 exec, exec, s[14:15]
	s_cbranch_execnz .LBB461_2
; %bb.3:
	s_or_b64 exec, exec, s[14:15]
.LBB461_4:
	s_or_b64 exec, exec, s[12:13]
	v_and_b32_e32 v3, 63, v0
	v_cmp_gt_u32_e32 vcc, 64, v0
	v_lshlrev_b32_e32 v2, 2, v3
	s_and_saveexec_b64 s[0:1], vcc
	s_cbranch_execz .LBB461_6
; %bb.5:
	v_mov_b32_e32 v4, 0
	ds_write_b32 v2, v4
.LBB461_6:
	s_or_b64 exec, exec, s[0:1]
	v_mbcnt_lo_u32_b32 v4, -1, 0
	v_mbcnt_hi_u32_b32 v6, -1, v4
	v_and_b32_e32 v7, 63, v6
	v_cmp_gt_u32_e64 s[0:1], 32, v7
	v_cndmask_b32_e64 v4, 0, 1, s[0:1]
	v_lshlrev_b32_e32 v4, 5, v4
	v_add_lshl_u32 v4, v4, v6, 2
	ds_bpermute_b32 v4, v4, v1
	v_cmp_gt_u32_e64 s[0:1], 48, v7
	v_cndmask_b32_e64 v5, 0, 1, s[0:1]
	v_lshlrev_b32_e32 v5, 4, v5
	v_cmp_gt_u32_e64 s[0:1], 56, v7
	s_waitcnt lgkmcnt(0)
	v_add_f32_e32 v1, v1, v4
	v_add_lshl_u32 v4, v5, v6, 2
	ds_bpermute_b32 v4, v4, v1
	v_cndmask_b32_e64 v5, 0, 1, s[0:1]
	v_lshlrev_b32_e32 v5, 3, v5
	v_cmp_gt_u32_e64 s[0:1], 60, v7
	s_waitcnt lgkmcnt(0)
	v_add_f32_e32 v1, v1, v4
	v_add_lshl_u32 v4, v5, v6, 2
	ds_bpermute_b32 v4, v4, v1
	v_cndmask_b32_e64 v5, 0, 1, s[0:1]
	v_lshlrev_b32_e32 v5, 2, v5
	v_cmp_gt_u32_e64 s[0:1], 62, v7
	v_cndmask_b32_e64 v8, 0, 1, s[0:1]
	s_waitcnt lgkmcnt(0)
	v_add_f32_e32 v1, v1, v4
	v_add_lshl_u32 v4, v5, v6, 2
	ds_bpermute_b32 v5, v4, v1
	v_lshlrev_b32_e32 v8, 1, v8
	v_cmp_ne_u32_e64 s[0:1], 63, v7
	s_barrier
	s_waitcnt lgkmcnt(0)
	v_add_f32_e32 v1, v1, v5
	v_add_lshl_u32 v5, v8, v6, 2
	ds_bpermute_b32 v8, v5, v1
	v_addc_co_u32_e64 v6, s[0:1], 0, v6, s[0:1]
	v_lshlrev_b32_e32 v6, 2, v6
	v_cmp_eq_u32_e64 s[0:1], 0, v3
	s_waitcnt lgkmcnt(0)
	v_add_f32_e32 v1, v1, v8
	ds_bpermute_b32 v7, v6, v1
	s_and_saveexec_b64 s[4:5], s[0:1]
	s_cbranch_execz .LBB461_8
; %bb.7:
	v_lshrrev_b32_e32 v3, 4, v0
	s_waitcnt lgkmcnt(0)
	v_add_f32_e32 v1, v1, v7
	v_and_b32_e32 v3, 28, v3
	ds_write_b32 v3, v1
.LBB461_8:
	s_or_b64 exec, exec, s[4:5]
	v_cmp_gt_u32_e64 s[0:1], 8, v0
	v_mov_b32_e32 v1, 0
	s_waitcnt lgkmcnt(0)
	s_barrier
	s_and_saveexec_b64 s[4:5], s[0:1]
	s_cbranch_execnz .LBB461_12
; %bb.9:
	s_or_b64 exec, exec, s[4:5]
	s_and_saveexec_b64 s[0:1], vcc
	s_cbranch_execnz .LBB461_13
.LBB461_10:
	s_or_b64 exec, exec, s[0:1]
	v_cmp_eq_u32_e32 vcc, 0, v0
	s_and_saveexec_b64 s[0:1], vcc
	s_cbranch_execnz .LBB461_14
.LBB461_11:
	s_endpgm
.LBB461_12:
	ds_read_b32 v1, v2
	s_or_b64 exec, exec, s[4:5]
	s_and_saveexec_b64 s[0:1], vcc
	s_cbranch_execz .LBB461_10
.LBB461_13:
	s_waitcnt lgkmcnt(0)
	ds_bpermute_b32 v2, v4, v1
	s_waitcnt lgkmcnt(0)
	v_add_f32_e32 v1, v1, v2
	ds_bpermute_b32 v2, v5, v1
	s_waitcnt lgkmcnt(0)
	v_add_f32_e32 v1, v1, v2
	;; [unrolled: 3-line block ×3, first 2 shown]
	s_or_b64 exec, exec, s[0:1]
	v_cmp_eq_u32_e32 vcc, 0, v0
	s_and_saveexec_b64 s[0:1], vcc
	s_cbranch_execz .LBB461_11
.LBB461_14:
	s_cmp_lg_u32 s18, 1
	s_mov_b64 s[0:1], -1
	s_cbranch_scc0 .LBB461_16
; %bb.15:
	s_mul_hi_u32 s1, s18, s2
	s_mul_i32 s0, s18, s2
	s_lshl_b64 s[0:1], s[0:1], 2
	s_mov_b32 s7, 0
	s_add_u32 s4, s8, s0
	s_addc_u32 s5, s9, s1
	s_lshl_b64 s[0:1], s[6:7], 2
	s_add_u32 s0, s4, s0
	s_addc_u32 s1, s5, s1
	v_mov_b32_e32 v0, 0
	s_waitcnt lgkmcnt(0)
	global_store_dword v0, v1, s[0:1]
	s_mov_b64 s[0:1], 0
.LBB461_16:
	s_andn2_b64 vcc, exec, s[0:1]
	s_cbranch_vccnz .LBB461_11
; %bb.17:
	s_waitcnt lgkmcnt(0)
	v_cvt_f16_f32_e32 v0, v1
	s_lshl_b64 s[0:1], s[2:3], 1
	s_add_u32 s0, s10, s0
	s_addc_u32 s1, s11, s1
	v_mov_b32_e32 v1, 0
	global_store_short v1, v0, s[0:1]
	s_endpgm
	.section	.rodata,"a",@progbits
	.p2align	6, 0x0
	.amdhsa_kernel _ZL23rocblas_dot_kernel_inc1ILb0ELi512ELi8ELb1EDF16_PKDF16_fEviT4_llS2_lliPT5_PT3_
		.amdhsa_group_segment_fixed_size 256
		.amdhsa_private_segment_fixed_size 0
		.amdhsa_kernarg_size 336
		.amdhsa_user_sgpr_count 6
		.amdhsa_user_sgpr_private_segment_buffer 1
		.amdhsa_user_sgpr_dispatch_ptr 0
		.amdhsa_user_sgpr_queue_ptr 0
		.amdhsa_user_sgpr_kernarg_segment_ptr 1
		.amdhsa_user_sgpr_dispatch_id 0
		.amdhsa_user_sgpr_flat_scratch_init 0
		.amdhsa_user_sgpr_kernarg_preload_length 0
		.amdhsa_user_sgpr_kernarg_preload_offset 0
		.amdhsa_user_sgpr_private_segment_size 0
		.amdhsa_uses_dynamic_stack 0
		.amdhsa_system_sgpr_private_segment_wavefront_offset 0
		.amdhsa_system_sgpr_workgroup_id_x 1
		.amdhsa_system_sgpr_workgroup_id_y 0
		.amdhsa_system_sgpr_workgroup_id_z 1
		.amdhsa_system_sgpr_workgroup_info 0
		.amdhsa_system_vgpr_workitem_id 0
		.amdhsa_next_free_vgpr 14
		.amdhsa_next_free_sgpr 28
		.amdhsa_accum_offset 16
		.amdhsa_reserve_vcc 1
		.amdhsa_reserve_flat_scratch 0
		.amdhsa_float_round_mode_32 0
		.amdhsa_float_round_mode_16_64 0
		.amdhsa_float_denorm_mode_32 3
		.amdhsa_float_denorm_mode_16_64 3
		.amdhsa_dx10_clamp 1
		.amdhsa_ieee_mode 1
		.amdhsa_fp16_overflow 0
		.amdhsa_tg_split 0
		.amdhsa_exception_fp_ieee_invalid_op 0
		.amdhsa_exception_fp_denorm_src 0
		.amdhsa_exception_fp_ieee_div_zero 0
		.amdhsa_exception_fp_ieee_overflow 0
		.amdhsa_exception_fp_ieee_underflow 0
		.amdhsa_exception_fp_ieee_inexact 0
		.amdhsa_exception_int_div_zero 0
	.end_amdhsa_kernel
	.section	.text._ZL23rocblas_dot_kernel_inc1ILb0ELi512ELi8ELb1EDF16_PKDF16_fEviT4_llS2_lliPT5_PT3_,"axG",@progbits,_ZL23rocblas_dot_kernel_inc1ILb0ELi512ELi8ELb1EDF16_PKDF16_fEviT4_llS2_lliPT5_PT3_,comdat
.Lfunc_end461:
	.size	_ZL23rocblas_dot_kernel_inc1ILb0ELi512ELi8ELb1EDF16_PKDF16_fEviT4_llS2_lliPT5_PT3_, .Lfunc_end461-_ZL23rocblas_dot_kernel_inc1ILb0ELi512ELi8ELb1EDF16_PKDF16_fEviT4_llS2_lliPT5_PT3_
                                        ; -- End function
	.section	.AMDGPU.csdata,"",@progbits
; Kernel info:
; codeLenInByte = 952
; NumSgprs: 32
; NumVgprs: 14
; NumAgprs: 0
; TotalNumVgprs: 14
; ScratchSize: 0
; MemoryBound: 0
; FloatMode: 240
; IeeeMode: 1
; LDSByteSize: 256 bytes/workgroup (compile time only)
; SGPRBlocks: 3
; VGPRBlocks: 1
; NumSGPRsForWavesPerEU: 32
; NumVGPRsForWavesPerEU: 14
; AccumOffset: 16
; Occupancy: 8
; WaveLimiterHint : 0
; COMPUTE_PGM_RSRC2:SCRATCH_EN: 0
; COMPUTE_PGM_RSRC2:USER_SGPR: 6
; COMPUTE_PGM_RSRC2:TRAP_HANDLER: 0
; COMPUTE_PGM_RSRC2:TGID_X_EN: 1
; COMPUTE_PGM_RSRC2:TGID_Y_EN: 0
; COMPUTE_PGM_RSRC2:TGID_Z_EN: 1
; COMPUTE_PGM_RSRC2:TIDIG_COMP_CNT: 0
; COMPUTE_PGM_RSRC3_GFX90A:ACCUM_OFFSET: 3
; COMPUTE_PGM_RSRC3_GFX90A:TG_SPLIT: 0
	.section	.text._ZL18rocblas_dot_kernelIiLb0ELi512ELi8ELb1EDF16_PKDF16_fEviT5_lT_lS2_lS3_liPT6_PT4_,"axG",@progbits,_ZL18rocblas_dot_kernelIiLb0ELi512ELi8ELb1EDF16_PKDF16_fEviT5_lT_lS2_lS3_liPT6_PT4_,comdat
	.globl	_ZL18rocblas_dot_kernelIiLb0ELi512ELi8ELb1EDF16_PKDF16_fEviT5_lT_lS2_lS3_liPT6_PT4_ ; -- Begin function _ZL18rocblas_dot_kernelIiLb0ELi512ELi8ELb1EDF16_PKDF16_fEviT5_lT_lS2_lS3_liPT6_PT4_
	.p2align	8
	.type	_ZL18rocblas_dot_kernelIiLb0ELi512ELi8ELb1EDF16_PKDF16_fEviT5_lT_lS2_lS3_liPT6_PT4_,@function
_ZL18rocblas_dot_kernelIiLb0ELi512ELi8ELb1EDF16_PKDF16_fEviT5_lT_lS2_lS3_liPT6_PT4_: ; @_ZL18rocblas_dot_kernelIiLb0ELi512ELi8ELb1EDF16_PKDF16_fEviT5_lT_lS2_lS3_liPT6_PT4_
; %bb.0:
	s_mov_b32 s12, s7
	s_load_dword s18, s[4:5], 0x60
	s_load_dword s7, s[4:5], 0x0
	s_load_dwordx4 s[8:11], s[4:5], 0x50
	v_lshl_or_b32 v4, s6, 9, v0
	s_mov_b32 s13, 0
	v_mov_b32_e32 v6, 0
	s_waitcnt lgkmcnt(0)
	v_cmp_gt_i32_e32 vcc, s7, v4
	s_and_saveexec_b64 s[14:15], vcc
	s_cbranch_execz .LBB462_4
; %bb.1:
	s_load_dwordx4 s[20:23], s[4:5], 0x8
	s_load_dword s26, s[4:5], 0x18
	s_load_dwordx4 s[0:3], s[4:5], 0x20
	s_load_dwordx2 s[16:17], s[4:5], 0x30
	s_load_dword s27, s[4:5], 0x38
	s_load_dwordx2 s[24:25], s[4:5], 0x40
	s_waitcnt lgkmcnt(0)
	v_mad_i64_i32 v[2:3], s[4:5], s26, v4, 0
	s_mul_i32 s1, s1, s12
	s_mul_hi_u32 s4, s0, s12
	s_add_i32 s1, s4, s1
	s_mul_i32 s0, s0, s12
	s_lshl_b32 s19, s18, 9
	s_lshl_b64 s[0:1], s[0:1], 1
	s_lshl_b64 s[4:5], s[22:23], 1
	s_add_u32 s4, s20, s4
	s_addc_u32 s5, s21, s5
	s_add_u32 s0, s4, s0
	v_lshlrev_b64 v[2:3], 1, v[2:3]
	s_addc_u32 s1, s5, s1
	v_mov_b32_e32 v5, s1
	v_add_co_u32_e32 v2, vcc, s0, v2
	s_mul_hi_i32 s1, s26, s19
	s_mul_i32 s0, s26, s19
	v_add_u32_e32 v1, s19, v4
	v_addc_co_u32_e32 v3, vcc, v5, v3, vcc
	s_lshl_b64 s[4:5], s[0:1], 1
	v_mad_i64_i32 v[4:5], s[0:1], s27, v4, 0
	s_mul_i32 s0, s25, s12
	s_mul_hi_u32 s1, s24, s12
	s_add_i32 s1, s1, s0
	s_mul_i32 s0, s24, s12
	s_lshl_b64 s[0:1], s[0:1], 1
	s_lshl_b64 s[16:17], s[16:17], 1
	s_add_u32 s2, s2, s16
	s_addc_u32 s3, s3, s17
	s_add_u32 s0, s2, s0
	v_lshlrev_b64 v[4:5], 1, v[4:5]
	s_addc_u32 s1, s3, s1
	v_mov_b32_e32 v6, s1
	v_add_co_u32_e32 v4, vcc, s0, v4
	s_mul_hi_i32 s1, s27, s19
	s_mul_i32 s0, s27, s19
	s_lshl_b64 s[16:17], s[0:1], 1
	v_addc_co_u32_e32 v5, vcc, v6, v5, vcc
	s_mov_b64 s[2:3], 0
	v_mov_b32_e32 v6, 0
	v_mov_b32_e32 v7, s5
	;; [unrolled: 1-line block ×3, first 2 shown]
	s_mov_b32 s5, s13
.LBB462_2:                              ; =>This Inner Loop Header: Depth=1
	global_load_ushort v9, v[4:5], off
	global_load_ushort v10, v[2:3], off
	v_add_co_u32_e64 v2, s[0:1], s4, v2
	v_addc_co_u32_e64 v3, s[0:1], v3, v7, s[0:1]
	s_add_i32 s17, s5, 1
	v_add_co_u32_e64 v4, s[0:1], s16, v4
	v_addc_co_u32_e64 v5, s[0:1], v5, v8, s[0:1]
	s_cmp_gt_u32 s5, 6
	v_cmp_le_i32_e32 vcc, s7, v1
	s_cselect_b64 s[0:1], -1, 0
	s_or_b64 s[0:1], s[0:1], vcc
	s_and_b64 s[0:1], exec, s[0:1]
	v_add_u32_e32 v1, s19, v1
	s_mov_b32 s5, s17
	s_or_b64 s[2:3], s[0:1], s[2:3]
	s_waitcnt vmcnt(0)
	v_fma_mix_f32 v6, v9, v10, v6 op_sel_hi:[1,1,0]
	s_andn2_b64 exec, exec, s[2:3]
	s_cbranch_execnz .LBB462_2
; %bb.3:
	s_or_b64 exec, exec, s[2:3]
.LBB462_4:
	s_or_b64 exec, exec, s[14:15]
	v_and_b32_e32 v2, 63, v0
	v_cmp_gt_u32_e32 vcc, 64, v0
	v_lshlrev_b32_e32 v1, 2, v2
	s_and_saveexec_b64 s[0:1], vcc
	s_cbranch_execz .LBB462_6
; %bb.5:
	v_mov_b32_e32 v3, 0
	ds_write_b32 v1, v3
.LBB462_6:
	s_or_b64 exec, exec, s[0:1]
	v_mbcnt_lo_u32_b32 v3, -1, 0
	v_mbcnt_hi_u32_b32 v5, -1, v3
	v_and_b32_e32 v7, 63, v5
	v_cmp_gt_u32_e64 s[0:1], 32, v7
	v_cndmask_b32_e64 v3, 0, 1, s[0:1]
	v_lshlrev_b32_e32 v3, 5, v3
	v_add_lshl_u32 v3, v3, v5, 2
	ds_bpermute_b32 v3, v3, v6
	v_cmp_gt_u32_e64 s[0:1], 48, v7
	v_cndmask_b32_e64 v4, 0, 1, s[0:1]
	v_lshlrev_b32_e32 v4, 4, v4
	v_add_lshl_u32 v4, v4, v5, 2
	s_waitcnt lgkmcnt(0)
	v_add_f32_e32 v3, v6, v3
	ds_bpermute_b32 v4, v4, v3
	v_cmp_gt_u32_e64 s[0:1], 56, v7
	v_cndmask_b32_e64 v6, 0, 1, s[0:1]
	v_lshlrev_b32_e32 v6, 3, v6
	v_cmp_gt_u32_e64 s[0:1], 60, v7
	s_waitcnt lgkmcnt(0)
	v_add_f32_e32 v3, v3, v4
	v_add_lshl_u32 v4, v6, v5, 2
	ds_bpermute_b32 v4, v4, v3
	v_cndmask_b32_e64 v6, 0, 1, s[0:1]
	v_lshlrev_b32_e32 v6, 2, v6
	v_cmp_gt_u32_e64 s[0:1], 62, v7
	v_cndmask_b32_e64 v8, 0, 1, s[0:1]
	s_waitcnt lgkmcnt(0)
	v_add_f32_e32 v4, v3, v4
	v_add_lshl_u32 v3, v6, v5, 2
	ds_bpermute_b32 v6, v3, v4
	v_lshlrev_b32_e32 v8, 1, v8
	v_cmp_ne_u32_e64 s[0:1], 63, v7
	s_waitcnt lgkmcnt(0)
	s_barrier
	v_add_f32_e32 v6, v4, v6
	v_add_lshl_u32 v4, v8, v5, 2
	ds_bpermute_b32 v8, v4, v6
	v_addc_co_u32_e64 v5, s[0:1], 0, v5, s[0:1]
	v_lshlrev_b32_e32 v5, 2, v5
	v_cmp_eq_u32_e64 s[0:1], 0, v2
	s_waitcnt lgkmcnt(0)
	v_add_f32_e32 v6, v6, v8
	ds_bpermute_b32 v7, v5, v6
	s_waitcnt lgkmcnt(0)
	s_and_saveexec_b64 s[2:3], s[0:1]
	s_cbranch_execz .LBB462_8
; %bb.7:
	v_add_f32_e32 v2, v6, v7
	v_lshrrev_b32_e32 v6, 4, v0
	v_and_b32_e32 v6, 28, v6
	ds_write_b32 v6, v2
.LBB462_8:
	s_or_b64 exec, exec, s[2:3]
	v_cmp_gt_u32_e64 s[0:1], 8, v0
	v_mov_b32_e32 v2, 0
	s_waitcnt lgkmcnt(0)
	s_barrier
	s_and_saveexec_b64 s[2:3], s[0:1]
	s_cbranch_execnz .LBB462_12
; %bb.9:
	s_or_b64 exec, exec, s[2:3]
	s_and_saveexec_b64 s[0:1], vcc
	s_cbranch_execnz .LBB462_13
.LBB462_10:
	s_or_b64 exec, exec, s[0:1]
	v_cmp_eq_u32_e32 vcc, 0, v0
	s_and_saveexec_b64 s[0:1], vcc
	s_cbranch_execnz .LBB462_14
.LBB462_11:
	s_endpgm
.LBB462_12:
	ds_read_b32 v2, v1
	s_or_b64 exec, exec, s[2:3]
	s_and_saveexec_b64 s[0:1], vcc
	s_cbranch_execz .LBB462_10
.LBB462_13:
	s_waitcnt lgkmcnt(0)
	ds_bpermute_b32 v1, v3, v2
	s_waitcnt lgkmcnt(0)
	v_add_f32_e32 v1, v2, v1
	ds_bpermute_b32 v2, v4, v1
	s_waitcnt lgkmcnt(0)
	v_add_f32_e32 v1, v1, v2
	;; [unrolled: 3-line block ×3, first 2 shown]
	s_or_b64 exec, exec, s[0:1]
	v_cmp_eq_u32_e32 vcc, 0, v0
	s_and_saveexec_b64 s[0:1], vcc
	s_cbranch_execz .LBB462_11
.LBB462_14:
	s_cmp_lg_u32 s18, 1
	s_mov_b64 s[0:1], -1
	s_cbranch_scc0 .LBB462_16
; %bb.15:
	s_mul_hi_u32 s1, s18, s12
	s_mul_i32 s0, s18, s12
	s_lshl_b64 s[0:1], s[0:1], 2
	s_mov_b32 s7, 0
	s_add_u32 s2, s8, s0
	s_addc_u32 s3, s9, s1
	s_lshl_b64 s[0:1], s[6:7], 2
	s_add_u32 s0, s2, s0
	s_addc_u32 s1, s3, s1
	v_mov_b32_e32 v0, 0
	s_waitcnt lgkmcnt(0)
	global_store_dword v0, v2, s[0:1]
	s_mov_b64 s[0:1], 0
.LBB462_16:
	s_andn2_b64 vcc, exec, s[0:1]
	s_cbranch_vccnz .LBB462_11
; %bb.17:
	s_waitcnt lgkmcnt(0)
	v_cvt_f16_f32_e32 v0, v2
	s_lshl_b64 s[0:1], s[12:13], 1
	s_add_u32 s0, s10, s0
	s_addc_u32 s1, s11, s1
	v_mov_b32_e32 v1, 0
	global_store_short v1, v0, s[0:1]
	s_endpgm
	.section	.rodata,"a",@progbits
	.p2align	6, 0x0
	.amdhsa_kernel _ZL18rocblas_dot_kernelIiLb0ELi512ELi8ELb1EDF16_PKDF16_fEviT5_lT_lS2_lS3_liPT6_PT4_
		.amdhsa_group_segment_fixed_size 256
		.amdhsa_private_segment_fixed_size 0
		.amdhsa_kernarg_size 352
		.amdhsa_user_sgpr_count 6
		.amdhsa_user_sgpr_private_segment_buffer 1
		.amdhsa_user_sgpr_dispatch_ptr 0
		.amdhsa_user_sgpr_queue_ptr 0
		.amdhsa_user_sgpr_kernarg_segment_ptr 1
		.amdhsa_user_sgpr_dispatch_id 0
		.amdhsa_user_sgpr_flat_scratch_init 0
		.amdhsa_user_sgpr_kernarg_preload_length 0
		.amdhsa_user_sgpr_kernarg_preload_offset 0
		.amdhsa_user_sgpr_private_segment_size 0
		.amdhsa_uses_dynamic_stack 0
		.amdhsa_system_sgpr_private_segment_wavefront_offset 0
		.amdhsa_system_sgpr_workgroup_id_x 1
		.amdhsa_system_sgpr_workgroup_id_y 0
		.amdhsa_system_sgpr_workgroup_id_z 1
		.amdhsa_system_sgpr_workgroup_info 0
		.amdhsa_system_vgpr_workitem_id 0
		.amdhsa_next_free_vgpr 11
		.amdhsa_next_free_sgpr 28
		.amdhsa_accum_offset 12
		.amdhsa_reserve_vcc 1
		.amdhsa_reserve_flat_scratch 0
		.amdhsa_float_round_mode_32 0
		.amdhsa_float_round_mode_16_64 0
		.amdhsa_float_denorm_mode_32 3
		.amdhsa_float_denorm_mode_16_64 3
		.amdhsa_dx10_clamp 1
		.amdhsa_ieee_mode 1
		.amdhsa_fp16_overflow 0
		.amdhsa_tg_split 0
		.amdhsa_exception_fp_ieee_invalid_op 0
		.amdhsa_exception_fp_denorm_src 0
		.amdhsa_exception_fp_ieee_div_zero 0
		.amdhsa_exception_fp_ieee_overflow 0
		.amdhsa_exception_fp_ieee_underflow 0
		.amdhsa_exception_fp_ieee_inexact 0
		.amdhsa_exception_int_div_zero 0
	.end_amdhsa_kernel
	.section	.text._ZL18rocblas_dot_kernelIiLb0ELi512ELi8ELb1EDF16_PKDF16_fEviT5_lT_lS2_lS3_liPT6_PT4_,"axG",@progbits,_ZL18rocblas_dot_kernelIiLb0ELi512ELi8ELb1EDF16_PKDF16_fEviT5_lT_lS2_lS3_liPT6_PT4_,comdat
.Lfunc_end462:
	.size	_ZL18rocblas_dot_kernelIiLb0ELi512ELi8ELb1EDF16_PKDF16_fEviT5_lT_lS2_lS3_liPT6_PT4_, .Lfunc_end462-_ZL18rocblas_dot_kernelIiLb0ELi512ELi8ELb1EDF16_PKDF16_fEviT5_lT_lS2_lS3_liPT6_PT4_
                                        ; -- End function
	.section	.AMDGPU.csdata,"",@progbits
; Kernel info:
; codeLenInByte = 1024
; NumSgprs: 32
; NumVgprs: 11
; NumAgprs: 0
; TotalNumVgprs: 11
; ScratchSize: 0
; MemoryBound: 0
; FloatMode: 240
; IeeeMode: 1
; LDSByteSize: 256 bytes/workgroup (compile time only)
; SGPRBlocks: 3
; VGPRBlocks: 1
; NumSGPRsForWavesPerEU: 32
; NumVGPRsForWavesPerEU: 11
; AccumOffset: 12
; Occupancy: 8
; WaveLimiterHint : 0
; COMPUTE_PGM_RSRC2:SCRATCH_EN: 0
; COMPUTE_PGM_RSRC2:USER_SGPR: 6
; COMPUTE_PGM_RSRC2:TRAP_HANDLER: 0
; COMPUTE_PGM_RSRC2:TGID_X_EN: 1
; COMPUTE_PGM_RSRC2:TGID_Y_EN: 0
; COMPUTE_PGM_RSRC2:TGID_Z_EN: 1
; COMPUTE_PGM_RSRC2:TIDIG_COMP_CNT: 0
; COMPUTE_PGM_RSRC3_GFX90A:ACCUM_OFFSET: 2
; COMPUTE_PGM_RSRC3_GFX90A:TG_SPLIT: 0
	.section	.text._ZL24rocblas_dot_kernel_magsqIiLb0ELi512ELi8ELb1EDF16_PKDF16_fEviT5_lT_liPT6_PT4_,"axG",@progbits,_ZL24rocblas_dot_kernel_magsqIiLb0ELi512ELi8ELb1EDF16_PKDF16_fEviT5_lT_liPT6_PT4_,comdat
	.globl	_ZL24rocblas_dot_kernel_magsqIiLb0ELi512ELi8ELb1EDF16_PKDF16_fEviT5_lT_liPT6_PT4_ ; -- Begin function _ZL24rocblas_dot_kernel_magsqIiLb0ELi512ELi8ELb1EDF16_PKDF16_fEviT5_lT_liPT6_PT4_
	.p2align	8
	.type	_ZL24rocblas_dot_kernel_magsqIiLb0ELi512ELi8ELb1EDF16_PKDF16_fEviT5_lT_liPT6_PT4_,@function
_ZL24rocblas_dot_kernel_magsqIiLb0ELi512ELi8ELb1EDF16_PKDF16_fEviT5_lT_liPT6_PT4_: ; @_ZL24rocblas_dot_kernel_magsqIiLb0ELi512ELi8ELb1EDF16_PKDF16_fEviT5_lT_liPT6_PT4_
; %bb.0:
	s_mov_b32 s2, s7
	s_load_dword s7, s[4:5], 0x0
	s_load_dwordx4 s[8:11], s[4:5], 0x30
	s_load_dword s16, s[4:5], 0x40
	v_lshl_or_b32 v2, s6, 9, v0
	s_mov_b32 s3, 0
	s_waitcnt lgkmcnt(0)
	v_cmp_gt_i32_e32 vcc, s7, v2
	v_mov_b32_e32 v1, 0
	s_and_saveexec_b64 s[12:13], vcc
	s_cbranch_execz .LBB463_4
; %bb.1:
	s_load_dwordx4 s[20:23], s[4:5], 0x8
	s_load_dword s14, s[4:5], 0x18
	s_load_dwordx2 s[0:1], s[4:5], 0x20
	s_lshl_b32 s17, s16, 9
	v_add_u32_e32 v4, s17, v2
	s_waitcnt lgkmcnt(0)
	v_mad_i64_i32 v[2:3], s[4:5], s14, v2, 0
	s_mul_i32 s1, s1, s2
	s_mul_hi_u32 s4, s0, s2
	s_add_i32 s1, s4, s1
	s_mul_i32 s0, s0, s2
	s_lshl_b64 s[0:1], s[0:1], 1
	s_lshl_b64 s[4:5], s[22:23], 1
	s_add_u32 s4, s20, s4
	s_addc_u32 s5, s21, s5
	s_add_u32 s0, s4, s0
	v_lshlrev_b64 v[2:3], 1, v[2:3]
	s_addc_u32 s1, s5, s1
	v_mov_b32_e32 v1, s1
	v_add_co_u32_e32 v2, vcc, s0, v2
	s_mul_hi_i32 s1, s14, s17
	s_mul_i32 s0, s14, s17
	s_lshl_b64 s[14:15], s[0:1], 1
	v_addc_co_u32_e32 v3, vcc, v1, v3, vcc
	s_mov_b64 s[4:5], 0
	v_mov_b32_e32 v1, 0
	v_mov_b32_e32 v5, s15
	s_mov_b32 s15, s3
.LBB463_2:                              ; =>This Inner Loop Header: Depth=1
	global_load_ushort v6, v[2:3], off
	s_add_i32 s18, s15, 1
	v_add_co_u32_e64 v2, s[0:1], s14, v2
	v_addc_co_u32_e64 v3, s[0:1], v3, v5, s[0:1]
	s_cmp_gt_u32 s15, 6
	v_cmp_le_i32_e32 vcc, s7, v4
	s_cselect_b64 s[0:1], -1, 0
	s_or_b64 s[0:1], s[0:1], vcc
	s_and_b64 s[0:1], exec, s[0:1]
	v_add_u32_e32 v4, s17, v4
	s_mov_b32 s15, s18
	s_or_b64 s[4:5], s[0:1], s[4:5]
	s_waitcnt vmcnt(0)
	v_fma_mix_f32 v1, v6, v6, v1 op_sel_hi:[1,1,0]
	s_andn2_b64 exec, exec, s[4:5]
	s_cbranch_execnz .LBB463_2
; %bb.3:
	s_or_b64 exec, exec, s[4:5]
.LBB463_4:
	s_or_b64 exec, exec, s[12:13]
	v_and_b32_e32 v3, 63, v0
	v_cmp_gt_u32_e32 vcc, 64, v0
	v_lshlrev_b32_e32 v2, 2, v3
	s_and_saveexec_b64 s[0:1], vcc
	s_cbranch_execz .LBB463_6
; %bb.5:
	v_mov_b32_e32 v4, 0
	ds_write_b32 v2, v4
.LBB463_6:
	s_or_b64 exec, exec, s[0:1]
	v_mbcnt_lo_u32_b32 v4, -1, 0
	v_mbcnt_hi_u32_b32 v6, -1, v4
	v_and_b32_e32 v7, 63, v6
	v_cmp_gt_u32_e64 s[0:1], 32, v7
	v_cndmask_b32_e64 v4, 0, 1, s[0:1]
	v_lshlrev_b32_e32 v4, 5, v4
	v_add_lshl_u32 v4, v4, v6, 2
	ds_bpermute_b32 v4, v4, v1
	v_cmp_gt_u32_e64 s[0:1], 48, v7
	v_cndmask_b32_e64 v5, 0, 1, s[0:1]
	v_lshlrev_b32_e32 v5, 4, v5
	v_cmp_gt_u32_e64 s[0:1], 56, v7
	s_waitcnt lgkmcnt(0)
	v_add_f32_e32 v1, v1, v4
	v_add_lshl_u32 v4, v5, v6, 2
	ds_bpermute_b32 v4, v4, v1
	v_cndmask_b32_e64 v5, 0, 1, s[0:1]
	v_lshlrev_b32_e32 v5, 3, v5
	v_cmp_gt_u32_e64 s[0:1], 60, v7
	s_waitcnt lgkmcnt(0)
	v_add_f32_e32 v1, v1, v4
	v_add_lshl_u32 v4, v5, v6, 2
	ds_bpermute_b32 v4, v4, v1
	v_cndmask_b32_e64 v5, 0, 1, s[0:1]
	v_lshlrev_b32_e32 v5, 2, v5
	v_cmp_gt_u32_e64 s[0:1], 62, v7
	v_cndmask_b32_e64 v8, 0, 1, s[0:1]
	s_waitcnt lgkmcnt(0)
	v_add_f32_e32 v1, v1, v4
	v_add_lshl_u32 v4, v5, v6, 2
	ds_bpermute_b32 v5, v4, v1
	v_lshlrev_b32_e32 v8, 1, v8
	v_cmp_ne_u32_e64 s[0:1], 63, v7
	s_barrier
	s_waitcnt lgkmcnt(0)
	v_add_f32_e32 v1, v1, v5
	v_add_lshl_u32 v5, v8, v6, 2
	ds_bpermute_b32 v8, v5, v1
	v_addc_co_u32_e64 v6, s[0:1], 0, v6, s[0:1]
	v_lshlrev_b32_e32 v6, 2, v6
	v_cmp_eq_u32_e64 s[0:1], 0, v3
	s_waitcnt lgkmcnt(0)
	v_add_f32_e32 v1, v1, v8
	ds_bpermute_b32 v7, v6, v1
	s_and_saveexec_b64 s[4:5], s[0:1]
	s_cbranch_execz .LBB463_8
; %bb.7:
	v_lshrrev_b32_e32 v3, 4, v0
	s_waitcnt lgkmcnt(0)
	v_add_f32_e32 v1, v1, v7
	v_and_b32_e32 v3, 28, v3
	ds_write_b32 v3, v1
.LBB463_8:
	s_or_b64 exec, exec, s[4:5]
	v_cmp_gt_u32_e64 s[0:1], 8, v0
	v_mov_b32_e32 v1, 0
	s_waitcnt lgkmcnt(0)
	s_barrier
	s_and_saveexec_b64 s[4:5], s[0:1]
	s_cbranch_execnz .LBB463_12
; %bb.9:
	s_or_b64 exec, exec, s[4:5]
	s_and_saveexec_b64 s[0:1], vcc
	s_cbranch_execnz .LBB463_13
.LBB463_10:
	s_or_b64 exec, exec, s[0:1]
	v_cmp_eq_u32_e32 vcc, 0, v0
	s_and_saveexec_b64 s[0:1], vcc
	s_cbranch_execnz .LBB463_14
.LBB463_11:
	s_endpgm
.LBB463_12:
	ds_read_b32 v1, v2
	s_or_b64 exec, exec, s[4:5]
	s_and_saveexec_b64 s[0:1], vcc
	s_cbranch_execz .LBB463_10
.LBB463_13:
	s_waitcnt lgkmcnt(0)
	ds_bpermute_b32 v2, v4, v1
	s_waitcnt lgkmcnt(0)
	v_add_f32_e32 v1, v1, v2
	ds_bpermute_b32 v2, v5, v1
	s_waitcnt lgkmcnt(0)
	v_add_f32_e32 v1, v1, v2
	;; [unrolled: 3-line block ×3, first 2 shown]
	s_or_b64 exec, exec, s[0:1]
	v_cmp_eq_u32_e32 vcc, 0, v0
	s_and_saveexec_b64 s[0:1], vcc
	s_cbranch_execz .LBB463_11
.LBB463_14:
	s_cmp_lg_u32 s16, 1
	s_mov_b64 s[0:1], -1
	s_cbranch_scc0 .LBB463_16
; %bb.15:
	s_mul_hi_u32 s1, s16, s2
	s_mul_i32 s0, s16, s2
	s_lshl_b64 s[0:1], s[0:1], 2
	s_mov_b32 s7, 0
	s_add_u32 s4, s8, s0
	s_addc_u32 s5, s9, s1
	s_lshl_b64 s[0:1], s[6:7], 2
	s_add_u32 s0, s4, s0
	s_addc_u32 s1, s5, s1
	v_mov_b32_e32 v0, 0
	s_waitcnt lgkmcnt(0)
	global_store_dword v0, v1, s[0:1]
	s_mov_b64 s[0:1], 0
.LBB463_16:
	s_andn2_b64 vcc, exec, s[0:1]
	s_cbranch_vccnz .LBB463_11
; %bb.17:
	s_waitcnt lgkmcnt(0)
	v_cvt_f16_f32_e32 v0, v1
	s_lshl_b64 s[0:1], s[2:3], 1
	s_add_u32 s0, s10, s0
	s_addc_u32 s1, s11, s1
	v_mov_b32_e32 v1, 0
	global_store_short v1, v0, s[0:1]
	s_endpgm
	.section	.rodata,"a",@progbits
	.p2align	6, 0x0
	.amdhsa_kernel _ZL24rocblas_dot_kernel_magsqIiLb0ELi512ELi8ELb1EDF16_PKDF16_fEviT5_lT_liPT6_PT4_
		.amdhsa_group_segment_fixed_size 256
		.amdhsa_private_segment_fixed_size 0
		.amdhsa_kernarg_size 320
		.amdhsa_user_sgpr_count 6
		.amdhsa_user_sgpr_private_segment_buffer 1
		.amdhsa_user_sgpr_dispatch_ptr 0
		.amdhsa_user_sgpr_queue_ptr 0
		.amdhsa_user_sgpr_kernarg_segment_ptr 1
		.amdhsa_user_sgpr_dispatch_id 0
		.amdhsa_user_sgpr_flat_scratch_init 0
		.amdhsa_user_sgpr_kernarg_preload_length 0
		.amdhsa_user_sgpr_kernarg_preload_offset 0
		.amdhsa_user_sgpr_private_segment_size 0
		.amdhsa_uses_dynamic_stack 0
		.amdhsa_system_sgpr_private_segment_wavefront_offset 0
		.amdhsa_system_sgpr_workgroup_id_x 1
		.amdhsa_system_sgpr_workgroup_id_y 0
		.amdhsa_system_sgpr_workgroup_id_z 1
		.amdhsa_system_sgpr_workgroup_info 0
		.amdhsa_system_vgpr_workitem_id 0
		.amdhsa_next_free_vgpr 9
		.amdhsa_next_free_sgpr 24
		.amdhsa_accum_offset 12
		.amdhsa_reserve_vcc 1
		.amdhsa_reserve_flat_scratch 0
		.amdhsa_float_round_mode_32 0
		.amdhsa_float_round_mode_16_64 0
		.amdhsa_float_denorm_mode_32 3
		.amdhsa_float_denorm_mode_16_64 3
		.amdhsa_dx10_clamp 1
		.amdhsa_ieee_mode 1
		.amdhsa_fp16_overflow 0
		.amdhsa_tg_split 0
		.amdhsa_exception_fp_ieee_invalid_op 0
		.amdhsa_exception_fp_denorm_src 0
		.amdhsa_exception_fp_ieee_div_zero 0
		.amdhsa_exception_fp_ieee_overflow 0
		.amdhsa_exception_fp_ieee_underflow 0
		.amdhsa_exception_fp_ieee_inexact 0
		.amdhsa_exception_int_div_zero 0
	.end_amdhsa_kernel
	.section	.text._ZL24rocblas_dot_kernel_magsqIiLb0ELi512ELi8ELb1EDF16_PKDF16_fEviT5_lT_liPT6_PT4_,"axG",@progbits,_ZL24rocblas_dot_kernel_magsqIiLb0ELi512ELi8ELb1EDF16_PKDF16_fEviT5_lT_liPT6_PT4_,comdat
.Lfunc_end463:
	.size	_ZL24rocblas_dot_kernel_magsqIiLb0ELi512ELi8ELb1EDF16_PKDF16_fEviT5_lT_liPT6_PT4_, .Lfunc_end463-_ZL24rocblas_dot_kernel_magsqIiLb0ELi512ELi8ELb1EDF16_PKDF16_fEviT5_lT_liPT6_PT4_
                                        ; -- End function
	.section	.AMDGPU.csdata,"",@progbits
; Kernel info:
; codeLenInByte = 892
; NumSgprs: 28
; NumVgprs: 9
; NumAgprs: 0
; TotalNumVgprs: 9
; ScratchSize: 0
; MemoryBound: 0
; FloatMode: 240
; IeeeMode: 1
; LDSByteSize: 256 bytes/workgroup (compile time only)
; SGPRBlocks: 3
; VGPRBlocks: 1
; NumSGPRsForWavesPerEU: 28
; NumVGPRsForWavesPerEU: 9
; AccumOffset: 12
; Occupancy: 8
; WaveLimiterHint : 0
; COMPUTE_PGM_RSRC2:SCRATCH_EN: 0
; COMPUTE_PGM_RSRC2:USER_SGPR: 6
; COMPUTE_PGM_RSRC2:TRAP_HANDLER: 0
; COMPUTE_PGM_RSRC2:TGID_X_EN: 1
; COMPUTE_PGM_RSRC2:TGID_Y_EN: 0
; COMPUTE_PGM_RSRC2:TGID_Z_EN: 1
; COMPUTE_PGM_RSRC2:TIDIG_COMP_CNT: 0
; COMPUTE_PGM_RSRC3_GFX90A:ACCUM_OFFSET: 2
; COMPUTE_PGM_RSRC3_GFX90A:TG_SPLIT: 0
	.section	.text._ZL28rocblas_dot_batched_4_kernelIiLi32ELi4ELb1EffPKDF16_EviT5_lT_lS2_lS3_liPT4_,"axG",@progbits,_ZL28rocblas_dot_batched_4_kernelIiLi32ELi4ELb1EffPKDF16_EviT5_lT_lS2_lS3_liPT4_,comdat
	.globl	_ZL28rocblas_dot_batched_4_kernelIiLi32ELi4ELb1EffPKDF16_EviT5_lT_lS2_lS3_liPT4_ ; -- Begin function _ZL28rocblas_dot_batched_4_kernelIiLi32ELi4ELb1EffPKDF16_EviT5_lT_lS2_lS3_liPT4_
	.p2align	8
	.type	_ZL28rocblas_dot_batched_4_kernelIiLi32ELi4ELb1EffPKDF16_EviT5_lT_lS2_lS3_liPT4_,@function
_ZL28rocblas_dot_batched_4_kernelIiLi32ELi4ELb1EffPKDF16_EviT5_lT_lS2_lS3_liPT4_: ; @_ZL28rocblas_dot_batched_4_kernelIiLi32ELi4ELb1EffPKDF16_EviT5_lT_lS2_lS3_liPT4_
; %bb.0:
	s_load_dword s0, s[4:5], 0x48
	v_bfe_u32 v1, v0, 10, 10
	v_lshl_add_u32 v2, s6, 2, v1
	s_waitcnt lgkmcnt(0)
	v_cmp_gt_u32_e32 vcc, s0, v2
	s_and_saveexec_b64 s[0:1], vcc
	s_cbranch_execz .LBB464_7
; %bb.1:
	s_load_dword s10, s[4:5], 0x0
	s_load_dwordx2 s[0:1], s[4:5], 0x50
	v_mov_b32_e32 v3, 0
	v_and_b32_e32 v6, 0x3ff, v0
	v_mov_b32_e32 v7, v3
	s_waitcnt lgkmcnt(0)
	v_cmp_gt_i32_e32 vcc, s10, v6
	s_and_saveexec_b64 s[2:3], vcc
	s_cbranch_execz .LBB464_5
; %bb.2:
	s_load_dwordx4 s[12:15], s[4:5], 0x8
	s_load_dword s6, s[4:5], 0x18
	s_load_dword s8, s[4:5], 0x38
	s_load_dwordx4 s[16:19], s[4:5], 0x20
	s_load_dwordx2 s[20:21], s[4:5], 0x30
	s_load_dwordx2 s[22:23], s[4:5], 0x40
	s_waitcnt lgkmcnt(0)
	v_mad_i64_i32 v[0:1], s[4:5], s6, v6, 0
	v_mad_u64_u32 v[4:5], s[4:5], s16, v2, 0
	v_mov_b32_e32 v8, v5
	v_mad_u64_u32 v[8:9], s[4:5], s17, v2, v[8:9]
	v_mov_b32_e32 v5, v8
	s_ashr_i32 s7, s6, 31
	s_ashr_i32 s9, s8, 31
	v_lshlrev_b64 v[0:1], 1, v[0:1]
	v_lshlrev_b64 v[4:5], 1, v[4:5]
	s_lshl_b64 s[4:5], s[14:15], 1
	v_add_co_u32_e32 v0, vcc, v0, v4
	s_add_u32 s4, s12, s4
	v_addc_co_u32_e32 v1, vcc, v1, v5, vcc
	s_addc_u32 s5, s13, s5
	v_mov_b32_e32 v4, s5
	v_add_co_u32_e32 v0, vcc, s4, v0
	s_lshl_b64 s[4:5], s[6:7], 6
	v_mad_u64_u32 v[8:9], s[6:7], s22, v2, 0
	v_mov_b32_e32 v10, v9
	v_mad_u64_u32 v[10:11], s[6:7], s23, v2, v[10:11]
	v_addc_co_u32_e32 v1, vcc, v4, v1, vcc
	v_mad_i64_i32 v[4:5], s[6:7], s8, v6, 0
	v_mov_b32_e32 v9, v10
	v_lshlrev_b64 v[4:5], 1, v[4:5]
	v_lshlrev_b64 v[8:9], 1, v[8:9]
	s_lshl_b64 s[6:7], s[20:21], 1
	v_add_co_u32_e32 v4, vcc, v4, v8
	s_add_u32 s6, s18, s6
	v_addc_co_u32_e32 v5, vcc, v5, v9, vcc
	s_addc_u32 s7, s19, s7
	v_mov_b32_e32 v7, s7
	v_add_co_u32_e32 v4, vcc, s6, v4
	s_lshl_b64 s[8:9], s[8:9], 6
	v_addc_co_u32_e32 v5, vcc, v7, v5, vcc
	s_mov_b64 s[6:7], 0
	v_mov_b32_e32 v7, 0
	v_mov_b32_e32 v8, s5
	;; [unrolled: 1-line block ×4, first 2 shown]
.LBB464_3:                              ; =>This Inner Loop Header: Depth=1
	global_load_ushort v11, v[0:1], off
	global_load_ushort v12, v[4:5], off
	v_add_co_u32_e32 v0, vcc, s4, v0
	v_addc_co_u32_e32 v1, vcc, v1, v8, vcc
	v_add_co_u32_e32 v4, vcc, s8, v4
	v_add_u32_e32 v10, 32, v10
	v_addc_co_u32_e32 v5, vcc, v5, v9, vcc
	v_cmp_le_i32_e32 vcc, s10, v10
	s_or_b64 s[6:7], vcc, s[6:7]
	s_waitcnt vmcnt(0)
	v_fma_mix_f32 v7, v11, v12, v7 op_sel_hi:[1,1,0]
	s_andn2_b64 exec, exec, s[6:7]
	s_cbranch_execnz .LBB464_3
; %bb.4:
	s_or_b64 exec, exec, s[6:7]
.LBB464_5:
	s_or_b64 exec, exec, s[2:3]
	v_mbcnt_lo_u32_b32 v0, -1, 0
	v_mbcnt_hi_u32_b32 v0, -1, v0
	v_and_b32_e32 v1, 63, v0
	v_cmp_gt_u32_e32 vcc, 48, v1
	v_cndmask_b32_e64 v4, 0, 1, vcc
	v_lshlrev_b32_e32 v4, 4, v4
	v_add_lshl_u32 v4, v4, v0, 2
	ds_bpermute_b32 v4, v4, v7
	v_cmp_gt_u32_e32 vcc, 56, v1
	v_cndmask_b32_e64 v5, 0, 1, vcc
	v_lshlrev_b32_e32 v5, 3, v5
	v_add_lshl_u32 v5, v5, v0, 2
	s_waitcnt lgkmcnt(0)
	v_add_f32_e32 v4, v7, v4
	ds_bpermute_b32 v5, v5, v4
	v_cmp_gt_u32_e32 vcc, 60, v1
	v_cndmask_b32_e64 v7, 0, 1, vcc
	v_lshlrev_b32_e32 v7, 2, v7
	v_cmp_gt_u32_e32 vcc, 62, v1
	s_waitcnt lgkmcnt(0)
	v_add_f32_e32 v4, v4, v5
	v_add_lshl_u32 v5, v7, v0, 2
	ds_bpermute_b32 v5, v5, v4
	v_cndmask_b32_e64 v7, 0, 1, vcc
	v_lshlrev_b32_e32 v7, 1, v7
	v_cmp_ne_u32_e32 vcc, 63, v1
	v_addc_co_u32_e32 v1, vcc, 0, v0, vcc
	s_waitcnt lgkmcnt(0)
	v_add_f32_e32 v4, v4, v5
	v_add_lshl_u32 v5, v7, v0, 2
	ds_bpermute_b32 v5, v5, v4
	v_lshlrev_b32_e32 v1, 2, v1
	v_cmp_eq_u32_e32 vcc, 0, v6
	s_waitcnt lgkmcnt(0)
	s_barrier
	v_add_f32_e32 v0, v4, v5
	ds_bpermute_b32 v1, v1, v0
	s_waitcnt lgkmcnt(0)
	s_and_b64 exec, exec, vcc
	s_cbranch_execz .LBB464_7
; %bb.6:
	v_lshlrev_b64 v[2:3], 2, v[2:3]
	v_mov_b32_e32 v4, s1
	v_add_co_u32_e32 v2, vcc, s0, v2
	v_addc_co_u32_e32 v3, vcc, v4, v3, vcc
	v_add_f32_e32 v0, v0, v1
	global_store_dword v[2:3], v0, off
.LBB464_7:
	s_endpgm
	.section	.rodata,"a",@progbits
	.p2align	6, 0x0
	.amdhsa_kernel _ZL28rocblas_dot_batched_4_kernelIiLi32ELi4ELb1EffPKDF16_EviT5_lT_lS2_lS3_liPT4_
		.amdhsa_group_segment_fixed_size 0
		.amdhsa_private_segment_fixed_size 0
		.amdhsa_kernarg_size 88
		.amdhsa_user_sgpr_count 6
		.amdhsa_user_sgpr_private_segment_buffer 1
		.amdhsa_user_sgpr_dispatch_ptr 0
		.amdhsa_user_sgpr_queue_ptr 0
		.amdhsa_user_sgpr_kernarg_segment_ptr 1
		.amdhsa_user_sgpr_dispatch_id 0
		.amdhsa_user_sgpr_flat_scratch_init 0
		.amdhsa_user_sgpr_kernarg_preload_length 0
		.amdhsa_user_sgpr_kernarg_preload_offset 0
		.amdhsa_user_sgpr_private_segment_size 0
		.amdhsa_uses_dynamic_stack 0
		.amdhsa_system_sgpr_private_segment_wavefront_offset 0
		.amdhsa_system_sgpr_workgroup_id_x 1
		.amdhsa_system_sgpr_workgroup_id_y 0
		.amdhsa_system_sgpr_workgroup_id_z 0
		.amdhsa_system_sgpr_workgroup_info 0
		.amdhsa_system_vgpr_workitem_id 1
		.amdhsa_next_free_vgpr 13
		.amdhsa_next_free_sgpr 24
		.amdhsa_accum_offset 16
		.amdhsa_reserve_vcc 1
		.amdhsa_reserve_flat_scratch 0
		.amdhsa_float_round_mode_32 0
		.amdhsa_float_round_mode_16_64 0
		.amdhsa_float_denorm_mode_32 3
		.amdhsa_float_denorm_mode_16_64 3
		.amdhsa_dx10_clamp 1
		.amdhsa_ieee_mode 1
		.amdhsa_fp16_overflow 0
		.amdhsa_tg_split 0
		.amdhsa_exception_fp_ieee_invalid_op 0
		.amdhsa_exception_fp_denorm_src 0
		.amdhsa_exception_fp_ieee_div_zero 0
		.amdhsa_exception_fp_ieee_overflow 0
		.amdhsa_exception_fp_ieee_underflow 0
		.amdhsa_exception_fp_ieee_inexact 0
		.amdhsa_exception_int_div_zero 0
	.end_amdhsa_kernel
	.section	.text._ZL28rocblas_dot_batched_4_kernelIiLi32ELi4ELb1EffPKDF16_EviT5_lT_lS2_lS3_liPT4_,"axG",@progbits,_ZL28rocblas_dot_batched_4_kernelIiLi32ELi4ELb1EffPKDF16_EviT5_lT_lS2_lS3_liPT4_,comdat
.Lfunc_end464:
	.size	_ZL28rocblas_dot_batched_4_kernelIiLi32ELi4ELb1EffPKDF16_EviT5_lT_lS2_lS3_liPT4_, .Lfunc_end464-_ZL28rocblas_dot_batched_4_kernelIiLi32ELi4ELb1EffPKDF16_EviT5_lT_lS2_lS3_liPT4_
                                        ; -- End function
	.section	.AMDGPU.csdata,"",@progbits
; Kernel info:
; codeLenInByte = 664
; NumSgprs: 28
; NumVgprs: 13
; NumAgprs: 0
; TotalNumVgprs: 13
; ScratchSize: 0
; MemoryBound: 0
; FloatMode: 240
; IeeeMode: 1
; LDSByteSize: 0 bytes/workgroup (compile time only)
; SGPRBlocks: 3
; VGPRBlocks: 1
; NumSGPRsForWavesPerEU: 28
; NumVGPRsForWavesPerEU: 13
; AccumOffset: 16
; Occupancy: 8
; WaveLimiterHint : 0
; COMPUTE_PGM_RSRC2:SCRATCH_EN: 0
; COMPUTE_PGM_RSRC2:USER_SGPR: 6
; COMPUTE_PGM_RSRC2:TRAP_HANDLER: 0
; COMPUTE_PGM_RSRC2:TGID_X_EN: 1
; COMPUTE_PGM_RSRC2:TGID_Y_EN: 0
; COMPUTE_PGM_RSRC2:TGID_Z_EN: 0
; COMPUTE_PGM_RSRC2:TIDIG_COMP_CNT: 1
; COMPUTE_PGM_RSRC3_GFX90A:ACCUM_OFFSET: 3
; COMPUTE_PGM_RSRC3_GFX90A:TG_SPLIT: 0
	.section	.text._ZL28rocblas_dot_batched_4_kernelIiLi64ELi4ELb1EffPKDF16_EviT5_lT_lS2_lS3_liPT4_,"axG",@progbits,_ZL28rocblas_dot_batched_4_kernelIiLi64ELi4ELb1EffPKDF16_EviT5_lT_lS2_lS3_liPT4_,comdat
	.globl	_ZL28rocblas_dot_batched_4_kernelIiLi64ELi4ELb1EffPKDF16_EviT5_lT_lS2_lS3_liPT4_ ; -- Begin function _ZL28rocblas_dot_batched_4_kernelIiLi64ELi4ELb1EffPKDF16_EviT5_lT_lS2_lS3_liPT4_
	.p2align	8
	.type	_ZL28rocblas_dot_batched_4_kernelIiLi64ELi4ELb1EffPKDF16_EviT5_lT_lS2_lS3_liPT4_,@function
_ZL28rocblas_dot_batched_4_kernelIiLi64ELi4ELb1EffPKDF16_EviT5_lT_lS2_lS3_liPT4_: ; @_ZL28rocblas_dot_batched_4_kernelIiLi64ELi4ELb1EffPKDF16_EviT5_lT_lS2_lS3_liPT4_
; %bb.0:
	s_load_dword s0, s[4:5], 0x48
	v_bfe_u32 v1, v0, 10, 10
	v_lshl_add_u32 v2, s6, 2, v1
	s_waitcnt lgkmcnt(0)
	v_cmp_gt_u32_e32 vcc, s0, v2
	s_and_saveexec_b64 s[0:1], vcc
	s_cbranch_execz .LBB465_7
; %bb.1:
	s_load_dword s10, s[4:5], 0x0
	s_load_dwordx2 s[0:1], s[4:5], 0x50
	v_mov_b32_e32 v3, 0
	v_and_b32_e32 v6, 0x3ff, v0
	v_mov_b32_e32 v7, v3
	s_waitcnt lgkmcnt(0)
	v_cmp_gt_i32_e32 vcc, s10, v6
	s_and_saveexec_b64 s[2:3], vcc
	s_cbranch_execz .LBB465_5
; %bb.2:
	s_load_dwordx4 s[12:15], s[4:5], 0x8
	s_load_dword s6, s[4:5], 0x18
	s_load_dword s8, s[4:5], 0x38
	s_load_dwordx4 s[16:19], s[4:5], 0x20
	s_load_dwordx2 s[20:21], s[4:5], 0x30
	s_load_dwordx2 s[22:23], s[4:5], 0x40
	s_waitcnt lgkmcnt(0)
	v_mad_i64_i32 v[0:1], s[4:5], s6, v6, 0
	v_mad_u64_u32 v[4:5], s[4:5], s16, v2, 0
	v_mov_b32_e32 v8, v5
	v_mad_u64_u32 v[8:9], s[4:5], s17, v2, v[8:9]
	v_mov_b32_e32 v5, v8
	s_ashr_i32 s7, s6, 31
	s_ashr_i32 s9, s8, 31
	v_lshlrev_b64 v[0:1], 1, v[0:1]
	v_lshlrev_b64 v[4:5], 1, v[4:5]
	s_lshl_b64 s[4:5], s[14:15], 1
	v_add_co_u32_e32 v0, vcc, v0, v4
	s_add_u32 s4, s12, s4
	v_addc_co_u32_e32 v1, vcc, v1, v5, vcc
	s_addc_u32 s5, s13, s5
	v_mov_b32_e32 v4, s5
	v_add_co_u32_e32 v0, vcc, s4, v0
	s_lshl_b64 s[4:5], s[6:7], 7
	v_mad_u64_u32 v[8:9], s[6:7], s22, v2, 0
	v_mov_b32_e32 v10, v9
	v_mad_u64_u32 v[10:11], s[6:7], s23, v2, v[10:11]
	v_addc_co_u32_e32 v1, vcc, v4, v1, vcc
	v_mad_i64_i32 v[4:5], s[6:7], s8, v6, 0
	v_mov_b32_e32 v9, v10
	v_lshlrev_b64 v[4:5], 1, v[4:5]
	v_lshlrev_b64 v[8:9], 1, v[8:9]
	s_lshl_b64 s[6:7], s[20:21], 1
	v_add_co_u32_e32 v4, vcc, v4, v8
	s_add_u32 s6, s18, s6
	v_addc_co_u32_e32 v5, vcc, v5, v9, vcc
	s_addc_u32 s7, s19, s7
	v_mov_b32_e32 v7, s7
	v_add_co_u32_e32 v4, vcc, s6, v4
	s_lshl_b64 s[8:9], s[8:9], 7
	v_addc_co_u32_e32 v5, vcc, v7, v5, vcc
	s_mov_b64 s[6:7], 0
	v_mov_b32_e32 v7, 0
	v_mov_b32_e32 v8, s5
	;; [unrolled: 1-line block ×4, first 2 shown]
.LBB465_3:                              ; =>This Inner Loop Header: Depth=1
	global_load_ushort v11, v[0:1], off
	global_load_ushort v12, v[4:5], off
	v_add_co_u32_e32 v0, vcc, s4, v0
	v_addc_co_u32_e32 v1, vcc, v1, v8, vcc
	v_add_co_u32_e32 v4, vcc, s8, v4
	v_add_u32_e32 v10, 64, v10
	v_addc_co_u32_e32 v5, vcc, v5, v9, vcc
	v_cmp_le_i32_e32 vcc, s10, v10
	s_or_b64 s[6:7], vcc, s[6:7]
	s_waitcnt vmcnt(0)
	v_fma_mix_f32 v7, v11, v12, v7 op_sel_hi:[1,1,0]
	s_andn2_b64 exec, exec, s[6:7]
	s_cbranch_execnz .LBB465_3
; %bb.4:
	s_or_b64 exec, exec, s[6:7]
.LBB465_5:
	s_or_b64 exec, exec, s[2:3]
	v_mbcnt_lo_u32_b32 v0, -1, 0
	v_mbcnt_hi_u32_b32 v0, -1, v0
	v_and_b32_e32 v1, 63, v0
	v_cmp_gt_u32_e32 vcc, 32, v1
	v_cndmask_b32_e64 v4, 0, 1, vcc
	v_lshlrev_b32_e32 v4, 5, v4
	v_add_lshl_u32 v4, v4, v0, 2
	ds_bpermute_b32 v4, v4, v7
	v_cmp_gt_u32_e32 vcc, 48, v1
	v_cndmask_b32_e64 v5, 0, 1, vcc
	v_lshlrev_b32_e32 v5, 4, v5
	v_add_lshl_u32 v5, v5, v0, 2
	s_waitcnt lgkmcnt(0)
	v_add_f32_e32 v4, v7, v4
	ds_bpermute_b32 v5, v5, v4
	v_cmp_gt_u32_e32 vcc, 56, v1
	v_cndmask_b32_e64 v7, 0, 1, vcc
	v_lshlrev_b32_e32 v7, 3, v7
	v_cmp_gt_u32_e32 vcc, 60, v1
	s_waitcnt lgkmcnt(0)
	v_add_f32_e32 v4, v4, v5
	v_add_lshl_u32 v5, v7, v0, 2
	ds_bpermute_b32 v5, v5, v4
	v_cndmask_b32_e64 v7, 0, 1, vcc
	v_lshlrev_b32_e32 v7, 2, v7
	v_cmp_gt_u32_e32 vcc, 62, v1
	s_waitcnt lgkmcnt(0)
	v_add_f32_e32 v4, v4, v5
	v_add_lshl_u32 v5, v7, v0, 2
	ds_bpermute_b32 v5, v5, v4
	v_cndmask_b32_e64 v7, 0, 1, vcc
	v_lshlrev_b32_e32 v7, 1, v7
	v_cmp_ne_u32_e32 vcc, 63, v1
	v_addc_co_u32_e32 v1, vcc, 0, v0, vcc
	s_waitcnt lgkmcnt(0)
	v_add_f32_e32 v4, v4, v5
	v_add_lshl_u32 v5, v7, v0, 2
	ds_bpermute_b32 v5, v5, v4
	v_lshlrev_b32_e32 v1, 2, v1
	v_cmp_eq_u32_e32 vcc, 0, v6
	s_barrier
	s_waitcnt lgkmcnt(0)
	v_add_f32_e32 v0, v4, v5
	ds_bpermute_b32 v1, v1, v0
	s_and_b64 exec, exec, vcc
	s_cbranch_execz .LBB465_7
; %bb.6:
	v_lshlrev_b64 v[2:3], 2, v[2:3]
	v_mov_b32_e32 v4, s1
	v_add_co_u32_e32 v2, vcc, s0, v2
	v_addc_co_u32_e32 v3, vcc, v4, v3, vcc
	s_waitcnt lgkmcnt(0)
	v_add_f32_e32 v0, v0, v1
	global_store_dword v[2:3], v0, off
.LBB465_7:
	s_endpgm
	.section	.rodata,"a",@progbits
	.p2align	6, 0x0
	.amdhsa_kernel _ZL28rocblas_dot_batched_4_kernelIiLi64ELi4ELb1EffPKDF16_EviT5_lT_lS2_lS3_liPT4_
		.amdhsa_group_segment_fixed_size 0
		.amdhsa_private_segment_fixed_size 0
		.amdhsa_kernarg_size 88
		.amdhsa_user_sgpr_count 6
		.amdhsa_user_sgpr_private_segment_buffer 1
		.amdhsa_user_sgpr_dispatch_ptr 0
		.amdhsa_user_sgpr_queue_ptr 0
		.amdhsa_user_sgpr_kernarg_segment_ptr 1
		.amdhsa_user_sgpr_dispatch_id 0
		.amdhsa_user_sgpr_flat_scratch_init 0
		.amdhsa_user_sgpr_kernarg_preload_length 0
		.amdhsa_user_sgpr_kernarg_preload_offset 0
		.amdhsa_user_sgpr_private_segment_size 0
		.amdhsa_uses_dynamic_stack 0
		.amdhsa_system_sgpr_private_segment_wavefront_offset 0
		.amdhsa_system_sgpr_workgroup_id_x 1
		.amdhsa_system_sgpr_workgroup_id_y 0
		.amdhsa_system_sgpr_workgroup_id_z 0
		.amdhsa_system_sgpr_workgroup_info 0
		.amdhsa_system_vgpr_workitem_id 1
		.amdhsa_next_free_vgpr 13
		.amdhsa_next_free_sgpr 24
		.amdhsa_accum_offset 16
		.amdhsa_reserve_vcc 1
		.amdhsa_reserve_flat_scratch 0
		.amdhsa_float_round_mode_32 0
		.amdhsa_float_round_mode_16_64 0
		.amdhsa_float_denorm_mode_32 3
		.amdhsa_float_denorm_mode_16_64 3
		.amdhsa_dx10_clamp 1
		.amdhsa_ieee_mode 1
		.amdhsa_fp16_overflow 0
		.amdhsa_tg_split 0
		.amdhsa_exception_fp_ieee_invalid_op 0
		.amdhsa_exception_fp_denorm_src 0
		.amdhsa_exception_fp_ieee_div_zero 0
		.amdhsa_exception_fp_ieee_overflow 0
		.amdhsa_exception_fp_ieee_underflow 0
		.amdhsa_exception_fp_ieee_inexact 0
		.amdhsa_exception_int_div_zero 0
	.end_amdhsa_kernel
	.section	.text._ZL28rocblas_dot_batched_4_kernelIiLi64ELi4ELb1EffPKDF16_EviT5_lT_lS2_lS3_liPT4_,"axG",@progbits,_ZL28rocblas_dot_batched_4_kernelIiLi64ELi4ELb1EffPKDF16_EviT5_lT_lS2_lS3_liPT4_,comdat
.Lfunc_end465:
	.size	_ZL28rocblas_dot_batched_4_kernelIiLi64ELi4ELb1EffPKDF16_EviT5_lT_lS2_lS3_liPT4_, .Lfunc_end465-_ZL28rocblas_dot_batched_4_kernelIiLi64ELi4ELb1EffPKDF16_EviT5_lT_lS2_lS3_liPT4_
                                        ; -- End function
	.section	.AMDGPU.csdata,"",@progbits
; Kernel info:
; codeLenInByte = 704
; NumSgprs: 28
; NumVgprs: 13
; NumAgprs: 0
; TotalNumVgprs: 13
; ScratchSize: 0
; MemoryBound: 0
; FloatMode: 240
; IeeeMode: 1
; LDSByteSize: 0 bytes/workgroup (compile time only)
; SGPRBlocks: 3
; VGPRBlocks: 1
; NumSGPRsForWavesPerEU: 28
; NumVGPRsForWavesPerEU: 13
; AccumOffset: 16
; Occupancy: 8
; WaveLimiterHint : 0
; COMPUTE_PGM_RSRC2:SCRATCH_EN: 0
; COMPUTE_PGM_RSRC2:USER_SGPR: 6
; COMPUTE_PGM_RSRC2:TRAP_HANDLER: 0
; COMPUTE_PGM_RSRC2:TGID_X_EN: 1
; COMPUTE_PGM_RSRC2:TGID_Y_EN: 0
; COMPUTE_PGM_RSRC2:TGID_Z_EN: 0
; COMPUTE_PGM_RSRC2:TIDIG_COMP_CNT: 1
; COMPUTE_PGM_RSRC3_GFX90A:ACCUM_OFFSET: 3
; COMPUTE_PGM_RSRC3_GFX90A:TG_SPLIT: 0
	.section	.text._ZL18rocblas_dot_kernelIiLb1ELi1024ELi32ELb1EfPKDF16_fEviT5_lT_lS2_lS3_liPT6_PT4_,"axG",@progbits,_ZL18rocblas_dot_kernelIiLb1ELi1024ELi32ELb1EfPKDF16_fEviT5_lT_lS2_lS3_liPT6_PT4_,comdat
	.globl	_ZL18rocblas_dot_kernelIiLb1ELi1024ELi32ELb1EfPKDF16_fEviT5_lT_lS2_lS3_liPT6_PT4_ ; -- Begin function _ZL18rocblas_dot_kernelIiLb1ELi1024ELi32ELb1EfPKDF16_fEviT5_lT_lS2_lS3_liPT6_PT4_
	.p2align	8
	.type	_ZL18rocblas_dot_kernelIiLb1ELi1024ELi32ELb1EfPKDF16_fEviT5_lT_lS2_lS3_liPT6_PT4_,@function
_ZL18rocblas_dot_kernelIiLb1ELi1024ELi32ELb1EfPKDF16_fEviT5_lT_lS2_lS3_liPT6_PT4_: ; @_ZL18rocblas_dot_kernelIiLb1ELi1024ELi32ELb1EfPKDF16_fEviT5_lT_lS2_lS3_liPT6_PT4_
; %bb.0:
	s_load_dword s14, s[4:5], 0x0
	s_load_dwordx2 s[8:9], s[4:5], 0x58
	s_mov_b32 s6, s7
	s_mov_b32 s7, 0
	v_mov_b32_e32 v6, 0
	s_waitcnt lgkmcnt(0)
	v_cmp_gt_i32_e32 vcc, s14, v0
	s_and_saveexec_b64 s[10:11], vcc
	s_cbranch_execz .LBB466_4
; %bb.1:
	s_load_dword s22, s[4:5], 0x38
	s_load_dwordx2 s[12:13], s[4:5], 0x40
	s_load_dword s15, s[4:5], 0x60
	s_load_dwordx4 s[0:3], s[4:5], 0x20
	s_load_dwordx4 s[16:19], s[4:5], 0x8
	s_load_dword s23, s[4:5], 0x18
	s_load_dwordx2 s[20:21], s[4:5], 0x30
	s_waitcnt lgkmcnt(0)
	s_lshl_b32 s15, s15, 10
	s_mul_i32 s1, s1, s6
	s_mul_hi_u32 s4, s0, s6
	s_add_i32 s1, s4, s1
	s_mul_i32 s0, s0, s6
	v_mad_i64_i32 v[2:3], s[4:5], s23, v0, 0
	s_lshl_b64 s[0:1], s[0:1], 1
	s_lshl_b64 s[4:5], s[18:19], 1
	s_add_u32 s4, s16, s4
	s_addc_u32 s5, s17, s5
	s_add_u32 s0, s4, s0
	v_lshlrev_b64 v[2:3], 1, v[2:3]
	s_addc_u32 s1, s5, s1
	v_mov_b32_e32 v4, s1
	v_add_co_u32_e32 v2, vcc, s0, v2
	s_mul_hi_i32 s1, s23, s15
	s_mul_i32 s0, s23, s15
	s_lshl_b64 s[4:5], s[0:1], 1
	s_mul_i32 s0, s13, s6
	s_mul_hi_u32 s1, s12, s6
	v_addc_co_u32_e32 v3, vcc, v4, v3, vcc
	s_add_i32 s1, s1, s0
	s_mul_i32 s0, s12, s6
	v_mad_i64_i32 v[4:5], s[12:13], s22, v0, 0
	s_lshl_b64 s[0:1], s[0:1], 1
	s_lshl_b64 s[12:13], s[20:21], 1
	s_add_u32 s2, s2, s12
	s_addc_u32 s3, s3, s13
	s_add_u32 s0, s2, s0
	v_lshlrev_b64 v[4:5], 1, v[4:5]
	s_addc_u32 s1, s3, s1
	v_mov_b32_e32 v6, s1
	v_add_co_u32_e32 v4, vcc, s0, v4
	s_mul_hi_i32 s1, s22, s15
	s_mul_i32 s0, s22, s15
	s_lshl_b64 s[12:13], s[0:1], 1
	v_or_b32_e32 v1, s15, v0
	v_addc_co_u32_e32 v5, vcc, v6, v5, vcc
	s_mov_b64 s[2:3], 0
	v_mov_b32_e32 v6, 0
	v_mov_b32_e32 v7, s5
	;; [unrolled: 1-line block ×3, first 2 shown]
	s_mov_b32 s5, s7
.LBB466_2:                              ; =>This Inner Loop Header: Depth=1
	global_load_ushort v9, v[4:5], off
	global_load_ushort v10, v[2:3], off
	v_add_co_u32_e64 v2, s[0:1], s4, v2
	v_addc_co_u32_e64 v3, s[0:1], v3, v7, s[0:1]
	s_add_i32 s13, s5, 1
	v_add_co_u32_e64 v4, s[0:1], s12, v4
	v_addc_co_u32_e64 v5, s[0:1], v5, v8, s[0:1]
	s_cmp_gt_u32 s5, 30
	v_cmp_le_i32_e32 vcc, s14, v1
	s_cselect_b64 s[0:1], -1, 0
	s_or_b64 s[0:1], s[0:1], vcc
	s_and_b64 s[0:1], exec, s[0:1]
	v_add_u32_e32 v1, s15, v1
	s_mov_b32 s5, s13
	s_or_b64 s[2:3], s[0:1], s[2:3]
	s_waitcnt vmcnt(0)
	v_fma_mix_f32 v6, v9, v10, v6 op_sel_hi:[1,1,0]
	s_andn2_b64 exec, exec, s[2:3]
	s_cbranch_execnz .LBB466_2
; %bb.3:
	s_or_b64 exec, exec, s[2:3]
.LBB466_4:
	s_or_b64 exec, exec, s[10:11]
	v_and_b32_e32 v2, 63, v0
	v_cmp_gt_u32_e32 vcc, 64, v0
	v_lshlrev_b32_e32 v1, 2, v2
	s_and_saveexec_b64 s[0:1], vcc
	s_cbranch_execz .LBB466_6
; %bb.5:
	v_mov_b32_e32 v3, 0
	ds_write_b32 v1, v3
.LBB466_6:
	s_or_b64 exec, exec, s[0:1]
	v_mbcnt_lo_u32_b32 v3, -1, 0
	v_mbcnt_hi_u32_b32 v7, -1, v3
	v_and_b32_e32 v8, 63, v7
	v_cmp_gt_u32_e64 s[0:1], 32, v8
	v_cndmask_b32_e64 v3, 0, 1, s[0:1]
	v_lshlrev_b32_e32 v3, 5, v3
	v_add_lshl_u32 v3, v3, v7, 2
	ds_bpermute_b32 v3, v3, v6
	v_cmp_gt_u32_e64 s[0:1], 48, v8
	v_cndmask_b32_e64 v4, 0, 1, s[0:1]
	v_lshlrev_b32_e32 v4, 4, v4
	v_add_lshl_u32 v4, v4, v7, 2
	s_waitcnt lgkmcnt(0)
	v_add_f32_e32 v3, v6, v3
	ds_bpermute_b32 v4, v4, v3
	v_cmp_gt_u32_e64 s[0:1], 56, v8
	v_cndmask_b32_e64 v5, 0, 1, s[0:1]
	v_lshlrev_b32_e32 v5, 3, v5
	v_cmp_gt_u32_e64 s[0:1], 60, v8
	s_waitcnt lgkmcnt(0)
	v_add_f32_e32 v4, v3, v4
	v_add_lshl_u32 v3, v5, v7, 2
	ds_bpermute_b32 v5, v3, v4
	v_cndmask_b32_e64 v6, 0, 1, s[0:1]
	v_lshlrev_b32_e32 v6, 2, v6
	v_cmp_gt_u32_e64 s[0:1], 62, v8
	v_cndmask_b32_e64 v9, 0, 1, s[0:1]
	s_waitcnt lgkmcnt(0)
	v_add_f32_e32 v5, v4, v5
	v_add_lshl_u32 v4, v6, v7, 2
	ds_bpermute_b32 v6, v4, v5
	v_lshlrev_b32_e32 v9, 1, v9
	v_cmp_ne_u32_e64 s[0:1], 63, v8
	v_addc_co_u32_e64 v8, s[0:1], 0, v7, s[0:1]
	s_waitcnt lgkmcnt(0)
	v_add_f32_e32 v6, v5, v6
	v_add_lshl_u32 v5, v9, v7, 2
	ds_bpermute_b32 v9, v5, v6
	v_cmp_eq_u32_e64 s[0:1], 0, v2
	s_waitcnt lgkmcnt(0)
	s_barrier
	v_add_f32_e32 v7, v6, v9
	v_lshlrev_b32_e32 v6, 2, v8
	ds_bpermute_b32 v8, v6, v7
	s_and_saveexec_b64 s[2:3], s[0:1]
	s_cbranch_execz .LBB466_8
; %bb.7:
	s_waitcnt lgkmcnt(0)
	v_add_f32_e32 v2, v7, v8
	v_lshrrev_b32_e32 v7, 4, v0
	v_and_b32_e32 v7, 60, v7
	ds_write_b32 v7, v2
.LBB466_8:
	s_or_b64 exec, exec, s[2:3]
	v_cmp_gt_u32_e64 s[0:1], 16, v0
	v_mov_b32_e32 v2, 0
	s_waitcnt lgkmcnt(0)
	s_barrier
	s_and_saveexec_b64 s[2:3], s[0:1]
	s_cbranch_execnz .LBB466_12
; %bb.9:
	s_or_b64 exec, exec, s[2:3]
	s_and_saveexec_b64 s[0:1], vcc
	s_cbranch_execnz .LBB466_13
.LBB466_10:
	s_or_b64 exec, exec, s[0:1]
	v_cmp_eq_u32_e32 vcc, 0, v0
	s_and_saveexec_b64 s[0:1], vcc
	s_cbranch_execnz .LBB466_14
.LBB466_11:
	s_endpgm
.LBB466_12:
	ds_read_b32 v2, v1
	s_or_b64 exec, exec, s[2:3]
	s_and_saveexec_b64 s[0:1], vcc
	s_cbranch_execz .LBB466_10
.LBB466_13:
	s_waitcnt lgkmcnt(0)
	ds_bpermute_b32 v1, v3, v2
	s_waitcnt lgkmcnt(0)
	v_add_f32_e32 v1, v2, v1
	ds_bpermute_b32 v2, v4, v1
	s_waitcnt lgkmcnt(0)
	v_add_f32_e32 v1, v1, v2
	;; [unrolled: 3-line block ×4, first 2 shown]
	s_or_b64 exec, exec, s[0:1]
	v_cmp_eq_u32_e32 vcc, 0, v0
	s_and_saveexec_b64 s[0:1], vcc
	s_cbranch_execz .LBB466_11
.LBB466_14:
	s_lshl_b64 s[0:1], s[6:7], 2
	s_add_u32 s0, s8, s0
	s_addc_u32 s1, s9, s1
	v_mov_b32_e32 v0, 0
	s_waitcnt lgkmcnt(0)
	global_store_dword v0, v2, s[0:1]
	s_endpgm
	.section	.rodata,"a",@progbits
	.p2align	6, 0x0
	.amdhsa_kernel _ZL18rocblas_dot_kernelIiLb1ELi1024ELi32ELb1EfPKDF16_fEviT5_lT_lS2_lS3_liPT6_PT4_
		.amdhsa_group_segment_fixed_size 256
		.amdhsa_private_segment_fixed_size 0
		.amdhsa_kernarg_size 352
		.amdhsa_user_sgpr_count 6
		.amdhsa_user_sgpr_private_segment_buffer 1
		.amdhsa_user_sgpr_dispatch_ptr 0
		.amdhsa_user_sgpr_queue_ptr 0
		.amdhsa_user_sgpr_kernarg_segment_ptr 1
		.amdhsa_user_sgpr_dispatch_id 0
		.amdhsa_user_sgpr_flat_scratch_init 0
		.amdhsa_user_sgpr_kernarg_preload_length 0
		.amdhsa_user_sgpr_kernarg_preload_offset 0
		.amdhsa_user_sgpr_private_segment_size 0
		.amdhsa_uses_dynamic_stack 0
		.amdhsa_system_sgpr_private_segment_wavefront_offset 0
		.amdhsa_system_sgpr_workgroup_id_x 1
		.amdhsa_system_sgpr_workgroup_id_y 0
		.amdhsa_system_sgpr_workgroup_id_z 1
		.amdhsa_system_sgpr_workgroup_info 0
		.amdhsa_system_vgpr_workitem_id 0
		.amdhsa_next_free_vgpr 11
		.amdhsa_next_free_sgpr 24
		.amdhsa_accum_offset 12
		.amdhsa_reserve_vcc 1
		.amdhsa_reserve_flat_scratch 0
		.amdhsa_float_round_mode_32 0
		.amdhsa_float_round_mode_16_64 0
		.amdhsa_float_denorm_mode_32 3
		.amdhsa_float_denorm_mode_16_64 3
		.amdhsa_dx10_clamp 1
		.amdhsa_ieee_mode 1
		.amdhsa_fp16_overflow 0
		.amdhsa_tg_split 0
		.amdhsa_exception_fp_ieee_invalid_op 0
		.amdhsa_exception_fp_denorm_src 0
		.amdhsa_exception_fp_ieee_div_zero 0
		.amdhsa_exception_fp_ieee_overflow 0
		.amdhsa_exception_fp_ieee_underflow 0
		.amdhsa_exception_fp_ieee_inexact 0
		.amdhsa_exception_int_div_zero 0
	.end_amdhsa_kernel
	.section	.text._ZL18rocblas_dot_kernelIiLb1ELi1024ELi32ELb1EfPKDF16_fEviT5_lT_lS2_lS3_liPT6_PT4_,"axG",@progbits,_ZL18rocblas_dot_kernelIiLb1ELi1024ELi32ELb1EfPKDF16_fEviT5_lT_lS2_lS3_liPT6_PT4_,comdat
.Lfunc_end466:
	.size	_ZL18rocblas_dot_kernelIiLb1ELi1024ELi32ELb1EfPKDF16_fEviT5_lT_lS2_lS3_liPT6_PT4_, .Lfunc_end466-_ZL18rocblas_dot_kernelIiLb1ELi1024ELi32ELb1EfPKDF16_fEviT5_lT_lS2_lS3_liPT6_PT4_
                                        ; -- End function
	.section	.AMDGPU.csdata,"",@progbits
; Kernel info:
; codeLenInByte = 952
; NumSgprs: 28
; NumVgprs: 11
; NumAgprs: 0
; TotalNumVgprs: 11
; ScratchSize: 0
; MemoryBound: 0
; FloatMode: 240
; IeeeMode: 1
; LDSByteSize: 256 bytes/workgroup (compile time only)
; SGPRBlocks: 3
; VGPRBlocks: 1
; NumSGPRsForWavesPerEU: 28
; NumVGPRsForWavesPerEU: 11
; AccumOffset: 12
; Occupancy: 8
; WaveLimiterHint : 0
; COMPUTE_PGM_RSRC2:SCRATCH_EN: 0
; COMPUTE_PGM_RSRC2:USER_SGPR: 6
; COMPUTE_PGM_RSRC2:TRAP_HANDLER: 0
; COMPUTE_PGM_RSRC2:TGID_X_EN: 1
; COMPUTE_PGM_RSRC2:TGID_Y_EN: 0
; COMPUTE_PGM_RSRC2:TGID_Z_EN: 1
; COMPUTE_PGM_RSRC2:TIDIG_COMP_CNT: 0
; COMPUTE_PGM_RSRC3_GFX90A:ACCUM_OFFSET: 2
; COMPUTE_PGM_RSRC3_GFX90A:TG_SPLIT: 0
	.section	.text._ZL24rocblas_dot_kernel_magsqIiLb1ELi1024ELi32ELb1EfPKDF16_fEviT5_lT_liPT6_PT4_,"axG",@progbits,_ZL24rocblas_dot_kernel_magsqIiLb1ELi1024ELi32ELb1EfPKDF16_fEviT5_lT_liPT6_PT4_,comdat
	.globl	_ZL24rocblas_dot_kernel_magsqIiLb1ELi1024ELi32ELb1EfPKDF16_fEviT5_lT_liPT6_PT4_ ; -- Begin function _ZL24rocblas_dot_kernel_magsqIiLb1ELi1024ELi32ELb1EfPKDF16_fEviT5_lT_liPT6_PT4_
	.p2align	8
	.type	_ZL24rocblas_dot_kernel_magsqIiLb1ELi1024ELi32ELb1EfPKDF16_fEviT5_lT_liPT6_PT4_,@function
_ZL24rocblas_dot_kernel_magsqIiLb1ELi1024ELi32ELb1EfPKDF16_fEviT5_lT_liPT6_PT4_: ; @_ZL24rocblas_dot_kernel_magsqIiLb1ELi1024ELi32ELb1EfPKDF16_fEviT5_lT_liPT6_PT4_
; %bb.0:
	s_mov_b32 s2, s7
	s_load_dword s12, s[4:5], 0x0
	s_load_dwordx2 s[6:7], s[4:5], 0x38
	s_mov_b32 s3, 0
	v_mov_b32_e32 v1, 0
	s_waitcnt lgkmcnt(0)
	v_cmp_gt_i32_e32 vcc, s12, v0
	s_and_saveexec_b64 s[8:9], vcc
	s_cbranch_execz .LBB467_4
; %bb.1:
	s_load_dword s10, s[4:5], 0x40
	s_load_dwordx2 s[0:1], s[4:5], 0x20
	s_load_dwordx4 s[16:19], s[4:5], 0x8
	s_load_dword s11, s[4:5], 0x18
	s_waitcnt lgkmcnt(0)
	s_lshl_b32 s13, s10, 10
	s_mul_i32 s1, s1, s2
	s_mul_hi_u32 s4, s0, s2
	s_add_i32 s1, s4, s1
	s_mul_i32 s0, s0, s2
	v_mad_i64_i32 v[2:3], s[4:5], s11, v0, 0
	s_lshl_b64 s[0:1], s[0:1], 1
	s_lshl_b64 s[4:5], s[18:19], 1
	s_add_u32 s4, s16, s4
	s_addc_u32 s5, s17, s5
	s_add_u32 s0, s4, s0
	v_lshlrev_b64 v[2:3], 1, v[2:3]
	s_addc_u32 s1, s5, s1
	v_mov_b32_e32 v1, s1
	v_add_co_u32_e32 v2, vcc, s0, v2
	s_mul_hi_i32 s1, s11, s13
	s_mul_i32 s0, s11, s13
	s_lshl_b64 s[10:11], s[0:1], 1
	v_or_b32_e32 v4, s13, v0
	v_addc_co_u32_e32 v3, vcc, v1, v3, vcc
	s_mov_b64 s[4:5], 0
	v_mov_b32_e32 v1, 0
	v_mov_b32_e32 v5, s11
	s_mov_b32 s11, s3
.LBB467_2:                              ; =>This Inner Loop Header: Depth=1
	global_load_ushort v6, v[2:3], off
	s_add_i32 s14, s11, 1
	v_add_co_u32_e64 v2, s[0:1], s10, v2
	v_addc_co_u32_e64 v3, s[0:1], v3, v5, s[0:1]
	s_cmp_gt_u32 s11, 30
	v_cmp_le_i32_e32 vcc, s12, v4
	s_cselect_b64 s[0:1], -1, 0
	s_or_b64 s[0:1], s[0:1], vcc
	s_and_b64 s[0:1], exec, s[0:1]
	v_add_u32_e32 v4, s13, v4
	s_mov_b32 s11, s14
	s_or_b64 s[4:5], s[0:1], s[4:5]
	s_waitcnt vmcnt(0)
	v_fma_mix_f32 v1, v6, v6, v1 op_sel_hi:[1,1,0]
	s_andn2_b64 exec, exec, s[4:5]
	s_cbranch_execnz .LBB467_2
; %bb.3:
	s_or_b64 exec, exec, s[4:5]
.LBB467_4:
	s_or_b64 exec, exec, s[8:9]
	v_and_b32_e32 v3, 63, v0
	v_cmp_gt_u32_e32 vcc, 64, v0
	v_lshlrev_b32_e32 v2, 2, v3
	s_and_saveexec_b64 s[0:1], vcc
	s_cbranch_execz .LBB467_6
; %bb.5:
	v_mov_b32_e32 v4, 0
	ds_write_b32 v2, v4
.LBB467_6:
	s_or_b64 exec, exec, s[0:1]
	v_mbcnt_lo_u32_b32 v4, -1, 0
	v_mbcnt_hi_u32_b32 v6, -1, v4
	v_and_b32_e32 v7, 63, v6
	v_cmp_gt_u32_e64 s[0:1], 32, v7
	v_cndmask_b32_e64 v4, 0, 1, s[0:1]
	v_lshlrev_b32_e32 v4, 5, v4
	v_add_lshl_u32 v4, v4, v6, 2
	ds_bpermute_b32 v4, v4, v1
	v_cmp_gt_u32_e64 s[0:1], 48, v7
	v_cndmask_b32_e64 v5, 0, 1, s[0:1]
	v_lshlrev_b32_e32 v5, 4, v5
	v_cmp_gt_u32_e64 s[0:1], 56, v7
	s_waitcnt lgkmcnt(0)
	v_add_f32_e32 v1, v1, v4
	v_add_lshl_u32 v4, v5, v6, 2
	ds_bpermute_b32 v4, v4, v1
	v_cndmask_b32_e64 v5, 0, 1, s[0:1]
	v_lshlrev_b32_e32 v5, 3, v5
	v_cmp_gt_u32_e64 s[0:1], 60, v7
	v_cndmask_b32_e64 v8, 0, 1, s[0:1]
	s_waitcnt lgkmcnt(0)
	v_add_f32_e32 v4, v1, v4
	v_add_lshl_u32 v1, v5, v6, 2
	ds_bpermute_b32 v5, v1, v4
	v_lshlrev_b32_e32 v8, 2, v8
	v_cmp_gt_u32_e64 s[0:1], 62, v7
	v_cndmask_b32_e64 v9, 0, 1, s[0:1]
	v_lshlrev_b32_e32 v9, 1, v9
	s_waitcnt lgkmcnt(0)
	v_add_f32_e32 v5, v4, v5
	v_add_lshl_u32 v4, v8, v6, 2
	ds_bpermute_b32 v8, v4, v5
	v_cmp_ne_u32_e64 s[0:1], 63, v7
	s_waitcnt lgkmcnt(0)
	s_barrier
	v_add_f32_e32 v8, v5, v8
	v_add_lshl_u32 v5, v9, v6, 2
	ds_bpermute_b32 v9, v5, v8
	v_addc_co_u32_e64 v6, s[0:1], 0, v6, s[0:1]
	v_lshlrev_b32_e32 v6, 2, v6
	v_cmp_eq_u32_e64 s[0:1], 0, v3
	s_waitcnt lgkmcnt(0)
	v_add_f32_e32 v7, v8, v9
	ds_bpermute_b32 v8, v6, v7
	s_and_saveexec_b64 s[4:5], s[0:1]
	s_cbranch_execz .LBB467_8
; %bb.7:
	s_waitcnt lgkmcnt(0)
	v_add_f32_e32 v3, v7, v8
	v_lshrrev_b32_e32 v7, 4, v0
	v_and_b32_e32 v7, 60, v7
	ds_write_b32 v7, v3
.LBB467_8:
	s_or_b64 exec, exec, s[4:5]
	v_cmp_gt_u32_e64 s[0:1], 16, v0
	v_mov_b32_e32 v3, 0
	s_waitcnt lgkmcnt(0)
	s_barrier
	s_and_saveexec_b64 s[4:5], s[0:1]
	s_cbranch_execnz .LBB467_12
; %bb.9:
	s_or_b64 exec, exec, s[4:5]
	s_and_saveexec_b64 s[0:1], vcc
	s_cbranch_execnz .LBB467_13
.LBB467_10:
	s_or_b64 exec, exec, s[0:1]
	v_cmp_eq_u32_e32 vcc, 0, v0
	s_and_saveexec_b64 s[0:1], vcc
	s_cbranch_execnz .LBB467_14
.LBB467_11:
	s_endpgm
.LBB467_12:
	ds_read_b32 v3, v2
	s_or_b64 exec, exec, s[4:5]
	s_and_saveexec_b64 s[0:1], vcc
	s_cbranch_execz .LBB467_10
.LBB467_13:
	s_waitcnt lgkmcnt(0)
	ds_bpermute_b32 v1, v1, v3
	s_waitcnt lgkmcnt(0)
	v_add_f32_e32 v1, v3, v1
	ds_bpermute_b32 v2, v4, v1
	s_waitcnt lgkmcnt(0)
	v_add_f32_e32 v1, v1, v2
	;; [unrolled: 3-line block ×4, first 2 shown]
	s_or_b64 exec, exec, s[0:1]
	v_cmp_eq_u32_e32 vcc, 0, v0
	s_and_saveexec_b64 s[0:1], vcc
	s_cbranch_execz .LBB467_11
.LBB467_14:
	s_lshl_b64 s[0:1], s[2:3], 2
	s_add_u32 s0, s6, s0
	s_addc_u32 s1, s7, s1
	v_mov_b32_e32 v0, 0
	s_waitcnt lgkmcnt(0)
	global_store_dword v0, v3, s[0:1]
	s_endpgm
	.section	.rodata,"a",@progbits
	.p2align	6, 0x0
	.amdhsa_kernel _ZL24rocblas_dot_kernel_magsqIiLb1ELi1024ELi32ELb1EfPKDF16_fEviT5_lT_liPT6_PT4_
		.amdhsa_group_segment_fixed_size 256
		.amdhsa_private_segment_fixed_size 0
		.amdhsa_kernarg_size 320
		.amdhsa_user_sgpr_count 6
		.amdhsa_user_sgpr_private_segment_buffer 1
		.amdhsa_user_sgpr_dispatch_ptr 0
		.amdhsa_user_sgpr_queue_ptr 0
		.amdhsa_user_sgpr_kernarg_segment_ptr 1
		.amdhsa_user_sgpr_dispatch_id 0
		.amdhsa_user_sgpr_flat_scratch_init 0
		.amdhsa_user_sgpr_kernarg_preload_length 0
		.amdhsa_user_sgpr_kernarg_preload_offset 0
		.amdhsa_user_sgpr_private_segment_size 0
		.amdhsa_uses_dynamic_stack 0
		.amdhsa_system_sgpr_private_segment_wavefront_offset 0
		.amdhsa_system_sgpr_workgroup_id_x 1
		.amdhsa_system_sgpr_workgroup_id_y 0
		.amdhsa_system_sgpr_workgroup_id_z 1
		.amdhsa_system_sgpr_workgroup_info 0
		.amdhsa_system_vgpr_workitem_id 0
		.amdhsa_next_free_vgpr 10
		.amdhsa_next_free_sgpr 20
		.amdhsa_accum_offset 12
		.amdhsa_reserve_vcc 1
		.amdhsa_reserve_flat_scratch 0
		.amdhsa_float_round_mode_32 0
		.amdhsa_float_round_mode_16_64 0
		.amdhsa_float_denorm_mode_32 3
		.amdhsa_float_denorm_mode_16_64 3
		.amdhsa_dx10_clamp 1
		.amdhsa_ieee_mode 1
		.amdhsa_fp16_overflow 0
		.amdhsa_tg_split 0
		.amdhsa_exception_fp_ieee_invalid_op 0
		.amdhsa_exception_fp_denorm_src 0
		.amdhsa_exception_fp_ieee_div_zero 0
		.amdhsa_exception_fp_ieee_overflow 0
		.amdhsa_exception_fp_ieee_underflow 0
		.amdhsa_exception_fp_ieee_inexact 0
		.amdhsa_exception_int_div_zero 0
	.end_amdhsa_kernel
	.section	.text._ZL24rocblas_dot_kernel_magsqIiLb1ELi1024ELi32ELb1EfPKDF16_fEviT5_lT_liPT6_PT4_,"axG",@progbits,_ZL24rocblas_dot_kernel_magsqIiLb1ELi1024ELi32ELb1EfPKDF16_fEviT5_lT_liPT6_PT4_,comdat
.Lfunc_end467:
	.size	_ZL24rocblas_dot_kernel_magsqIiLb1ELi1024ELi32ELb1EfPKDF16_fEviT5_lT_liPT6_PT4_, .Lfunc_end467-_ZL24rocblas_dot_kernel_magsqIiLb1ELi1024ELi32ELb1EfPKDF16_fEviT5_lT_liPT6_PT4_
                                        ; -- End function
	.section	.AMDGPU.csdata,"",@progbits
; Kernel info:
; codeLenInByte = 820
; NumSgprs: 24
; NumVgprs: 10
; NumAgprs: 0
; TotalNumVgprs: 10
; ScratchSize: 0
; MemoryBound: 0
; FloatMode: 240
; IeeeMode: 1
; LDSByteSize: 256 bytes/workgroup (compile time only)
; SGPRBlocks: 2
; VGPRBlocks: 1
; NumSGPRsForWavesPerEU: 24
; NumVGPRsForWavesPerEU: 10
; AccumOffset: 12
; Occupancy: 8
; WaveLimiterHint : 0
; COMPUTE_PGM_RSRC2:SCRATCH_EN: 0
; COMPUTE_PGM_RSRC2:USER_SGPR: 6
; COMPUTE_PGM_RSRC2:TRAP_HANDLER: 0
; COMPUTE_PGM_RSRC2:TGID_X_EN: 1
; COMPUTE_PGM_RSRC2:TGID_Y_EN: 0
; COMPUTE_PGM_RSRC2:TGID_Z_EN: 1
; COMPUTE_PGM_RSRC2:TIDIG_COMP_CNT: 0
; COMPUTE_PGM_RSRC3_GFX90A:ACCUM_OFFSET: 2
; COMPUTE_PGM_RSRC3_GFX90A:TG_SPLIT: 0
	.section	.text._ZL18rocblas_dot_kernelIiLb0ELi512ELi4ELb1EfPKDF16_fEviT5_lT_lS2_lS3_liPT6_PT4_,"axG",@progbits,_ZL18rocblas_dot_kernelIiLb0ELi512ELi4ELb1EfPKDF16_fEviT5_lT_lS2_lS3_liPT6_PT4_,comdat
	.globl	_ZL18rocblas_dot_kernelIiLb0ELi512ELi4ELb1EfPKDF16_fEviT5_lT_lS2_lS3_liPT6_PT4_ ; -- Begin function _ZL18rocblas_dot_kernelIiLb0ELi512ELi4ELb1EfPKDF16_fEviT5_lT_lS2_lS3_liPT6_PT4_
	.p2align	8
	.type	_ZL18rocblas_dot_kernelIiLb0ELi512ELi4ELb1EfPKDF16_fEviT5_lT_lS2_lS3_liPT6_PT4_,@function
_ZL18rocblas_dot_kernelIiLb0ELi512ELi4ELb1EfPKDF16_fEviT5_lT_lS2_lS3_liPT6_PT4_: ; @_ZL18rocblas_dot_kernelIiLb0ELi512ELi4ELb1EfPKDF16_fEviT5_lT_lS2_lS3_liPT6_PT4_
; %bb.0:
	s_mov_b32 s12, s7
	s_load_dword s18, s[4:5], 0x60
	s_load_dword s7, s[4:5], 0x0
	s_load_dwordx4 s[8:11], s[4:5], 0x50
	v_lshl_or_b32 v4, s6, 9, v0
	s_mov_b32 s13, 0
	v_mov_b32_e32 v6, 0
	s_waitcnt lgkmcnt(0)
	v_cmp_gt_i32_e32 vcc, s7, v4
	s_and_saveexec_b64 s[14:15], vcc
	s_cbranch_execz .LBB468_4
; %bb.1:
	s_load_dwordx4 s[20:23], s[4:5], 0x8
	s_load_dword s26, s[4:5], 0x18
	s_load_dwordx4 s[0:3], s[4:5], 0x20
	s_load_dwordx2 s[16:17], s[4:5], 0x30
	s_load_dword s27, s[4:5], 0x38
	s_load_dwordx2 s[24:25], s[4:5], 0x40
	s_waitcnt lgkmcnt(0)
	v_mad_i64_i32 v[2:3], s[4:5], s26, v4, 0
	s_mul_i32 s1, s1, s12
	s_mul_hi_u32 s4, s0, s12
	s_add_i32 s1, s4, s1
	s_mul_i32 s0, s0, s12
	s_lshl_b32 s19, s18, 9
	s_lshl_b64 s[0:1], s[0:1], 1
	s_lshl_b64 s[4:5], s[22:23], 1
	s_add_u32 s4, s20, s4
	s_addc_u32 s5, s21, s5
	s_add_u32 s0, s4, s0
	v_lshlrev_b64 v[2:3], 1, v[2:3]
	s_addc_u32 s1, s5, s1
	v_mov_b32_e32 v5, s1
	v_add_co_u32_e32 v2, vcc, s0, v2
	s_mul_hi_i32 s1, s26, s19
	s_mul_i32 s0, s26, s19
	v_add_u32_e32 v1, s19, v4
	v_addc_co_u32_e32 v3, vcc, v5, v3, vcc
	s_lshl_b64 s[4:5], s[0:1], 1
	v_mad_i64_i32 v[4:5], s[0:1], s27, v4, 0
	s_mul_i32 s0, s25, s12
	s_mul_hi_u32 s1, s24, s12
	s_add_i32 s1, s1, s0
	s_mul_i32 s0, s24, s12
	s_lshl_b64 s[0:1], s[0:1], 1
	s_lshl_b64 s[16:17], s[16:17], 1
	s_add_u32 s2, s2, s16
	s_addc_u32 s3, s3, s17
	s_add_u32 s0, s2, s0
	v_lshlrev_b64 v[4:5], 1, v[4:5]
	s_addc_u32 s1, s3, s1
	v_mov_b32_e32 v6, s1
	v_add_co_u32_e32 v4, vcc, s0, v4
	s_mul_hi_i32 s1, s27, s19
	s_mul_i32 s0, s27, s19
	s_lshl_b64 s[16:17], s[0:1], 1
	v_addc_co_u32_e32 v5, vcc, v6, v5, vcc
	s_mov_b64 s[2:3], 0
	v_mov_b32_e32 v6, 0
	v_mov_b32_e32 v7, s5
	;; [unrolled: 1-line block ×3, first 2 shown]
	s_mov_b32 s5, s13
.LBB468_2:                              ; =>This Inner Loop Header: Depth=1
	global_load_ushort v9, v[4:5], off
	global_load_ushort v10, v[2:3], off
	v_add_co_u32_e64 v2, s[0:1], s4, v2
	v_addc_co_u32_e64 v3, s[0:1], v3, v7, s[0:1]
	s_add_i32 s17, s5, 1
	v_add_co_u32_e64 v4, s[0:1], s16, v4
	v_addc_co_u32_e64 v5, s[0:1], v5, v8, s[0:1]
	s_cmp_gt_u32 s5, 2
	v_cmp_le_i32_e32 vcc, s7, v1
	s_cselect_b64 s[0:1], -1, 0
	s_or_b64 s[0:1], s[0:1], vcc
	s_and_b64 s[0:1], exec, s[0:1]
	v_add_u32_e32 v1, s19, v1
	s_mov_b32 s5, s17
	s_or_b64 s[2:3], s[0:1], s[2:3]
	s_waitcnt vmcnt(0)
	v_fma_mix_f32 v6, v9, v10, v6 op_sel_hi:[1,1,0]
	s_andn2_b64 exec, exec, s[2:3]
	s_cbranch_execnz .LBB468_2
; %bb.3:
	s_or_b64 exec, exec, s[2:3]
.LBB468_4:
	s_or_b64 exec, exec, s[14:15]
	v_and_b32_e32 v2, 63, v0
	v_cmp_gt_u32_e32 vcc, 64, v0
	v_lshlrev_b32_e32 v1, 2, v2
	s_and_saveexec_b64 s[0:1], vcc
	s_cbranch_execz .LBB468_6
; %bb.5:
	v_mov_b32_e32 v3, 0
	ds_write_b32 v1, v3
.LBB468_6:
	s_or_b64 exec, exec, s[0:1]
	v_mbcnt_lo_u32_b32 v3, -1, 0
	v_mbcnt_hi_u32_b32 v5, -1, v3
	v_and_b32_e32 v7, 63, v5
	v_cmp_gt_u32_e64 s[0:1], 32, v7
	v_cndmask_b32_e64 v3, 0, 1, s[0:1]
	v_lshlrev_b32_e32 v3, 5, v3
	v_add_lshl_u32 v3, v3, v5, 2
	ds_bpermute_b32 v3, v3, v6
	v_cmp_gt_u32_e64 s[0:1], 48, v7
	v_cndmask_b32_e64 v4, 0, 1, s[0:1]
	v_lshlrev_b32_e32 v4, 4, v4
	v_add_lshl_u32 v4, v4, v5, 2
	s_waitcnt lgkmcnt(0)
	v_add_f32_e32 v3, v6, v3
	ds_bpermute_b32 v4, v4, v3
	v_cmp_gt_u32_e64 s[0:1], 56, v7
	v_cndmask_b32_e64 v6, 0, 1, s[0:1]
	v_lshlrev_b32_e32 v6, 3, v6
	v_cmp_gt_u32_e64 s[0:1], 60, v7
	s_waitcnt lgkmcnt(0)
	v_add_f32_e32 v3, v3, v4
	v_add_lshl_u32 v4, v6, v5, 2
	ds_bpermute_b32 v4, v4, v3
	v_cndmask_b32_e64 v6, 0, 1, s[0:1]
	v_lshlrev_b32_e32 v6, 2, v6
	v_cmp_gt_u32_e64 s[0:1], 62, v7
	v_cndmask_b32_e64 v8, 0, 1, s[0:1]
	s_waitcnt lgkmcnt(0)
	v_add_f32_e32 v4, v3, v4
	v_add_lshl_u32 v3, v6, v5, 2
	ds_bpermute_b32 v6, v3, v4
	v_lshlrev_b32_e32 v8, 1, v8
	v_cmp_ne_u32_e64 s[0:1], 63, v7
	s_waitcnt lgkmcnt(0)
	s_barrier
	v_add_f32_e32 v6, v4, v6
	v_add_lshl_u32 v4, v8, v5, 2
	ds_bpermute_b32 v8, v4, v6
	v_addc_co_u32_e64 v5, s[0:1], 0, v5, s[0:1]
	v_lshlrev_b32_e32 v5, 2, v5
	v_cmp_eq_u32_e64 s[0:1], 0, v2
	s_waitcnt lgkmcnt(0)
	v_add_f32_e32 v6, v6, v8
	ds_bpermute_b32 v7, v5, v6
	s_waitcnt lgkmcnt(0)
	s_and_saveexec_b64 s[2:3], s[0:1]
	s_cbranch_execz .LBB468_8
; %bb.7:
	v_add_f32_e32 v2, v6, v7
	v_lshrrev_b32_e32 v6, 4, v0
	v_and_b32_e32 v6, 28, v6
	ds_write_b32 v6, v2
.LBB468_8:
	s_or_b64 exec, exec, s[2:3]
	v_cmp_gt_u32_e64 s[0:1], 8, v0
	v_mov_b32_e32 v2, 0
	s_waitcnt lgkmcnt(0)
	s_barrier
	s_and_saveexec_b64 s[2:3], s[0:1]
	s_cbranch_execnz .LBB468_12
; %bb.9:
	s_or_b64 exec, exec, s[2:3]
	s_and_saveexec_b64 s[0:1], vcc
	s_cbranch_execnz .LBB468_13
.LBB468_10:
	s_or_b64 exec, exec, s[0:1]
	v_cmp_eq_u32_e32 vcc, 0, v0
	s_and_saveexec_b64 s[0:1], vcc
	s_cbranch_execnz .LBB468_14
.LBB468_11:
	s_endpgm
.LBB468_12:
	ds_read_b32 v2, v1
	s_or_b64 exec, exec, s[2:3]
	s_and_saveexec_b64 s[0:1], vcc
	s_cbranch_execz .LBB468_10
.LBB468_13:
	s_waitcnt lgkmcnt(0)
	ds_bpermute_b32 v1, v3, v2
	s_waitcnt lgkmcnt(0)
	v_add_f32_e32 v1, v2, v1
	ds_bpermute_b32 v2, v4, v1
	s_waitcnt lgkmcnt(0)
	v_add_f32_e32 v1, v1, v2
	;; [unrolled: 3-line block ×3, first 2 shown]
	s_or_b64 exec, exec, s[0:1]
	v_cmp_eq_u32_e32 vcc, 0, v0
	s_and_saveexec_b64 s[0:1], vcc
	s_cbranch_execz .LBB468_11
.LBB468_14:
	s_cmp_lg_u32 s18, 1
	s_cbranch_scc0 .LBB468_16
; %bb.15:
	s_mul_hi_u32 s1, s18, s12
	s_mul_i32 s0, s18, s12
	s_lshl_b64 s[0:1], s[0:1], 2
	s_mov_b32 s7, 0
	s_add_u32 s2, s8, s0
	s_addc_u32 s3, s9, s1
	s_lshl_b64 s[0:1], s[6:7], 2
	s_add_u32 s0, s2, s0
	s_addc_u32 s1, s3, s1
	s_cbranch_execz .LBB468_17
	s_branch .LBB468_18
.LBB468_16:
                                        ; implicit-def: $sgpr0_sgpr1
.LBB468_17:
	s_lshl_b64 s[0:1], s[12:13], 2
	s_add_u32 s0, s10, s0
	s_addc_u32 s1, s11, s1
.LBB468_18:
	v_mov_b32_e32 v0, 0
	s_waitcnt lgkmcnt(0)
	global_store_dword v0, v2, s[0:1]
	s_endpgm
	.section	.rodata,"a",@progbits
	.p2align	6, 0x0
	.amdhsa_kernel _ZL18rocblas_dot_kernelIiLb0ELi512ELi4ELb1EfPKDF16_fEviT5_lT_lS2_lS3_liPT6_PT4_
		.amdhsa_group_segment_fixed_size 256
		.amdhsa_private_segment_fixed_size 0
		.amdhsa_kernarg_size 352
		.amdhsa_user_sgpr_count 6
		.amdhsa_user_sgpr_private_segment_buffer 1
		.amdhsa_user_sgpr_dispatch_ptr 0
		.amdhsa_user_sgpr_queue_ptr 0
		.amdhsa_user_sgpr_kernarg_segment_ptr 1
		.amdhsa_user_sgpr_dispatch_id 0
		.amdhsa_user_sgpr_flat_scratch_init 0
		.amdhsa_user_sgpr_kernarg_preload_length 0
		.amdhsa_user_sgpr_kernarg_preload_offset 0
		.amdhsa_user_sgpr_private_segment_size 0
		.amdhsa_uses_dynamic_stack 0
		.amdhsa_system_sgpr_private_segment_wavefront_offset 0
		.amdhsa_system_sgpr_workgroup_id_x 1
		.amdhsa_system_sgpr_workgroup_id_y 0
		.amdhsa_system_sgpr_workgroup_id_z 1
		.amdhsa_system_sgpr_workgroup_info 0
		.amdhsa_system_vgpr_workitem_id 0
		.amdhsa_next_free_vgpr 11
		.amdhsa_next_free_sgpr 28
		.amdhsa_accum_offset 12
		.amdhsa_reserve_vcc 1
		.amdhsa_reserve_flat_scratch 0
		.amdhsa_float_round_mode_32 0
		.amdhsa_float_round_mode_16_64 0
		.amdhsa_float_denorm_mode_32 3
		.amdhsa_float_denorm_mode_16_64 3
		.amdhsa_dx10_clamp 1
		.amdhsa_ieee_mode 1
		.amdhsa_fp16_overflow 0
		.amdhsa_tg_split 0
		.amdhsa_exception_fp_ieee_invalid_op 0
		.amdhsa_exception_fp_denorm_src 0
		.amdhsa_exception_fp_ieee_div_zero 0
		.amdhsa_exception_fp_ieee_overflow 0
		.amdhsa_exception_fp_ieee_underflow 0
		.amdhsa_exception_fp_ieee_inexact 0
		.amdhsa_exception_int_div_zero 0
	.end_amdhsa_kernel
	.section	.text._ZL18rocblas_dot_kernelIiLb0ELi512ELi4ELb1EfPKDF16_fEviT5_lT_lS2_lS3_liPT6_PT4_,"axG",@progbits,_ZL18rocblas_dot_kernelIiLb0ELi512ELi4ELb1EfPKDF16_fEviT5_lT_lS2_lS3_liPT6_PT4_,comdat
.Lfunc_end468:
	.size	_ZL18rocblas_dot_kernelIiLb0ELi512ELi4ELb1EfPKDF16_fEviT5_lT_lS2_lS3_liPT6_PT4_, .Lfunc_end468-_ZL18rocblas_dot_kernelIiLb0ELi512ELi4ELb1EfPKDF16_fEviT5_lT_lS2_lS3_liPT6_PT4_
                                        ; -- End function
	.section	.AMDGPU.csdata,"",@progbits
; Kernel info:
; codeLenInByte = 996
; NumSgprs: 32
; NumVgprs: 11
; NumAgprs: 0
; TotalNumVgprs: 11
; ScratchSize: 0
; MemoryBound: 0
; FloatMode: 240
; IeeeMode: 1
; LDSByteSize: 256 bytes/workgroup (compile time only)
; SGPRBlocks: 3
; VGPRBlocks: 1
; NumSGPRsForWavesPerEU: 32
; NumVGPRsForWavesPerEU: 11
; AccumOffset: 12
; Occupancy: 8
; WaveLimiterHint : 0
; COMPUTE_PGM_RSRC2:SCRATCH_EN: 0
; COMPUTE_PGM_RSRC2:USER_SGPR: 6
; COMPUTE_PGM_RSRC2:TRAP_HANDLER: 0
; COMPUTE_PGM_RSRC2:TGID_X_EN: 1
; COMPUTE_PGM_RSRC2:TGID_Y_EN: 0
; COMPUTE_PGM_RSRC2:TGID_Z_EN: 1
; COMPUTE_PGM_RSRC2:TIDIG_COMP_CNT: 0
; COMPUTE_PGM_RSRC3_GFX90A:ACCUM_OFFSET: 2
; COMPUTE_PGM_RSRC3_GFX90A:TG_SPLIT: 0
	.section	.text._ZL24rocblas_dot_kernel_magsqIiLb0ELi512ELi4ELb1EfPKDF16_fEviT5_lT_liPT6_PT4_,"axG",@progbits,_ZL24rocblas_dot_kernel_magsqIiLb0ELi512ELi4ELb1EfPKDF16_fEviT5_lT_liPT6_PT4_,comdat
	.globl	_ZL24rocblas_dot_kernel_magsqIiLb0ELi512ELi4ELb1EfPKDF16_fEviT5_lT_liPT6_PT4_ ; -- Begin function _ZL24rocblas_dot_kernel_magsqIiLb0ELi512ELi4ELb1EfPKDF16_fEviT5_lT_liPT6_PT4_
	.p2align	8
	.type	_ZL24rocblas_dot_kernel_magsqIiLb0ELi512ELi4ELb1EfPKDF16_fEviT5_lT_liPT6_PT4_,@function
_ZL24rocblas_dot_kernel_magsqIiLb0ELi512ELi4ELb1EfPKDF16_fEviT5_lT_liPT6_PT4_: ; @_ZL24rocblas_dot_kernel_magsqIiLb0ELi512ELi4ELb1EfPKDF16_fEviT5_lT_liPT6_PT4_
; %bb.0:
	s_mov_b32 s2, s7
	s_load_dword s7, s[4:5], 0x0
	s_load_dwordx4 s[8:11], s[4:5], 0x30
	s_load_dword s16, s[4:5], 0x40
	v_lshl_or_b32 v2, s6, 9, v0
	s_mov_b32 s3, 0
	s_waitcnt lgkmcnt(0)
	v_cmp_gt_i32_e32 vcc, s7, v2
	v_mov_b32_e32 v1, 0
	s_and_saveexec_b64 s[12:13], vcc
	s_cbranch_execz .LBB469_4
; %bb.1:
	s_load_dwordx4 s[20:23], s[4:5], 0x8
	s_load_dword s14, s[4:5], 0x18
	s_load_dwordx2 s[0:1], s[4:5], 0x20
	s_lshl_b32 s17, s16, 9
	v_add_u32_e32 v4, s17, v2
	s_waitcnt lgkmcnt(0)
	v_mad_i64_i32 v[2:3], s[4:5], s14, v2, 0
	s_mul_i32 s1, s1, s2
	s_mul_hi_u32 s4, s0, s2
	s_add_i32 s1, s4, s1
	s_mul_i32 s0, s0, s2
	s_lshl_b64 s[0:1], s[0:1], 1
	s_lshl_b64 s[4:5], s[22:23], 1
	s_add_u32 s4, s20, s4
	s_addc_u32 s5, s21, s5
	s_add_u32 s0, s4, s0
	v_lshlrev_b64 v[2:3], 1, v[2:3]
	s_addc_u32 s1, s5, s1
	v_mov_b32_e32 v1, s1
	v_add_co_u32_e32 v2, vcc, s0, v2
	s_mul_hi_i32 s1, s14, s17
	s_mul_i32 s0, s14, s17
	s_lshl_b64 s[14:15], s[0:1], 1
	v_addc_co_u32_e32 v3, vcc, v1, v3, vcc
	s_mov_b64 s[4:5], 0
	v_mov_b32_e32 v1, 0
	v_mov_b32_e32 v5, s15
	s_mov_b32 s15, s3
.LBB469_2:                              ; =>This Inner Loop Header: Depth=1
	global_load_ushort v6, v[2:3], off
	s_add_i32 s18, s15, 1
	v_add_co_u32_e64 v2, s[0:1], s14, v2
	v_addc_co_u32_e64 v3, s[0:1], v3, v5, s[0:1]
	s_cmp_gt_u32 s15, 2
	v_cmp_le_i32_e32 vcc, s7, v4
	s_cselect_b64 s[0:1], -1, 0
	s_or_b64 s[0:1], s[0:1], vcc
	s_and_b64 s[0:1], exec, s[0:1]
	v_add_u32_e32 v4, s17, v4
	s_mov_b32 s15, s18
	s_or_b64 s[4:5], s[0:1], s[4:5]
	s_waitcnt vmcnt(0)
	v_fma_mix_f32 v1, v6, v6, v1 op_sel_hi:[1,1,0]
	s_andn2_b64 exec, exec, s[4:5]
	s_cbranch_execnz .LBB469_2
; %bb.3:
	s_or_b64 exec, exec, s[4:5]
.LBB469_4:
	s_or_b64 exec, exec, s[12:13]
	v_and_b32_e32 v3, 63, v0
	v_cmp_gt_u32_e32 vcc, 64, v0
	v_lshlrev_b32_e32 v2, 2, v3
	s_and_saveexec_b64 s[0:1], vcc
	s_cbranch_execz .LBB469_6
; %bb.5:
	v_mov_b32_e32 v4, 0
	ds_write_b32 v2, v4
.LBB469_6:
	s_or_b64 exec, exec, s[0:1]
	v_mbcnt_lo_u32_b32 v4, -1, 0
	v_mbcnt_hi_u32_b32 v6, -1, v4
	v_and_b32_e32 v7, 63, v6
	v_cmp_gt_u32_e64 s[0:1], 32, v7
	v_cndmask_b32_e64 v4, 0, 1, s[0:1]
	v_lshlrev_b32_e32 v4, 5, v4
	v_add_lshl_u32 v4, v4, v6, 2
	ds_bpermute_b32 v4, v4, v1
	v_cmp_gt_u32_e64 s[0:1], 48, v7
	v_cndmask_b32_e64 v5, 0, 1, s[0:1]
	v_lshlrev_b32_e32 v5, 4, v5
	v_cmp_gt_u32_e64 s[0:1], 56, v7
	s_waitcnt lgkmcnt(0)
	v_add_f32_e32 v1, v1, v4
	v_add_lshl_u32 v4, v5, v6, 2
	ds_bpermute_b32 v4, v4, v1
	v_cndmask_b32_e64 v5, 0, 1, s[0:1]
	v_lshlrev_b32_e32 v5, 3, v5
	v_cmp_gt_u32_e64 s[0:1], 60, v7
	s_waitcnt lgkmcnt(0)
	v_add_f32_e32 v1, v1, v4
	v_add_lshl_u32 v4, v5, v6, 2
	ds_bpermute_b32 v4, v4, v1
	v_cndmask_b32_e64 v5, 0, 1, s[0:1]
	v_lshlrev_b32_e32 v5, 2, v5
	v_cmp_gt_u32_e64 s[0:1], 62, v7
	v_cndmask_b32_e64 v8, 0, 1, s[0:1]
	s_waitcnt lgkmcnt(0)
	v_add_f32_e32 v1, v1, v4
	v_add_lshl_u32 v4, v5, v6, 2
	ds_bpermute_b32 v5, v4, v1
	v_lshlrev_b32_e32 v8, 1, v8
	v_cmp_ne_u32_e64 s[0:1], 63, v7
	s_barrier
	s_waitcnt lgkmcnt(0)
	v_add_f32_e32 v1, v1, v5
	v_add_lshl_u32 v5, v8, v6, 2
	ds_bpermute_b32 v8, v5, v1
	v_addc_co_u32_e64 v6, s[0:1], 0, v6, s[0:1]
	v_lshlrev_b32_e32 v6, 2, v6
	v_cmp_eq_u32_e64 s[0:1], 0, v3
	s_waitcnt lgkmcnt(0)
	v_add_f32_e32 v1, v1, v8
	ds_bpermute_b32 v7, v6, v1
	s_and_saveexec_b64 s[4:5], s[0:1]
	s_cbranch_execz .LBB469_8
; %bb.7:
	v_lshrrev_b32_e32 v3, 4, v0
	s_waitcnt lgkmcnt(0)
	v_add_f32_e32 v1, v1, v7
	v_and_b32_e32 v3, 28, v3
	ds_write_b32 v3, v1
.LBB469_8:
	s_or_b64 exec, exec, s[4:5]
	v_cmp_gt_u32_e64 s[0:1], 8, v0
	v_mov_b32_e32 v1, 0
	s_waitcnt lgkmcnt(0)
	s_barrier
	s_and_saveexec_b64 s[4:5], s[0:1]
	s_cbranch_execnz .LBB469_12
; %bb.9:
	s_or_b64 exec, exec, s[4:5]
	s_and_saveexec_b64 s[0:1], vcc
	s_cbranch_execnz .LBB469_13
.LBB469_10:
	s_or_b64 exec, exec, s[0:1]
	v_cmp_eq_u32_e32 vcc, 0, v0
	s_and_saveexec_b64 s[0:1], vcc
	s_cbranch_execnz .LBB469_14
.LBB469_11:
	s_endpgm
.LBB469_12:
	ds_read_b32 v1, v2
	s_or_b64 exec, exec, s[4:5]
	s_and_saveexec_b64 s[0:1], vcc
	s_cbranch_execz .LBB469_10
.LBB469_13:
	s_waitcnt lgkmcnt(0)
	ds_bpermute_b32 v2, v4, v1
	s_waitcnt lgkmcnt(0)
	v_add_f32_e32 v1, v1, v2
	ds_bpermute_b32 v2, v5, v1
	s_waitcnt lgkmcnt(0)
	v_add_f32_e32 v1, v1, v2
	;; [unrolled: 3-line block ×3, first 2 shown]
	s_or_b64 exec, exec, s[0:1]
	v_cmp_eq_u32_e32 vcc, 0, v0
	s_and_saveexec_b64 s[0:1], vcc
	s_cbranch_execz .LBB469_11
.LBB469_14:
	s_cmp_lg_u32 s16, 1
	s_cbranch_scc0 .LBB469_16
; %bb.15:
	s_mul_hi_u32 s1, s16, s2
	s_mul_i32 s0, s16, s2
	s_lshl_b64 s[0:1], s[0:1], 2
	s_mov_b32 s7, 0
	s_add_u32 s4, s8, s0
	s_addc_u32 s5, s9, s1
	s_lshl_b64 s[0:1], s[6:7], 2
	s_add_u32 s0, s4, s0
	s_addc_u32 s1, s5, s1
	s_cbranch_execz .LBB469_17
	s_branch .LBB469_18
.LBB469_16:
                                        ; implicit-def: $sgpr0_sgpr1
.LBB469_17:
	s_lshl_b64 s[0:1], s[2:3], 2
	s_add_u32 s0, s10, s0
	s_addc_u32 s1, s11, s1
.LBB469_18:
	v_mov_b32_e32 v0, 0
	s_waitcnt lgkmcnt(0)
	global_store_dword v0, v1, s[0:1]
	s_endpgm
	.section	.rodata,"a",@progbits
	.p2align	6, 0x0
	.amdhsa_kernel _ZL24rocblas_dot_kernel_magsqIiLb0ELi512ELi4ELb1EfPKDF16_fEviT5_lT_liPT6_PT4_
		.amdhsa_group_segment_fixed_size 256
		.amdhsa_private_segment_fixed_size 0
		.amdhsa_kernarg_size 320
		.amdhsa_user_sgpr_count 6
		.amdhsa_user_sgpr_private_segment_buffer 1
		.amdhsa_user_sgpr_dispatch_ptr 0
		.amdhsa_user_sgpr_queue_ptr 0
		.amdhsa_user_sgpr_kernarg_segment_ptr 1
		.amdhsa_user_sgpr_dispatch_id 0
		.amdhsa_user_sgpr_flat_scratch_init 0
		.amdhsa_user_sgpr_kernarg_preload_length 0
		.amdhsa_user_sgpr_kernarg_preload_offset 0
		.amdhsa_user_sgpr_private_segment_size 0
		.amdhsa_uses_dynamic_stack 0
		.amdhsa_system_sgpr_private_segment_wavefront_offset 0
		.amdhsa_system_sgpr_workgroup_id_x 1
		.amdhsa_system_sgpr_workgroup_id_y 0
		.amdhsa_system_sgpr_workgroup_id_z 1
		.amdhsa_system_sgpr_workgroup_info 0
		.amdhsa_system_vgpr_workitem_id 0
		.amdhsa_next_free_vgpr 9
		.amdhsa_next_free_sgpr 24
		.amdhsa_accum_offset 12
		.amdhsa_reserve_vcc 1
		.amdhsa_reserve_flat_scratch 0
		.amdhsa_float_round_mode_32 0
		.amdhsa_float_round_mode_16_64 0
		.amdhsa_float_denorm_mode_32 3
		.amdhsa_float_denorm_mode_16_64 3
		.amdhsa_dx10_clamp 1
		.amdhsa_ieee_mode 1
		.amdhsa_fp16_overflow 0
		.amdhsa_tg_split 0
		.amdhsa_exception_fp_ieee_invalid_op 0
		.amdhsa_exception_fp_denorm_src 0
		.amdhsa_exception_fp_ieee_div_zero 0
		.amdhsa_exception_fp_ieee_overflow 0
		.amdhsa_exception_fp_ieee_underflow 0
		.amdhsa_exception_fp_ieee_inexact 0
		.amdhsa_exception_int_div_zero 0
	.end_amdhsa_kernel
	.section	.text._ZL24rocblas_dot_kernel_magsqIiLb0ELi512ELi4ELb1EfPKDF16_fEviT5_lT_liPT6_PT4_,"axG",@progbits,_ZL24rocblas_dot_kernel_magsqIiLb0ELi512ELi4ELb1EfPKDF16_fEviT5_lT_liPT6_PT4_,comdat
.Lfunc_end469:
	.size	_ZL24rocblas_dot_kernel_magsqIiLb0ELi512ELi4ELb1EfPKDF16_fEviT5_lT_liPT6_PT4_, .Lfunc_end469-_ZL24rocblas_dot_kernel_magsqIiLb0ELi512ELi4ELb1EfPKDF16_fEviT5_lT_liPT6_PT4_
                                        ; -- End function
	.section	.AMDGPU.csdata,"",@progbits
; Kernel info:
; codeLenInByte = 864
; NumSgprs: 28
; NumVgprs: 9
; NumAgprs: 0
; TotalNumVgprs: 9
; ScratchSize: 0
; MemoryBound: 0
; FloatMode: 240
; IeeeMode: 1
; LDSByteSize: 256 bytes/workgroup (compile time only)
; SGPRBlocks: 3
; VGPRBlocks: 1
; NumSGPRsForWavesPerEU: 28
; NumVGPRsForWavesPerEU: 9
; AccumOffset: 12
; Occupancy: 8
; WaveLimiterHint : 0
; COMPUTE_PGM_RSRC2:SCRATCH_EN: 0
; COMPUTE_PGM_RSRC2:USER_SGPR: 6
; COMPUTE_PGM_RSRC2:TRAP_HANDLER: 0
; COMPUTE_PGM_RSRC2:TGID_X_EN: 1
; COMPUTE_PGM_RSRC2:TGID_Y_EN: 0
; COMPUTE_PGM_RSRC2:TGID_Z_EN: 1
; COMPUTE_PGM_RSRC2:TIDIG_COMP_CNT: 0
; COMPUTE_PGM_RSRC3_GFX90A:ACCUM_OFFSET: 2
; COMPUTE_PGM_RSRC3_GFX90A:TG_SPLIT: 0
	.section	.text._ZL28rocblas_dot_batched_4_kernelIlLi32ELi4ELb1EfDF16_PKDF16_EviT5_lT_lS2_lS3_liPT4_,"axG",@progbits,_ZL28rocblas_dot_batched_4_kernelIlLi32ELi4ELb1EfDF16_PKDF16_EviT5_lT_lS2_lS3_liPT4_,comdat
	.globl	_ZL28rocblas_dot_batched_4_kernelIlLi32ELi4ELb1EfDF16_PKDF16_EviT5_lT_lS2_lS3_liPT4_ ; -- Begin function _ZL28rocblas_dot_batched_4_kernelIlLi32ELi4ELb1EfDF16_PKDF16_EviT5_lT_lS2_lS3_liPT4_
	.p2align	8
	.type	_ZL28rocblas_dot_batched_4_kernelIlLi32ELi4ELb1EfDF16_PKDF16_EviT5_lT_lS2_lS3_liPT4_,@function
_ZL28rocblas_dot_batched_4_kernelIlLi32ELi4ELb1EfDF16_PKDF16_EviT5_lT_lS2_lS3_liPT4_: ; @_ZL28rocblas_dot_batched_4_kernelIlLi32ELi4ELb1EfDF16_PKDF16_EviT5_lT_lS2_lS3_liPT4_
; %bb.0:
	s_load_dword s0, s[4:5], 0x48
	v_bfe_u32 v1, v0, 10, 10
	v_lshl_add_u32 v2, s6, 2, v1
	s_waitcnt lgkmcnt(0)
	v_cmp_gt_u32_e32 vcc, s0, v2
	s_and_saveexec_b64 s[0:1], vcc
	s_cbranch_execz .LBB470_7
; %bb.1:
	s_load_dword s16, s[4:5], 0x0
	s_load_dwordx2 s[0:1], s[4:5], 0x50
	v_mov_b32_e32 v3, 0
	v_and_b32_e32 v6, 0x3ff, v0
	v_mov_b32_e32 v7, v3
	s_waitcnt lgkmcnt(0)
	v_cmp_gt_i32_e32 vcc, s16, v6
	s_and_saveexec_b64 s[2:3], vcc
	s_cbranch_execz .LBB470_5
; %bb.2:
	s_load_dwordx4 s[20:23], s[4:5], 0x10
	s_load_dwordx2 s[6:7], s[4:5], 0x8
	s_load_dwordx8 s[8:15], s[4:5], 0x20
	s_load_dwordx2 s[18:19], s[4:5], 0x40
	s_waitcnt lgkmcnt(0)
	v_mad_u64_u32 v[0:1], s[4:5], s22, v6, 0
	v_mov_b32_e32 v4, v1
	v_mad_u64_u32 v[4:5], s[4:5], s23, v6, v[4:5]
	v_mov_b32_e32 v1, v4
	;; [unrolled: 2-line block ×4, first 2 shown]
	v_lshlrev_b64 v[0:1], 1, v[0:1]
	v_lshlrev_b64 v[4:5], 1, v[4:5]
	s_lshl_b64 s[4:5], s[20:21], 1
	v_add_co_u32_e32 v0, vcc, v0, v4
	s_add_u32 s4, s6, s4
	v_addc_co_u32_e32 v1, vcc, v1, v5, vcc
	s_addc_u32 s5, s7, s5
	v_mov_b32_e32 v4, s5
	v_add_co_u32_e32 v0, vcc, s4, v0
	v_addc_co_u32_e32 v1, vcc, v4, v1, vcc
	v_mad_u64_u32 v[4:5], s[6:7], s14, v6, 0
	v_mov_b32_e32 v8, v5
	v_mad_u64_u32 v[8:9], s[6:7], s15, v6, v[8:9]
	v_mov_b32_e32 v5, v8
	;; [unrolled: 2-line block ×4, first 2 shown]
	s_lshl_b64 s[4:5], s[22:23], 6
	v_lshlrev_b64 v[4:5], 1, v[4:5]
	v_lshlrev_b64 v[8:9], 1, v[8:9]
	s_lshl_b64 s[6:7], s[12:13], 1
	v_add_co_u32_e32 v4, vcc, v4, v8
	s_add_u32 s6, s10, s6
	v_addc_co_u32_e32 v5, vcc, v5, v9, vcc
	s_addc_u32 s7, s11, s7
	v_mov_b32_e32 v7, s7
	v_add_co_u32_e32 v4, vcc, s6, v4
	s_lshl_b64 s[8:9], s[14:15], 6
	v_addc_co_u32_e32 v5, vcc, v7, v5, vcc
	s_mov_b64 s[6:7], 0
	v_mov_b32_e32 v7, 0
	v_mov_b32_e32 v8, s5
	;; [unrolled: 1-line block ×4, first 2 shown]
.LBB470_3:                              ; =>This Inner Loop Header: Depth=1
	global_load_ushort v11, v[0:1], off
	global_load_ushort v12, v[4:5], off
	v_add_co_u32_e32 v0, vcc, s4, v0
	v_addc_co_u32_e32 v1, vcc, v1, v8, vcc
	v_add_co_u32_e32 v4, vcc, s8, v4
	v_add_u32_e32 v10, 32, v10
	v_addc_co_u32_e32 v5, vcc, v5, v9, vcc
	v_cmp_le_i32_e32 vcc, s16, v10
	s_or_b64 s[6:7], vcc, s[6:7]
	s_waitcnt vmcnt(0)
	v_fma_mix_f32 v7, v11, v12, v7 op_sel_hi:[1,1,0]
	s_andn2_b64 exec, exec, s[6:7]
	s_cbranch_execnz .LBB470_3
; %bb.4:
	s_or_b64 exec, exec, s[6:7]
.LBB470_5:
	s_or_b64 exec, exec, s[2:3]
	v_mbcnt_lo_u32_b32 v0, -1, 0
	v_mbcnt_hi_u32_b32 v0, -1, v0
	v_and_b32_e32 v1, 63, v0
	v_cmp_gt_u32_e32 vcc, 48, v1
	v_cndmask_b32_e64 v4, 0, 1, vcc
	v_lshlrev_b32_e32 v4, 4, v4
	v_add_lshl_u32 v4, v4, v0, 2
	ds_bpermute_b32 v4, v4, v7
	v_cmp_gt_u32_e32 vcc, 56, v1
	v_cndmask_b32_e64 v5, 0, 1, vcc
	v_lshlrev_b32_e32 v5, 3, v5
	v_add_lshl_u32 v5, v5, v0, 2
	s_waitcnt lgkmcnt(0)
	v_add_f32_e32 v4, v7, v4
	ds_bpermute_b32 v5, v5, v4
	v_cmp_gt_u32_e32 vcc, 60, v1
	v_cndmask_b32_e64 v7, 0, 1, vcc
	v_lshlrev_b32_e32 v7, 2, v7
	v_cmp_gt_u32_e32 vcc, 62, v1
	s_waitcnt lgkmcnt(0)
	v_add_f32_e32 v4, v4, v5
	v_add_lshl_u32 v5, v7, v0, 2
	ds_bpermute_b32 v5, v5, v4
	v_cndmask_b32_e64 v7, 0, 1, vcc
	v_lshlrev_b32_e32 v7, 1, v7
	v_cmp_ne_u32_e32 vcc, 63, v1
	v_addc_co_u32_e32 v1, vcc, 0, v0, vcc
	s_waitcnt lgkmcnt(0)
	v_add_f32_e32 v4, v4, v5
	v_add_lshl_u32 v5, v7, v0, 2
	ds_bpermute_b32 v5, v5, v4
	v_lshlrev_b32_e32 v1, 2, v1
	v_cmp_eq_u32_e32 vcc, 0, v6
	s_waitcnt lgkmcnt(0)
	s_barrier
	v_add_f32_e32 v0, v4, v5
	ds_bpermute_b32 v1, v1, v0
	s_waitcnt lgkmcnt(0)
	s_and_b64 exec, exec, vcc
	s_cbranch_execz .LBB470_7
; %bb.6:
	v_add_f32_e32 v0, v0, v1
	v_cvt_f16_f32_e32 v5, v0
	v_lshlrev_b64 v[2:3], 1, v[2:3]
	v_mov_b32_e32 v4, s1
	v_add_co_u32_e32 v0, vcc, s0, v2
	v_addc_co_u32_e32 v1, vcc, v4, v3, vcc
	global_store_short v[0:1], v5, off
.LBB470_7:
	s_endpgm
	.section	.rodata,"a",@progbits
	.p2align	6, 0x0
	.amdhsa_kernel _ZL28rocblas_dot_batched_4_kernelIlLi32ELi4ELb1EfDF16_PKDF16_EviT5_lT_lS2_lS3_liPT4_
		.amdhsa_group_segment_fixed_size 0
		.amdhsa_private_segment_fixed_size 0
		.amdhsa_kernarg_size 88
		.amdhsa_user_sgpr_count 6
		.amdhsa_user_sgpr_private_segment_buffer 1
		.amdhsa_user_sgpr_dispatch_ptr 0
		.amdhsa_user_sgpr_queue_ptr 0
		.amdhsa_user_sgpr_kernarg_segment_ptr 1
		.amdhsa_user_sgpr_dispatch_id 0
		.amdhsa_user_sgpr_flat_scratch_init 0
		.amdhsa_user_sgpr_kernarg_preload_length 0
		.amdhsa_user_sgpr_kernarg_preload_offset 0
		.amdhsa_user_sgpr_private_segment_size 0
		.amdhsa_uses_dynamic_stack 0
		.amdhsa_system_sgpr_private_segment_wavefront_offset 0
		.amdhsa_system_sgpr_workgroup_id_x 1
		.amdhsa_system_sgpr_workgroup_id_y 0
		.amdhsa_system_sgpr_workgroup_id_z 0
		.amdhsa_system_sgpr_workgroup_info 0
		.amdhsa_system_vgpr_workitem_id 1
		.amdhsa_next_free_vgpr 13
		.amdhsa_next_free_sgpr 24
		.amdhsa_accum_offset 16
		.amdhsa_reserve_vcc 1
		.amdhsa_reserve_flat_scratch 0
		.amdhsa_float_round_mode_32 0
		.amdhsa_float_round_mode_16_64 0
		.amdhsa_float_denorm_mode_32 3
		.amdhsa_float_denorm_mode_16_64 3
		.amdhsa_dx10_clamp 1
		.amdhsa_ieee_mode 1
		.amdhsa_fp16_overflow 0
		.amdhsa_tg_split 0
		.amdhsa_exception_fp_ieee_invalid_op 0
		.amdhsa_exception_fp_denorm_src 0
		.amdhsa_exception_fp_ieee_div_zero 0
		.amdhsa_exception_fp_ieee_overflow 0
		.amdhsa_exception_fp_ieee_underflow 0
		.amdhsa_exception_fp_ieee_inexact 0
		.amdhsa_exception_int_div_zero 0
	.end_amdhsa_kernel
	.section	.text._ZL28rocblas_dot_batched_4_kernelIlLi32ELi4ELb1EfDF16_PKDF16_EviT5_lT_lS2_lS3_liPT4_,"axG",@progbits,_ZL28rocblas_dot_batched_4_kernelIlLi32ELi4ELb1EfDF16_PKDF16_EviT5_lT_lS2_lS3_liPT4_,comdat
.Lfunc_end470:
	.size	_ZL28rocblas_dot_batched_4_kernelIlLi32ELi4ELb1EfDF16_PKDF16_EviT5_lT_lS2_lS3_liPT4_, .Lfunc_end470-_ZL28rocblas_dot_batched_4_kernelIlLi32ELi4ELb1EfDF16_PKDF16_EviT5_lT_lS2_lS3_liPT4_
                                        ; -- End function
	.section	.AMDGPU.csdata,"",@progbits
; Kernel info:
; codeLenInByte = 676
; NumSgprs: 28
; NumVgprs: 13
; NumAgprs: 0
; TotalNumVgprs: 13
; ScratchSize: 0
; MemoryBound: 0
; FloatMode: 240
; IeeeMode: 1
; LDSByteSize: 0 bytes/workgroup (compile time only)
; SGPRBlocks: 3
; VGPRBlocks: 1
; NumSGPRsForWavesPerEU: 28
; NumVGPRsForWavesPerEU: 13
; AccumOffset: 16
; Occupancy: 8
; WaveLimiterHint : 0
; COMPUTE_PGM_RSRC2:SCRATCH_EN: 0
; COMPUTE_PGM_RSRC2:USER_SGPR: 6
; COMPUTE_PGM_RSRC2:TRAP_HANDLER: 0
; COMPUTE_PGM_RSRC2:TGID_X_EN: 1
; COMPUTE_PGM_RSRC2:TGID_Y_EN: 0
; COMPUTE_PGM_RSRC2:TGID_Z_EN: 0
; COMPUTE_PGM_RSRC2:TIDIG_COMP_CNT: 1
; COMPUTE_PGM_RSRC3_GFX90A:ACCUM_OFFSET: 3
; COMPUTE_PGM_RSRC3_GFX90A:TG_SPLIT: 0
	.section	.text._ZL28rocblas_dot_batched_4_kernelIlLi64ELi4ELb1EfDF16_PKDF16_EviT5_lT_lS2_lS3_liPT4_,"axG",@progbits,_ZL28rocblas_dot_batched_4_kernelIlLi64ELi4ELb1EfDF16_PKDF16_EviT5_lT_lS2_lS3_liPT4_,comdat
	.globl	_ZL28rocblas_dot_batched_4_kernelIlLi64ELi4ELb1EfDF16_PKDF16_EviT5_lT_lS2_lS3_liPT4_ ; -- Begin function _ZL28rocblas_dot_batched_4_kernelIlLi64ELi4ELb1EfDF16_PKDF16_EviT5_lT_lS2_lS3_liPT4_
	.p2align	8
	.type	_ZL28rocblas_dot_batched_4_kernelIlLi64ELi4ELb1EfDF16_PKDF16_EviT5_lT_lS2_lS3_liPT4_,@function
_ZL28rocblas_dot_batched_4_kernelIlLi64ELi4ELb1EfDF16_PKDF16_EviT5_lT_lS2_lS3_liPT4_: ; @_ZL28rocblas_dot_batched_4_kernelIlLi64ELi4ELb1EfDF16_PKDF16_EviT5_lT_lS2_lS3_liPT4_
; %bb.0:
	s_load_dword s0, s[4:5], 0x48
	v_bfe_u32 v1, v0, 10, 10
	v_lshl_add_u32 v2, s6, 2, v1
	s_waitcnt lgkmcnt(0)
	v_cmp_gt_u32_e32 vcc, s0, v2
	s_and_saveexec_b64 s[0:1], vcc
	s_cbranch_execz .LBB471_7
; %bb.1:
	s_load_dword s16, s[4:5], 0x0
	s_load_dwordx2 s[0:1], s[4:5], 0x50
	v_mov_b32_e32 v3, 0
	v_and_b32_e32 v6, 0x3ff, v0
	v_mov_b32_e32 v7, v3
	s_waitcnt lgkmcnt(0)
	v_cmp_gt_i32_e32 vcc, s16, v6
	s_and_saveexec_b64 s[2:3], vcc
	s_cbranch_execz .LBB471_5
; %bb.2:
	s_load_dwordx4 s[20:23], s[4:5], 0x10
	s_load_dwordx2 s[6:7], s[4:5], 0x8
	s_load_dwordx8 s[8:15], s[4:5], 0x20
	s_load_dwordx2 s[18:19], s[4:5], 0x40
	s_waitcnt lgkmcnt(0)
	v_mad_u64_u32 v[0:1], s[4:5], s22, v6, 0
	v_mov_b32_e32 v4, v1
	v_mad_u64_u32 v[4:5], s[4:5], s23, v6, v[4:5]
	v_mov_b32_e32 v1, v4
	;; [unrolled: 2-line block ×4, first 2 shown]
	v_lshlrev_b64 v[0:1], 1, v[0:1]
	v_lshlrev_b64 v[4:5], 1, v[4:5]
	s_lshl_b64 s[4:5], s[20:21], 1
	v_add_co_u32_e32 v0, vcc, v0, v4
	s_add_u32 s4, s6, s4
	v_addc_co_u32_e32 v1, vcc, v1, v5, vcc
	s_addc_u32 s5, s7, s5
	v_mov_b32_e32 v4, s5
	v_add_co_u32_e32 v0, vcc, s4, v0
	v_addc_co_u32_e32 v1, vcc, v4, v1, vcc
	v_mad_u64_u32 v[4:5], s[6:7], s14, v6, 0
	v_mov_b32_e32 v8, v5
	v_mad_u64_u32 v[8:9], s[6:7], s15, v6, v[8:9]
	v_mov_b32_e32 v5, v8
	;; [unrolled: 2-line block ×4, first 2 shown]
	s_lshl_b64 s[4:5], s[22:23], 7
	v_lshlrev_b64 v[4:5], 1, v[4:5]
	v_lshlrev_b64 v[8:9], 1, v[8:9]
	s_lshl_b64 s[6:7], s[12:13], 1
	v_add_co_u32_e32 v4, vcc, v4, v8
	s_add_u32 s6, s10, s6
	v_addc_co_u32_e32 v5, vcc, v5, v9, vcc
	s_addc_u32 s7, s11, s7
	v_mov_b32_e32 v7, s7
	v_add_co_u32_e32 v4, vcc, s6, v4
	s_lshl_b64 s[8:9], s[14:15], 7
	v_addc_co_u32_e32 v5, vcc, v7, v5, vcc
	s_mov_b64 s[6:7], 0
	v_mov_b32_e32 v7, 0
	v_mov_b32_e32 v8, s5
	;; [unrolled: 1-line block ×4, first 2 shown]
.LBB471_3:                              ; =>This Inner Loop Header: Depth=1
	global_load_ushort v11, v[0:1], off
	global_load_ushort v12, v[4:5], off
	v_add_co_u32_e32 v0, vcc, s4, v0
	v_addc_co_u32_e32 v1, vcc, v1, v8, vcc
	v_add_co_u32_e32 v4, vcc, s8, v4
	v_add_u32_e32 v10, 64, v10
	v_addc_co_u32_e32 v5, vcc, v5, v9, vcc
	v_cmp_le_i32_e32 vcc, s16, v10
	s_or_b64 s[6:7], vcc, s[6:7]
	s_waitcnt vmcnt(0)
	v_fma_mix_f32 v7, v11, v12, v7 op_sel_hi:[1,1,0]
	s_andn2_b64 exec, exec, s[6:7]
	s_cbranch_execnz .LBB471_3
; %bb.4:
	s_or_b64 exec, exec, s[6:7]
.LBB471_5:
	s_or_b64 exec, exec, s[2:3]
	v_mbcnt_lo_u32_b32 v0, -1, 0
	v_mbcnt_hi_u32_b32 v0, -1, v0
	v_and_b32_e32 v1, 63, v0
	v_cmp_gt_u32_e32 vcc, 32, v1
	v_cndmask_b32_e64 v4, 0, 1, vcc
	v_lshlrev_b32_e32 v4, 5, v4
	v_add_lshl_u32 v4, v4, v0, 2
	ds_bpermute_b32 v4, v4, v7
	v_cmp_gt_u32_e32 vcc, 48, v1
	v_cndmask_b32_e64 v5, 0, 1, vcc
	v_lshlrev_b32_e32 v5, 4, v5
	v_add_lshl_u32 v5, v5, v0, 2
	s_waitcnt lgkmcnt(0)
	v_add_f32_e32 v4, v7, v4
	ds_bpermute_b32 v5, v5, v4
	v_cmp_gt_u32_e32 vcc, 56, v1
	v_cndmask_b32_e64 v7, 0, 1, vcc
	v_lshlrev_b32_e32 v7, 3, v7
	v_cmp_gt_u32_e32 vcc, 60, v1
	s_waitcnt lgkmcnt(0)
	v_add_f32_e32 v4, v4, v5
	v_add_lshl_u32 v5, v7, v0, 2
	ds_bpermute_b32 v5, v5, v4
	v_cndmask_b32_e64 v7, 0, 1, vcc
	v_lshlrev_b32_e32 v7, 2, v7
	v_cmp_gt_u32_e32 vcc, 62, v1
	s_waitcnt lgkmcnt(0)
	v_add_f32_e32 v4, v4, v5
	v_add_lshl_u32 v5, v7, v0, 2
	ds_bpermute_b32 v5, v5, v4
	v_cndmask_b32_e64 v7, 0, 1, vcc
	v_lshlrev_b32_e32 v7, 1, v7
	v_cmp_ne_u32_e32 vcc, 63, v1
	v_addc_co_u32_e32 v1, vcc, 0, v0, vcc
	s_waitcnt lgkmcnt(0)
	v_add_f32_e32 v4, v4, v5
	v_add_lshl_u32 v5, v7, v0, 2
	ds_bpermute_b32 v5, v5, v4
	v_lshlrev_b32_e32 v1, 2, v1
	v_cmp_eq_u32_e32 vcc, 0, v6
	s_barrier
	s_waitcnt lgkmcnt(0)
	v_add_f32_e32 v0, v4, v5
	ds_bpermute_b32 v1, v1, v0
	s_and_b64 exec, exec, vcc
	s_cbranch_execz .LBB471_7
; %bb.6:
	s_waitcnt lgkmcnt(0)
	v_add_f32_e32 v0, v0, v1
	v_cvt_f16_f32_e32 v5, v0
	v_lshlrev_b64 v[2:3], 1, v[2:3]
	v_mov_b32_e32 v4, s1
	v_add_co_u32_e32 v0, vcc, s0, v2
	v_addc_co_u32_e32 v1, vcc, v4, v3, vcc
	global_store_short v[0:1], v5, off
.LBB471_7:
	s_endpgm
	.section	.rodata,"a",@progbits
	.p2align	6, 0x0
	.amdhsa_kernel _ZL28rocblas_dot_batched_4_kernelIlLi64ELi4ELb1EfDF16_PKDF16_EviT5_lT_lS2_lS3_liPT4_
		.amdhsa_group_segment_fixed_size 0
		.amdhsa_private_segment_fixed_size 0
		.amdhsa_kernarg_size 88
		.amdhsa_user_sgpr_count 6
		.amdhsa_user_sgpr_private_segment_buffer 1
		.amdhsa_user_sgpr_dispatch_ptr 0
		.amdhsa_user_sgpr_queue_ptr 0
		.amdhsa_user_sgpr_kernarg_segment_ptr 1
		.amdhsa_user_sgpr_dispatch_id 0
		.amdhsa_user_sgpr_flat_scratch_init 0
		.amdhsa_user_sgpr_kernarg_preload_length 0
		.amdhsa_user_sgpr_kernarg_preload_offset 0
		.amdhsa_user_sgpr_private_segment_size 0
		.amdhsa_uses_dynamic_stack 0
		.amdhsa_system_sgpr_private_segment_wavefront_offset 0
		.amdhsa_system_sgpr_workgroup_id_x 1
		.amdhsa_system_sgpr_workgroup_id_y 0
		.amdhsa_system_sgpr_workgroup_id_z 0
		.amdhsa_system_sgpr_workgroup_info 0
		.amdhsa_system_vgpr_workitem_id 1
		.amdhsa_next_free_vgpr 13
		.amdhsa_next_free_sgpr 24
		.amdhsa_accum_offset 16
		.amdhsa_reserve_vcc 1
		.amdhsa_reserve_flat_scratch 0
		.amdhsa_float_round_mode_32 0
		.amdhsa_float_round_mode_16_64 0
		.amdhsa_float_denorm_mode_32 3
		.amdhsa_float_denorm_mode_16_64 3
		.amdhsa_dx10_clamp 1
		.amdhsa_ieee_mode 1
		.amdhsa_fp16_overflow 0
		.amdhsa_tg_split 0
		.amdhsa_exception_fp_ieee_invalid_op 0
		.amdhsa_exception_fp_denorm_src 0
		.amdhsa_exception_fp_ieee_div_zero 0
		.amdhsa_exception_fp_ieee_overflow 0
		.amdhsa_exception_fp_ieee_underflow 0
		.amdhsa_exception_fp_ieee_inexact 0
		.amdhsa_exception_int_div_zero 0
	.end_amdhsa_kernel
	.section	.text._ZL28rocblas_dot_batched_4_kernelIlLi64ELi4ELb1EfDF16_PKDF16_EviT5_lT_lS2_lS3_liPT4_,"axG",@progbits,_ZL28rocblas_dot_batched_4_kernelIlLi64ELi4ELb1EfDF16_PKDF16_EviT5_lT_lS2_lS3_liPT4_,comdat
.Lfunc_end471:
	.size	_ZL28rocblas_dot_batched_4_kernelIlLi64ELi4ELb1EfDF16_PKDF16_EviT5_lT_lS2_lS3_liPT4_, .Lfunc_end471-_ZL28rocblas_dot_batched_4_kernelIlLi64ELi4ELb1EfDF16_PKDF16_EviT5_lT_lS2_lS3_liPT4_
                                        ; -- End function
	.section	.AMDGPU.csdata,"",@progbits
; Kernel info:
; codeLenInByte = 716
; NumSgprs: 28
; NumVgprs: 13
; NumAgprs: 0
; TotalNumVgprs: 13
; ScratchSize: 0
; MemoryBound: 0
; FloatMode: 240
; IeeeMode: 1
; LDSByteSize: 0 bytes/workgroup (compile time only)
; SGPRBlocks: 3
; VGPRBlocks: 1
; NumSGPRsForWavesPerEU: 28
; NumVGPRsForWavesPerEU: 13
; AccumOffset: 16
; Occupancy: 8
; WaveLimiterHint : 0
; COMPUTE_PGM_RSRC2:SCRATCH_EN: 0
; COMPUTE_PGM_RSRC2:USER_SGPR: 6
; COMPUTE_PGM_RSRC2:TRAP_HANDLER: 0
; COMPUTE_PGM_RSRC2:TGID_X_EN: 1
; COMPUTE_PGM_RSRC2:TGID_Y_EN: 0
; COMPUTE_PGM_RSRC2:TGID_Z_EN: 0
; COMPUTE_PGM_RSRC2:TIDIG_COMP_CNT: 1
; COMPUTE_PGM_RSRC3_GFX90A:ACCUM_OFFSET: 3
; COMPUTE_PGM_RSRC3_GFX90A:TG_SPLIT: 0
	.section	.text._ZL18rocblas_dot_kernelIlLb1ELi1024ELi32ELb1EDF16_PKDF16_fEviT5_lT_lS2_lS3_liPT6_PT4_,"axG",@progbits,_ZL18rocblas_dot_kernelIlLb1ELi1024ELi32ELb1EDF16_PKDF16_fEviT5_lT_lS2_lS3_liPT6_PT4_,comdat
	.globl	_ZL18rocblas_dot_kernelIlLb1ELi1024ELi32ELb1EDF16_PKDF16_fEviT5_lT_lS2_lS3_liPT6_PT4_ ; -- Begin function _ZL18rocblas_dot_kernelIlLb1ELi1024ELi32ELb1EDF16_PKDF16_fEviT5_lT_lS2_lS3_liPT6_PT4_
	.p2align	8
	.type	_ZL18rocblas_dot_kernelIlLb1ELi1024ELi32ELb1EDF16_PKDF16_fEviT5_lT_lS2_lS3_liPT6_PT4_,@function
_ZL18rocblas_dot_kernelIlLb1ELi1024ELi32ELb1EDF16_PKDF16_fEviT5_lT_lS2_lS3_liPT6_PT4_: ; @_ZL18rocblas_dot_kernelIlLb1ELi1024ELi32ELb1EDF16_PKDF16_fEviT5_lT_lS2_lS3_liPT6_PT4_
; %bb.0:
	s_mov_b32 s2, s7
	s_load_dword s18, s[4:5], 0x0
	s_load_dwordx2 s[6:7], s[4:5], 0x58
	s_mov_b32 s3, 0
	v_mov_b32_e32 v6, 0
	s_waitcnt lgkmcnt(0)
	v_cmp_gt_i32_e32 vcc, s18, v0
	s_and_saveexec_b64 s[16:17], vcc
	s_cbranch_execz .LBB472_4
; %bb.1:
	s_load_dword s19, s[4:5], 0x60
	s_load_dwordx2 s[0:1], s[4:5], 0x40
	s_load_dwordx8 s[8:15], s[4:5], 0x20
	s_load_dwordx2 s[24:25], s[4:5], 0x8
	s_load_dwordx4 s[20:23], s[4:5], 0x10
	s_waitcnt lgkmcnt(0)
	s_lshl_b32 s19, s19, 10
	s_mul_i32 s1, s1, s2
	s_mul_i32 s4, s9, s2
	s_mul_hi_u32 s5, s8, s2
	s_add_i32 s5, s5, s4
	s_mul_i32 s4, s8, s2
	v_mad_u64_u32 v[2:3], s[8:9], s22, v0, 0
	v_mov_b32_e32 v4, v3
	v_mad_u64_u32 v[4:5], s[8:9], s23, v0, v[4:5]
	s_lshl_b64 s[4:5], s[4:5], 1
	s_lshl_b64 s[8:9], s[20:21], 1
	s_add_u32 s8, s24, s8
	s_addc_u32 s9, s25, s9
	v_mov_b32_e32 v3, v4
	s_add_u32 s4, s8, s4
	v_lshlrev_b64 v[2:3], 1, v[2:3]
	s_addc_u32 s5, s9, s5
	v_mov_b32_e32 v4, s5
	v_add_co_u32_e32 v2, vcc, s4, v2
	s_ashr_i32 s20, s19, 31
	s_mul_hi_u32 s8, s0, s2
	v_addc_co_u32_e32 v3, vcc, v4, v3, vcc
	s_mul_i32 s4, s22, s20
	s_mul_hi_u32 s5, s22, s19
	s_add_i32 s1, s8, s1
	v_mad_u64_u32 v[4:5], s[8:9], s14, v0, 0
	s_add_i32 s4, s5, s4
	s_mul_i32 s5, s23, s19
	v_mov_b32_e32 v6, v5
	s_add_i32 s5, s4, s5
	s_mul_i32 s4, s22, s19
	s_mul_i32 s0, s0, s2
	v_mad_u64_u32 v[6:7], s[8:9], s15, v0, v[6:7]
	s_lshl_b64 s[4:5], s[4:5], 1
	s_lshl_b64 s[0:1], s[0:1], 1
	;; [unrolled: 1-line block ×3, first 2 shown]
	s_add_u32 s8, s10, s8
	s_addc_u32 s9, s11, s9
	v_mov_b32_e32 v5, v6
	s_add_u32 s0, s8, s0
	v_lshlrev_b64 v[4:5], 1, v[4:5]
	s_addc_u32 s1, s9, s1
	v_mov_b32_e32 v6, s1
	v_add_co_u32_e32 v4, vcc, s0, v4
	s_mul_i32 s0, s14, s20
	s_mul_hi_u32 s1, s14, s19
	s_add_i32 s0, s1, s0
	s_mul_i32 s1, s15, s19
	s_add_i32 s1, s0, s1
	s_mul_i32 s0, s14, s19
	s_lshl_b64 s[10:11], s[0:1], 1
	v_or_b32_e32 v1, s19, v0
	v_addc_co_u32_e32 v5, vcc, v6, v5, vcc
	s_mov_b64 s[8:9], 0
	v_mov_b32_e32 v6, 0
	v_mov_b32_e32 v7, s5
	;; [unrolled: 1-line block ×3, first 2 shown]
	s_mov_b32 s5, s3
.LBB472_2:                              ; =>This Inner Loop Header: Depth=1
	global_load_ushort v9, v[4:5], off
	global_load_ushort v10, v[2:3], off
	v_add_co_u32_e64 v2, s[0:1], s4, v2
	v_addc_co_u32_e64 v3, s[0:1], v3, v7, s[0:1]
	s_add_i32 s11, s5, 1
	v_add_co_u32_e64 v4, s[0:1], s10, v4
	v_addc_co_u32_e64 v5, s[0:1], v5, v8, s[0:1]
	s_cmp_gt_u32 s5, 30
	v_cmp_le_i32_e32 vcc, s18, v1
	s_cselect_b64 s[0:1], -1, 0
	s_or_b64 s[0:1], s[0:1], vcc
	s_and_b64 s[0:1], exec, s[0:1]
	v_add_u32_e32 v1, s19, v1
	s_mov_b32 s5, s11
	s_or_b64 s[8:9], s[0:1], s[8:9]
	s_waitcnt vmcnt(0)
	v_fma_mix_f32 v6, v9, v10, v6 op_sel_hi:[1,1,0]
	s_andn2_b64 exec, exec, s[8:9]
	s_cbranch_execnz .LBB472_2
; %bb.3:
	s_or_b64 exec, exec, s[8:9]
.LBB472_4:
	s_or_b64 exec, exec, s[16:17]
	v_and_b32_e32 v2, 63, v0
	v_cmp_gt_u32_e32 vcc, 64, v0
	v_lshlrev_b32_e32 v1, 2, v2
	s_and_saveexec_b64 s[0:1], vcc
	s_cbranch_execz .LBB472_6
; %bb.5:
	v_mov_b32_e32 v3, 0
	ds_write_b32 v1, v3
.LBB472_6:
	s_or_b64 exec, exec, s[0:1]
	v_mbcnt_lo_u32_b32 v3, -1, 0
	v_mbcnt_hi_u32_b32 v7, -1, v3
	v_and_b32_e32 v8, 63, v7
	v_cmp_gt_u32_e64 s[0:1], 32, v8
	v_cndmask_b32_e64 v3, 0, 1, s[0:1]
	v_lshlrev_b32_e32 v3, 5, v3
	v_add_lshl_u32 v3, v3, v7, 2
	ds_bpermute_b32 v3, v3, v6
	v_cmp_gt_u32_e64 s[0:1], 48, v8
	v_cndmask_b32_e64 v4, 0, 1, s[0:1]
	v_lshlrev_b32_e32 v4, 4, v4
	v_add_lshl_u32 v4, v4, v7, 2
	s_waitcnt lgkmcnt(0)
	v_add_f32_e32 v3, v6, v3
	ds_bpermute_b32 v4, v4, v3
	v_cmp_gt_u32_e64 s[0:1], 56, v8
	v_cndmask_b32_e64 v5, 0, 1, s[0:1]
	v_lshlrev_b32_e32 v5, 3, v5
	v_cmp_gt_u32_e64 s[0:1], 60, v8
	s_waitcnt lgkmcnt(0)
	v_add_f32_e32 v4, v3, v4
	v_add_lshl_u32 v3, v5, v7, 2
	ds_bpermute_b32 v5, v3, v4
	v_cndmask_b32_e64 v6, 0, 1, s[0:1]
	v_lshlrev_b32_e32 v6, 2, v6
	v_cmp_gt_u32_e64 s[0:1], 62, v8
	v_cndmask_b32_e64 v9, 0, 1, s[0:1]
	s_waitcnt lgkmcnt(0)
	v_add_f32_e32 v5, v4, v5
	v_add_lshl_u32 v4, v6, v7, 2
	ds_bpermute_b32 v6, v4, v5
	v_lshlrev_b32_e32 v9, 1, v9
	v_cmp_ne_u32_e64 s[0:1], 63, v8
	v_addc_co_u32_e64 v8, s[0:1], 0, v7, s[0:1]
	s_waitcnt lgkmcnt(0)
	v_add_f32_e32 v6, v5, v6
	v_add_lshl_u32 v5, v9, v7, 2
	ds_bpermute_b32 v9, v5, v6
	v_cmp_eq_u32_e64 s[0:1], 0, v2
	s_waitcnt lgkmcnt(0)
	s_barrier
	v_add_f32_e32 v7, v6, v9
	v_lshlrev_b32_e32 v6, 2, v8
	ds_bpermute_b32 v8, v6, v7
	s_and_saveexec_b64 s[4:5], s[0:1]
	s_cbranch_execz .LBB472_8
; %bb.7:
	s_waitcnt lgkmcnt(0)
	v_add_f32_e32 v2, v7, v8
	v_lshrrev_b32_e32 v7, 4, v0
	v_and_b32_e32 v7, 60, v7
	ds_write_b32 v7, v2
.LBB472_8:
	s_or_b64 exec, exec, s[4:5]
	v_cmp_gt_u32_e64 s[0:1], 16, v0
	v_mov_b32_e32 v2, 0
	s_waitcnt lgkmcnt(0)
	s_barrier
	s_and_saveexec_b64 s[4:5], s[0:1]
	s_cbranch_execnz .LBB472_12
; %bb.9:
	s_or_b64 exec, exec, s[4:5]
	s_and_saveexec_b64 s[0:1], vcc
	s_cbranch_execnz .LBB472_13
.LBB472_10:
	s_or_b64 exec, exec, s[0:1]
	v_cmp_eq_u32_e32 vcc, 0, v0
	s_and_saveexec_b64 s[0:1], vcc
	s_cbranch_execnz .LBB472_14
.LBB472_11:
	s_endpgm
.LBB472_12:
	ds_read_b32 v2, v1
	s_or_b64 exec, exec, s[4:5]
	s_and_saveexec_b64 s[0:1], vcc
	s_cbranch_execz .LBB472_10
.LBB472_13:
	s_waitcnt lgkmcnt(0)
	ds_bpermute_b32 v1, v3, v2
	s_waitcnt lgkmcnt(0)
	v_add_f32_e32 v1, v2, v1
	ds_bpermute_b32 v2, v4, v1
	s_waitcnt lgkmcnt(0)
	v_add_f32_e32 v1, v1, v2
	;; [unrolled: 3-line block ×4, first 2 shown]
	s_or_b64 exec, exec, s[0:1]
	v_cmp_eq_u32_e32 vcc, 0, v0
	s_and_saveexec_b64 s[0:1], vcc
	s_cbranch_execz .LBB472_11
.LBB472_14:
	s_waitcnt lgkmcnt(0)
	v_cvt_f16_f32_e32 v0, v2
	s_lshl_b64 s[0:1], s[2:3], 1
	s_add_u32 s0, s6, s0
	s_addc_u32 s1, s7, s1
	v_mov_b32_e32 v1, 0
	global_store_short v1, v0, s[0:1]
	s_endpgm
	.section	.rodata,"a",@progbits
	.p2align	6, 0x0
	.amdhsa_kernel _ZL18rocblas_dot_kernelIlLb1ELi1024ELi32ELb1EDF16_PKDF16_fEviT5_lT_lS2_lS3_liPT6_PT4_
		.amdhsa_group_segment_fixed_size 256
		.amdhsa_private_segment_fixed_size 0
		.amdhsa_kernarg_size 352
		.amdhsa_user_sgpr_count 6
		.amdhsa_user_sgpr_private_segment_buffer 1
		.amdhsa_user_sgpr_dispatch_ptr 0
		.amdhsa_user_sgpr_queue_ptr 0
		.amdhsa_user_sgpr_kernarg_segment_ptr 1
		.amdhsa_user_sgpr_dispatch_id 0
		.amdhsa_user_sgpr_flat_scratch_init 0
		.amdhsa_user_sgpr_kernarg_preload_length 0
		.amdhsa_user_sgpr_kernarg_preload_offset 0
		.amdhsa_user_sgpr_private_segment_size 0
		.amdhsa_uses_dynamic_stack 0
		.amdhsa_system_sgpr_private_segment_wavefront_offset 0
		.amdhsa_system_sgpr_workgroup_id_x 1
		.amdhsa_system_sgpr_workgroup_id_y 0
		.amdhsa_system_sgpr_workgroup_id_z 1
		.amdhsa_system_sgpr_workgroup_info 0
		.amdhsa_system_vgpr_workitem_id 0
		.amdhsa_next_free_vgpr 11
		.amdhsa_next_free_sgpr 26
		.amdhsa_accum_offset 12
		.amdhsa_reserve_vcc 1
		.amdhsa_reserve_flat_scratch 0
		.amdhsa_float_round_mode_32 0
		.amdhsa_float_round_mode_16_64 0
		.amdhsa_float_denorm_mode_32 3
		.amdhsa_float_denorm_mode_16_64 3
		.amdhsa_dx10_clamp 1
		.amdhsa_ieee_mode 1
		.amdhsa_fp16_overflow 0
		.amdhsa_tg_split 0
		.amdhsa_exception_fp_ieee_invalid_op 0
		.amdhsa_exception_fp_denorm_src 0
		.amdhsa_exception_fp_ieee_div_zero 0
		.amdhsa_exception_fp_ieee_overflow 0
		.amdhsa_exception_fp_ieee_underflow 0
		.amdhsa_exception_fp_ieee_inexact 0
		.amdhsa_exception_int_div_zero 0
	.end_amdhsa_kernel
	.section	.text._ZL18rocblas_dot_kernelIlLb1ELi1024ELi32ELb1EDF16_PKDF16_fEviT5_lT_lS2_lS3_liPT6_PT4_,"axG",@progbits,_ZL18rocblas_dot_kernelIlLb1ELi1024ELi32ELb1EDF16_PKDF16_fEviT5_lT_lS2_lS3_liPT6_PT4_,comdat
.Lfunc_end472:
	.size	_ZL18rocblas_dot_kernelIlLb1ELi1024ELi32ELb1EDF16_PKDF16_fEviT5_lT_lS2_lS3_liPT6_PT4_, .Lfunc_end472-_ZL18rocblas_dot_kernelIlLb1ELi1024ELi32ELb1EDF16_PKDF16_fEviT5_lT_lS2_lS3_liPT6_PT4_
                                        ; -- End function
	.section	.AMDGPU.csdata,"",@progbits
; Kernel info:
; codeLenInByte = 1008
; NumSgprs: 30
; NumVgprs: 11
; NumAgprs: 0
; TotalNumVgprs: 11
; ScratchSize: 0
; MemoryBound: 0
; FloatMode: 240
; IeeeMode: 1
; LDSByteSize: 256 bytes/workgroup (compile time only)
; SGPRBlocks: 3
; VGPRBlocks: 1
; NumSGPRsForWavesPerEU: 30
; NumVGPRsForWavesPerEU: 11
; AccumOffset: 12
; Occupancy: 8
; WaveLimiterHint : 0
; COMPUTE_PGM_RSRC2:SCRATCH_EN: 0
; COMPUTE_PGM_RSRC2:USER_SGPR: 6
; COMPUTE_PGM_RSRC2:TRAP_HANDLER: 0
; COMPUTE_PGM_RSRC2:TGID_X_EN: 1
; COMPUTE_PGM_RSRC2:TGID_Y_EN: 0
; COMPUTE_PGM_RSRC2:TGID_Z_EN: 1
; COMPUTE_PGM_RSRC2:TIDIG_COMP_CNT: 0
; COMPUTE_PGM_RSRC3_GFX90A:ACCUM_OFFSET: 2
; COMPUTE_PGM_RSRC3_GFX90A:TG_SPLIT: 0
	.section	.text._ZL24rocblas_dot_kernel_magsqIlLb1ELi1024ELi32ELb1EDF16_PKDF16_fEviT5_lT_liPT6_PT4_,"axG",@progbits,_ZL24rocblas_dot_kernel_magsqIlLb1ELi1024ELi32ELb1EDF16_PKDF16_fEviT5_lT_liPT6_PT4_,comdat
	.globl	_ZL24rocblas_dot_kernel_magsqIlLb1ELi1024ELi32ELb1EDF16_PKDF16_fEviT5_lT_liPT6_PT4_ ; -- Begin function _ZL24rocblas_dot_kernel_magsqIlLb1ELi1024ELi32ELb1EDF16_PKDF16_fEviT5_lT_liPT6_PT4_
	.p2align	8
	.type	_ZL24rocblas_dot_kernel_magsqIlLb1ELi1024ELi32ELb1EDF16_PKDF16_fEviT5_lT_liPT6_PT4_,@function
_ZL24rocblas_dot_kernel_magsqIlLb1ELi1024ELi32ELb1EDF16_PKDF16_fEviT5_lT_liPT6_PT4_: ; @_ZL24rocblas_dot_kernel_magsqIlLb1ELi1024ELi32ELb1EDF16_PKDF16_fEviT5_lT_liPT6_PT4_
; %bb.0:
	s_mov_b32 s2, s7
	s_load_dword s12, s[4:5], 0x0
	s_load_dwordx2 s[6:7], s[4:5], 0x38
	s_mov_b32 s3, 0
	v_mov_b32_e32 v1, 0
	s_waitcnt lgkmcnt(0)
	v_cmp_gt_i32_e32 vcc, s12, v0
	s_and_saveexec_b64 s[8:9], vcc
	s_cbranch_execz .LBB473_4
; %bb.1:
	s_load_dword s13, s[4:5], 0x40
	s_load_dwordx2 s[0:1], s[4:5], 0x20
	s_load_dwordx2 s[10:11], s[4:5], 0x8
	s_load_dwordx4 s[16:19], s[4:5], 0x10
	s_waitcnt lgkmcnt(0)
	s_lshl_b32 s13, s13, 10
	s_mul_i32 s1, s1, s2
	s_mul_hi_u32 s4, s0, s2
	s_add_i32 s1, s4, s1
	v_mad_u64_u32 v[2:3], s[4:5], s18, v0, 0
	v_mov_b32_e32 v6, v3
	s_mul_i32 s0, s0, s2
	v_mad_u64_u32 v[6:7], s[4:5], s19, v0, v[6:7]
	s_lshl_b64 s[0:1], s[0:1], 1
	s_lshl_b64 s[4:5], s[16:17], 1
	s_add_u32 s4, s10, s4
	v_mov_b32_e32 v3, v6
	s_addc_u32 s5, s11, s5
	v_lshlrev_b64 v[2:3], 1, v[2:3]
	s_add_u32 s0, s4, s0
	s_addc_u32 s1, s5, s1
	v_add_co_u32_e32 v2, vcc, s0, v2
	s_ashr_i32 s0, s13, 31
	v_mov_b32_e32 v1, s1
	s_mul_i32 s0, s18, s0
	s_mul_hi_u32 s1, s18, s13
	s_add_i32 s0, s1, s0
	s_mul_i32 s1, s19, s13
	s_add_i32 s1, s0, s1
	s_mul_i32 s0, s18, s13
	s_lshl_b64 s[10:11], s[0:1], 1
	v_or_b32_e32 v4, s13, v0
	v_addc_co_u32_e32 v3, vcc, v1, v3, vcc
	s_mov_b64 s[4:5], 0
	v_mov_b32_e32 v1, 0
	v_mov_b32_e32 v5, s11
	s_mov_b32 s11, s3
.LBB473_2:                              ; =>This Inner Loop Header: Depth=1
	global_load_ushort v6, v[2:3], off
	s_add_i32 s14, s11, 1
	v_add_co_u32_e64 v2, s[0:1], s10, v2
	v_addc_co_u32_e64 v3, s[0:1], v3, v5, s[0:1]
	s_cmp_gt_u32 s11, 30
	v_cmp_le_i32_e32 vcc, s12, v4
	s_cselect_b64 s[0:1], -1, 0
	s_or_b64 s[0:1], s[0:1], vcc
	s_and_b64 s[0:1], exec, s[0:1]
	v_add_u32_e32 v4, s13, v4
	s_mov_b32 s11, s14
	s_or_b64 s[4:5], s[0:1], s[4:5]
	s_waitcnt vmcnt(0)
	v_fma_mix_f32 v1, v6, v6, v1 op_sel_hi:[1,1,0]
	s_andn2_b64 exec, exec, s[4:5]
	s_cbranch_execnz .LBB473_2
; %bb.3:
	s_or_b64 exec, exec, s[4:5]
.LBB473_4:
	s_or_b64 exec, exec, s[8:9]
	v_and_b32_e32 v3, 63, v0
	v_cmp_gt_u32_e32 vcc, 64, v0
	v_lshlrev_b32_e32 v2, 2, v3
	s_and_saveexec_b64 s[0:1], vcc
	s_cbranch_execz .LBB473_6
; %bb.5:
	v_mov_b32_e32 v4, 0
	ds_write_b32 v2, v4
.LBB473_6:
	s_or_b64 exec, exec, s[0:1]
	v_mbcnt_lo_u32_b32 v4, -1, 0
	v_mbcnt_hi_u32_b32 v6, -1, v4
	v_and_b32_e32 v7, 63, v6
	v_cmp_gt_u32_e64 s[0:1], 32, v7
	v_cndmask_b32_e64 v4, 0, 1, s[0:1]
	v_lshlrev_b32_e32 v4, 5, v4
	v_add_lshl_u32 v4, v4, v6, 2
	ds_bpermute_b32 v4, v4, v1
	v_cmp_gt_u32_e64 s[0:1], 48, v7
	v_cndmask_b32_e64 v5, 0, 1, s[0:1]
	v_lshlrev_b32_e32 v5, 4, v5
	v_cmp_gt_u32_e64 s[0:1], 56, v7
	s_waitcnt lgkmcnt(0)
	v_add_f32_e32 v1, v1, v4
	v_add_lshl_u32 v4, v5, v6, 2
	ds_bpermute_b32 v4, v4, v1
	v_cndmask_b32_e64 v5, 0, 1, s[0:1]
	v_lshlrev_b32_e32 v5, 3, v5
	v_cmp_gt_u32_e64 s[0:1], 60, v7
	v_cndmask_b32_e64 v8, 0, 1, s[0:1]
	s_waitcnt lgkmcnt(0)
	v_add_f32_e32 v4, v1, v4
	v_add_lshl_u32 v1, v5, v6, 2
	ds_bpermute_b32 v5, v1, v4
	v_lshlrev_b32_e32 v8, 2, v8
	v_cmp_gt_u32_e64 s[0:1], 62, v7
	v_cndmask_b32_e64 v9, 0, 1, s[0:1]
	v_lshlrev_b32_e32 v9, 1, v9
	s_waitcnt lgkmcnt(0)
	v_add_f32_e32 v5, v4, v5
	v_add_lshl_u32 v4, v8, v6, 2
	ds_bpermute_b32 v8, v4, v5
	v_cmp_ne_u32_e64 s[0:1], 63, v7
	s_waitcnt lgkmcnt(0)
	s_barrier
	v_add_f32_e32 v8, v5, v8
	v_add_lshl_u32 v5, v9, v6, 2
	ds_bpermute_b32 v9, v5, v8
	v_addc_co_u32_e64 v6, s[0:1], 0, v6, s[0:1]
	v_lshlrev_b32_e32 v6, 2, v6
	v_cmp_eq_u32_e64 s[0:1], 0, v3
	s_waitcnt lgkmcnt(0)
	v_add_f32_e32 v7, v8, v9
	ds_bpermute_b32 v8, v6, v7
	s_and_saveexec_b64 s[4:5], s[0:1]
	s_cbranch_execz .LBB473_8
; %bb.7:
	s_waitcnt lgkmcnt(0)
	v_add_f32_e32 v3, v7, v8
	v_lshrrev_b32_e32 v7, 4, v0
	v_and_b32_e32 v7, 60, v7
	ds_write_b32 v7, v3
.LBB473_8:
	s_or_b64 exec, exec, s[4:5]
	v_cmp_gt_u32_e64 s[0:1], 16, v0
	v_mov_b32_e32 v3, 0
	s_waitcnt lgkmcnt(0)
	s_barrier
	s_and_saveexec_b64 s[4:5], s[0:1]
	s_cbranch_execnz .LBB473_12
; %bb.9:
	s_or_b64 exec, exec, s[4:5]
	s_and_saveexec_b64 s[0:1], vcc
	s_cbranch_execnz .LBB473_13
.LBB473_10:
	s_or_b64 exec, exec, s[0:1]
	v_cmp_eq_u32_e32 vcc, 0, v0
	s_and_saveexec_b64 s[0:1], vcc
	s_cbranch_execnz .LBB473_14
.LBB473_11:
	s_endpgm
.LBB473_12:
	ds_read_b32 v3, v2
	s_or_b64 exec, exec, s[4:5]
	s_and_saveexec_b64 s[0:1], vcc
	s_cbranch_execz .LBB473_10
.LBB473_13:
	s_waitcnt lgkmcnt(0)
	ds_bpermute_b32 v1, v1, v3
	s_waitcnt lgkmcnt(0)
	v_add_f32_e32 v1, v3, v1
	ds_bpermute_b32 v2, v4, v1
	s_waitcnt lgkmcnt(0)
	v_add_f32_e32 v1, v1, v2
	;; [unrolled: 3-line block ×4, first 2 shown]
	s_or_b64 exec, exec, s[0:1]
	v_cmp_eq_u32_e32 vcc, 0, v0
	s_and_saveexec_b64 s[0:1], vcc
	s_cbranch_execz .LBB473_11
.LBB473_14:
	s_waitcnt lgkmcnt(0)
	v_cvt_f16_f32_e32 v0, v3
	s_lshl_b64 s[0:1], s[2:3], 1
	s_add_u32 s0, s6, s0
	s_addc_u32 s1, s7, s1
	v_mov_b32_e32 v1, 0
	global_store_short v1, v0, s[0:1]
	s_endpgm
	.section	.rodata,"a",@progbits
	.p2align	6, 0x0
	.amdhsa_kernel _ZL24rocblas_dot_kernel_magsqIlLb1ELi1024ELi32ELb1EDF16_PKDF16_fEviT5_lT_liPT6_PT4_
		.amdhsa_group_segment_fixed_size 256
		.amdhsa_private_segment_fixed_size 0
		.amdhsa_kernarg_size 320
		.amdhsa_user_sgpr_count 6
		.amdhsa_user_sgpr_private_segment_buffer 1
		.amdhsa_user_sgpr_dispatch_ptr 0
		.amdhsa_user_sgpr_queue_ptr 0
		.amdhsa_user_sgpr_kernarg_segment_ptr 1
		.amdhsa_user_sgpr_dispatch_id 0
		.amdhsa_user_sgpr_flat_scratch_init 0
		.amdhsa_user_sgpr_kernarg_preload_length 0
		.amdhsa_user_sgpr_kernarg_preload_offset 0
		.amdhsa_user_sgpr_private_segment_size 0
		.amdhsa_uses_dynamic_stack 0
		.amdhsa_system_sgpr_private_segment_wavefront_offset 0
		.amdhsa_system_sgpr_workgroup_id_x 1
		.amdhsa_system_sgpr_workgroup_id_y 0
		.amdhsa_system_sgpr_workgroup_id_z 1
		.amdhsa_system_sgpr_workgroup_info 0
		.amdhsa_system_vgpr_workitem_id 0
		.amdhsa_next_free_vgpr 10
		.amdhsa_next_free_sgpr 20
		.amdhsa_accum_offset 12
		.amdhsa_reserve_vcc 1
		.amdhsa_reserve_flat_scratch 0
		.amdhsa_float_round_mode_32 0
		.amdhsa_float_round_mode_16_64 0
		.amdhsa_float_denorm_mode_32 3
		.amdhsa_float_denorm_mode_16_64 3
		.amdhsa_dx10_clamp 1
		.amdhsa_ieee_mode 1
		.amdhsa_fp16_overflow 0
		.amdhsa_tg_split 0
		.amdhsa_exception_fp_ieee_invalid_op 0
		.amdhsa_exception_fp_denorm_src 0
		.amdhsa_exception_fp_ieee_div_zero 0
		.amdhsa_exception_fp_ieee_overflow 0
		.amdhsa_exception_fp_ieee_underflow 0
		.amdhsa_exception_fp_ieee_inexact 0
		.amdhsa_exception_int_div_zero 0
	.end_amdhsa_kernel
	.section	.text._ZL24rocblas_dot_kernel_magsqIlLb1ELi1024ELi32ELb1EDF16_PKDF16_fEviT5_lT_liPT6_PT4_,"axG",@progbits,_ZL24rocblas_dot_kernel_magsqIlLb1ELi1024ELi32ELb1EDF16_PKDF16_fEviT5_lT_liPT6_PT4_,comdat
.Lfunc_end473:
	.size	_ZL24rocblas_dot_kernel_magsqIlLb1ELi1024ELi32ELb1EDF16_PKDF16_fEviT5_lT_liPT6_PT4_, .Lfunc_end473-_ZL24rocblas_dot_kernel_magsqIlLb1ELi1024ELi32ELb1EDF16_PKDF16_fEviT5_lT_liPT6_PT4_
                                        ; -- End function
	.section	.AMDGPU.csdata,"",@progbits
; Kernel info:
; codeLenInByte = 860
; NumSgprs: 24
; NumVgprs: 10
; NumAgprs: 0
; TotalNumVgprs: 10
; ScratchSize: 0
; MemoryBound: 0
; FloatMode: 240
; IeeeMode: 1
; LDSByteSize: 256 bytes/workgroup (compile time only)
; SGPRBlocks: 2
; VGPRBlocks: 1
; NumSGPRsForWavesPerEU: 24
; NumVGPRsForWavesPerEU: 10
; AccumOffset: 12
; Occupancy: 8
; WaveLimiterHint : 0
; COMPUTE_PGM_RSRC2:SCRATCH_EN: 0
; COMPUTE_PGM_RSRC2:USER_SGPR: 6
; COMPUTE_PGM_RSRC2:TRAP_HANDLER: 0
; COMPUTE_PGM_RSRC2:TGID_X_EN: 1
; COMPUTE_PGM_RSRC2:TGID_Y_EN: 0
; COMPUTE_PGM_RSRC2:TGID_Z_EN: 1
; COMPUTE_PGM_RSRC2:TIDIG_COMP_CNT: 0
; COMPUTE_PGM_RSRC3_GFX90A:ACCUM_OFFSET: 2
; COMPUTE_PGM_RSRC3_GFX90A:TG_SPLIT: 0
	.section	.text._ZL18rocblas_dot_kernelIlLb0ELi512ELi8ELb1EDF16_PKDF16_fEviT5_lT_lS2_lS3_liPT6_PT4_,"axG",@progbits,_ZL18rocblas_dot_kernelIlLb0ELi512ELi8ELb1EDF16_PKDF16_fEviT5_lT_lS2_lS3_liPT6_PT4_,comdat
	.globl	_ZL18rocblas_dot_kernelIlLb0ELi512ELi8ELb1EDF16_PKDF16_fEviT5_lT_lS2_lS3_liPT6_PT4_ ; -- Begin function _ZL18rocblas_dot_kernelIlLb0ELi512ELi8ELb1EDF16_PKDF16_fEviT5_lT_lS2_lS3_liPT6_PT4_
	.p2align	8
	.type	_ZL18rocblas_dot_kernelIlLb0ELi512ELi8ELb1EDF16_PKDF16_fEviT5_lT_lS2_lS3_liPT6_PT4_,@function
_ZL18rocblas_dot_kernelIlLb0ELi512ELi8ELb1EDF16_PKDF16_fEviT5_lT_lS2_lS3_liPT6_PT4_: ; @_ZL18rocblas_dot_kernelIlLb0ELi512ELi8ELb1EDF16_PKDF16_fEviT5_lT_lS2_lS3_liPT6_PT4_
; %bb.0:
	s_mov_b32 s2, s7
	s_load_dword s22, s[4:5], 0x60
	s_load_dword s7, s[4:5], 0x0
	s_load_dwordx4 s[16:19], s[4:5], 0x50
	v_lshl_or_b32 v4, s6, 9, v0
	s_mov_b32 s3, 0
	v_mov_b32_e32 v6, 0
	s_waitcnt lgkmcnt(0)
	v_cmp_gt_i32_e32 vcc, s7, v4
	s_and_saveexec_b64 s[20:21], vcc
	s_cbranch_execz .LBB474_4
; %bb.1:
	s_load_dwordx8 s[8:15], s[4:5], 0x20
	s_load_dwordx2 s[0:1], s[4:5], 0x8
	s_load_dwordx4 s[24:27], s[4:5], 0x10
	s_load_dwordx2 s[28:29], s[4:5], 0x40
	s_lshl_b32 s23, s22, 9
	v_ashrrev_i32_e32 v5, 31, v4
	v_add_u32_e32 v1, s23, v4
	s_waitcnt lgkmcnt(0)
	v_mad_u64_u32 v[2:3], s[4:5], s26, v4, 0
	s_mul_i32 s4, s9, s2
	s_mul_hi_u32 s5, s8, s2
	s_add_i32 s5, s5, s4
	s_mul_i32 s4, s8, s2
	s_lshl_b64 s[4:5], s[4:5], 1
	s_lshl_b64 s[8:9], s[24:25], 1
	s_add_u32 s0, s0, s8
	v_mul_lo_u32 v6, s27, v4
	v_mul_lo_u32 v7, s26, v5
	s_addc_u32 s1, s1, s9
	v_add3_u32 v3, v3, v7, v6
	s_add_u32 s0, s0, s4
	v_lshlrev_b64 v[2:3], 1, v[2:3]
	s_addc_u32 s1, s1, s5
	s_ashr_i32 s24, s23, 31
	v_mov_b32_e32 v6, s1
	v_add_co_u32_e32 v2, vcc, s0, v2
	s_mul_i32 s0, s26, s24
	s_mul_hi_u32 s1, s26, s23
	s_add_i32 s0, s1, s0
	s_mul_i32 s1, s27, s23
	s_add_i32 s1, s0, s1
	s_mul_i32 s0, s26, s23
	v_addc_co_u32_e32 v3, vcc, v6, v3, vcc
	s_lshl_b64 s[4:5], s[0:1], 1
	v_mul_lo_u32 v6, s15, v4
	v_mul_lo_u32 v7, s14, v5
	v_mad_u64_u32 v[4:5], s[0:1], s14, v4, 0
	s_mul_i32 s0, s29, s2
	s_mul_hi_u32 s1, s28, s2
	s_add_i32 s1, s1, s0
	s_mul_i32 s0, s28, s2
	s_lshl_b64 s[0:1], s[0:1], 1
	s_lshl_b64 s[8:9], s[12:13], 1
	s_add_u32 s8, s10, s8
	s_addc_u32 s9, s11, s9
	v_add3_u32 v5, v5, v7, v6
	s_add_u32 s0, s8, s0
	v_lshlrev_b64 v[4:5], 1, v[4:5]
	s_addc_u32 s1, s9, s1
	v_mov_b32_e32 v6, s1
	v_add_co_u32_e32 v4, vcc, s0, v4
	s_mul_i32 s0, s14, s24
	s_mul_hi_u32 s1, s14, s23
	s_add_i32 s0, s1, s0
	s_mul_i32 s1, s15, s23
	s_add_i32 s1, s0, s1
	s_mul_i32 s0, s14, s23
	s_lshl_b64 s[10:11], s[0:1], 1
	v_addc_co_u32_e32 v5, vcc, v6, v5, vcc
	s_mov_b64 s[8:9], 0
	v_mov_b32_e32 v6, 0
	v_mov_b32_e32 v7, s5
	;; [unrolled: 1-line block ×3, first 2 shown]
	s_mov_b32 s5, s3
.LBB474_2:                              ; =>This Inner Loop Header: Depth=1
	global_load_ushort v9, v[4:5], off
	global_load_ushort v10, v[2:3], off
	v_add_co_u32_e64 v2, s[0:1], s4, v2
	v_addc_co_u32_e64 v3, s[0:1], v3, v7, s[0:1]
	s_add_i32 s11, s5, 1
	v_add_co_u32_e64 v4, s[0:1], s10, v4
	v_addc_co_u32_e64 v5, s[0:1], v5, v8, s[0:1]
	s_cmp_gt_u32 s5, 6
	v_cmp_le_i32_e32 vcc, s7, v1
	s_cselect_b64 s[0:1], -1, 0
	s_or_b64 s[0:1], s[0:1], vcc
	s_and_b64 s[0:1], exec, s[0:1]
	v_add_u32_e32 v1, s23, v1
	s_mov_b32 s5, s11
	s_or_b64 s[8:9], s[0:1], s[8:9]
	s_waitcnt vmcnt(0)
	v_fma_mix_f32 v6, v9, v10, v6 op_sel_hi:[1,1,0]
	s_andn2_b64 exec, exec, s[8:9]
	s_cbranch_execnz .LBB474_2
; %bb.3:
	s_or_b64 exec, exec, s[8:9]
.LBB474_4:
	s_or_b64 exec, exec, s[20:21]
	v_and_b32_e32 v2, 63, v0
	v_cmp_gt_u32_e32 vcc, 64, v0
	v_lshlrev_b32_e32 v1, 2, v2
	s_and_saveexec_b64 s[0:1], vcc
	s_cbranch_execz .LBB474_6
; %bb.5:
	v_mov_b32_e32 v3, 0
	ds_write_b32 v1, v3
.LBB474_6:
	s_or_b64 exec, exec, s[0:1]
	v_mbcnt_lo_u32_b32 v3, -1, 0
	v_mbcnt_hi_u32_b32 v5, -1, v3
	v_and_b32_e32 v7, 63, v5
	v_cmp_gt_u32_e64 s[0:1], 32, v7
	v_cndmask_b32_e64 v3, 0, 1, s[0:1]
	v_lshlrev_b32_e32 v3, 5, v3
	v_add_lshl_u32 v3, v3, v5, 2
	ds_bpermute_b32 v3, v3, v6
	v_cmp_gt_u32_e64 s[0:1], 48, v7
	v_cndmask_b32_e64 v4, 0, 1, s[0:1]
	v_lshlrev_b32_e32 v4, 4, v4
	v_add_lshl_u32 v4, v4, v5, 2
	s_waitcnt lgkmcnt(0)
	v_add_f32_e32 v3, v6, v3
	ds_bpermute_b32 v4, v4, v3
	v_cmp_gt_u32_e64 s[0:1], 56, v7
	v_cndmask_b32_e64 v6, 0, 1, s[0:1]
	v_lshlrev_b32_e32 v6, 3, v6
	v_cmp_gt_u32_e64 s[0:1], 60, v7
	s_waitcnt lgkmcnt(0)
	v_add_f32_e32 v3, v3, v4
	v_add_lshl_u32 v4, v6, v5, 2
	ds_bpermute_b32 v4, v4, v3
	v_cndmask_b32_e64 v6, 0, 1, s[0:1]
	v_lshlrev_b32_e32 v6, 2, v6
	v_cmp_gt_u32_e64 s[0:1], 62, v7
	v_cndmask_b32_e64 v8, 0, 1, s[0:1]
	s_waitcnt lgkmcnt(0)
	v_add_f32_e32 v4, v3, v4
	v_add_lshl_u32 v3, v6, v5, 2
	ds_bpermute_b32 v6, v3, v4
	v_lshlrev_b32_e32 v8, 1, v8
	v_cmp_ne_u32_e64 s[0:1], 63, v7
	s_waitcnt lgkmcnt(0)
	s_barrier
	v_add_f32_e32 v6, v4, v6
	v_add_lshl_u32 v4, v8, v5, 2
	ds_bpermute_b32 v8, v4, v6
	v_addc_co_u32_e64 v5, s[0:1], 0, v5, s[0:1]
	v_lshlrev_b32_e32 v5, 2, v5
	v_cmp_eq_u32_e64 s[0:1], 0, v2
	s_waitcnt lgkmcnt(0)
	v_add_f32_e32 v6, v6, v8
	ds_bpermute_b32 v7, v5, v6
	s_waitcnt lgkmcnt(0)
	s_and_saveexec_b64 s[4:5], s[0:1]
	s_cbranch_execz .LBB474_8
; %bb.7:
	v_add_f32_e32 v2, v6, v7
	v_lshrrev_b32_e32 v6, 4, v0
	v_and_b32_e32 v6, 28, v6
	ds_write_b32 v6, v2
.LBB474_8:
	s_or_b64 exec, exec, s[4:5]
	v_cmp_gt_u32_e64 s[0:1], 8, v0
	v_mov_b32_e32 v2, 0
	s_waitcnt lgkmcnt(0)
	s_barrier
	s_and_saveexec_b64 s[4:5], s[0:1]
	s_cbranch_execnz .LBB474_12
; %bb.9:
	s_or_b64 exec, exec, s[4:5]
	s_and_saveexec_b64 s[0:1], vcc
	s_cbranch_execnz .LBB474_13
.LBB474_10:
	s_or_b64 exec, exec, s[0:1]
	v_cmp_eq_u32_e32 vcc, 0, v0
	s_and_saveexec_b64 s[0:1], vcc
	s_cbranch_execnz .LBB474_14
.LBB474_11:
	s_endpgm
.LBB474_12:
	ds_read_b32 v2, v1
	s_or_b64 exec, exec, s[4:5]
	s_and_saveexec_b64 s[0:1], vcc
	s_cbranch_execz .LBB474_10
.LBB474_13:
	s_waitcnt lgkmcnt(0)
	ds_bpermute_b32 v1, v3, v2
	s_waitcnt lgkmcnt(0)
	v_add_f32_e32 v1, v2, v1
	ds_bpermute_b32 v2, v4, v1
	s_waitcnt lgkmcnt(0)
	v_add_f32_e32 v1, v1, v2
	;; [unrolled: 3-line block ×3, first 2 shown]
	s_or_b64 exec, exec, s[0:1]
	v_cmp_eq_u32_e32 vcc, 0, v0
	s_and_saveexec_b64 s[0:1], vcc
	s_cbranch_execz .LBB474_11
.LBB474_14:
	s_cmp_lg_u32 s22, 1
	s_mov_b64 s[0:1], -1
	s_cbranch_scc0 .LBB474_16
; %bb.15:
	s_mul_hi_u32 s1, s22, s2
	s_mul_i32 s0, s22, s2
	s_lshl_b64 s[0:1], s[0:1], 2
	s_mov_b32 s7, 0
	s_add_u32 s4, s16, s0
	s_addc_u32 s5, s17, s1
	s_lshl_b64 s[0:1], s[6:7], 2
	s_add_u32 s0, s4, s0
	s_addc_u32 s1, s5, s1
	v_mov_b32_e32 v0, 0
	s_waitcnt lgkmcnt(0)
	global_store_dword v0, v2, s[0:1]
	s_mov_b64 s[0:1], 0
.LBB474_16:
	s_andn2_b64 vcc, exec, s[0:1]
	s_cbranch_vccnz .LBB474_11
; %bb.17:
	s_waitcnt lgkmcnt(0)
	v_cvt_f16_f32_e32 v0, v2
	s_lshl_b64 s[0:1], s[2:3], 1
	s_add_u32 s0, s18, s0
	s_addc_u32 s1, s19, s1
	v_mov_b32_e32 v1, 0
	global_store_short v1, v0, s[0:1]
	s_endpgm
	.section	.rodata,"a",@progbits
	.p2align	6, 0x0
	.amdhsa_kernel _ZL18rocblas_dot_kernelIlLb0ELi512ELi8ELb1EDF16_PKDF16_fEviT5_lT_lS2_lS3_liPT6_PT4_
		.amdhsa_group_segment_fixed_size 256
		.amdhsa_private_segment_fixed_size 0
		.amdhsa_kernarg_size 352
		.amdhsa_user_sgpr_count 6
		.amdhsa_user_sgpr_private_segment_buffer 1
		.amdhsa_user_sgpr_dispatch_ptr 0
		.amdhsa_user_sgpr_queue_ptr 0
		.amdhsa_user_sgpr_kernarg_segment_ptr 1
		.amdhsa_user_sgpr_dispatch_id 0
		.amdhsa_user_sgpr_flat_scratch_init 0
		.amdhsa_user_sgpr_kernarg_preload_length 0
		.amdhsa_user_sgpr_kernarg_preload_offset 0
		.amdhsa_user_sgpr_private_segment_size 0
		.amdhsa_uses_dynamic_stack 0
		.amdhsa_system_sgpr_private_segment_wavefront_offset 0
		.amdhsa_system_sgpr_workgroup_id_x 1
		.amdhsa_system_sgpr_workgroup_id_y 0
		.amdhsa_system_sgpr_workgroup_id_z 1
		.amdhsa_system_sgpr_workgroup_info 0
		.amdhsa_system_vgpr_workitem_id 0
		.amdhsa_next_free_vgpr 11
		.amdhsa_next_free_sgpr 30
		.amdhsa_accum_offset 12
		.amdhsa_reserve_vcc 1
		.amdhsa_reserve_flat_scratch 0
		.amdhsa_float_round_mode_32 0
		.amdhsa_float_round_mode_16_64 0
		.amdhsa_float_denorm_mode_32 3
		.amdhsa_float_denorm_mode_16_64 3
		.amdhsa_dx10_clamp 1
		.amdhsa_ieee_mode 1
		.amdhsa_fp16_overflow 0
		.amdhsa_tg_split 0
		.amdhsa_exception_fp_ieee_invalid_op 0
		.amdhsa_exception_fp_denorm_src 0
		.amdhsa_exception_fp_ieee_div_zero 0
		.amdhsa_exception_fp_ieee_overflow 0
		.amdhsa_exception_fp_ieee_underflow 0
		.amdhsa_exception_fp_ieee_inexact 0
		.amdhsa_exception_int_div_zero 0
	.end_amdhsa_kernel
	.section	.text._ZL18rocblas_dot_kernelIlLb0ELi512ELi8ELb1EDF16_PKDF16_fEviT5_lT_lS2_lS3_liPT6_PT4_,"axG",@progbits,_ZL18rocblas_dot_kernelIlLb0ELi512ELi8ELb1EDF16_PKDF16_fEviT5_lT_lS2_lS3_liPT6_PT4_,comdat
.Lfunc_end474:
	.size	_ZL18rocblas_dot_kernelIlLb0ELi512ELi8ELb1EDF16_PKDF16_fEviT5_lT_lS2_lS3_liPT6_PT4_, .Lfunc_end474-_ZL18rocblas_dot_kernelIlLb0ELi512ELi8ELb1EDF16_PKDF16_fEviT5_lT_lS2_lS3_liPT6_PT4_
                                        ; -- End function
	.section	.AMDGPU.csdata,"",@progbits
; Kernel info:
; codeLenInByte = 1096
; NumSgprs: 34
; NumVgprs: 11
; NumAgprs: 0
; TotalNumVgprs: 11
; ScratchSize: 0
; MemoryBound: 0
; FloatMode: 240
; IeeeMode: 1
; LDSByteSize: 256 bytes/workgroup (compile time only)
; SGPRBlocks: 4
; VGPRBlocks: 1
; NumSGPRsForWavesPerEU: 34
; NumVGPRsForWavesPerEU: 11
; AccumOffset: 12
; Occupancy: 8
; WaveLimiterHint : 0
; COMPUTE_PGM_RSRC2:SCRATCH_EN: 0
; COMPUTE_PGM_RSRC2:USER_SGPR: 6
; COMPUTE_PGM_RSRC2:TRAP_HANDLER: 0
; COMPUTE_PGM_RSRC2:TGID_X_EN: 1
; COMPUTE_PGM_RSRC2:TGID_Y_EN: 0
; COMPUTE_PGM_RSRC2:TGID_Z_EN: 1
; COMPUTE_PGM_RSRC2:TIDIG_COMP_CNT: 0
; COMPUTE_PGM_RSRC3_GFX90A:ACCUM_OFFSET: 2
; COMPUTE_PGM_RSRC3_GFX90A:TG_SPLIT: 0
	.section	.text._ZL24rocblas_dot_kernel_magsqIlLb0ELi512ELi8ELb1EDF16_PKDF16_fEviT5_lT_liPT6_PT4_,"axG",@progbits,_ZL24rocblas_dot_kernel_magsqIlLb0ELi512ELi8ELb1EDF16_PKDF16_fEviT5_lT_liPT6_PT4_,comdat
	.globl	_ZL24rocblas_dot_kernel_magsqIlLb0ELi512ELi8ELb1EDF16_PKDF16_fEviT5_lT_liPT6_PT4_ ; -- Begin function _ZL24rocblas_dot_kernel_magsqIlLb0ELi512ELi8ELb1EDF16_PKDF16_fEviT5_lT_liPT6_PT4_
	.p2align	8
	.type	_ZL24rocblas_dot_kernel_magsqIlLb0ELi512ELi8ELb1EDF16_PKDF16_fEviT5_lT_liPT6_PT4_,@function
_ZL24rocblas_dot_kernel_magsqIlLb0ELi512ELi8ELb1EDF16_PKDF16_fEviT5_lT_liPT6_PT4_: ; @_ZL24rocblas_dot_kernel_magsqIlLb0ELi512ELi8ELb1EDF16_PKDF16_fEviT5_lT_liPT6_PT4_
; %bb.0:
	s_mov_b32 s2, s7
	s_load_dword s7, s[4:5], 0x0
	s_load_dwordx4 s[8:11], s[4:5], 0x30
	s_load_dword s16, s[4:5], 0x40
	v_lshl_or_b32 v2, s6, 9, v0
	s_mov_b32 s3, 0
	s_waitcnt lgkmcnt(0)
	v_cmp_gt_i32_e32 vcc, s7, v2
	v_mov_b32_e32 v1, 0
	s_and_saveexec_b64 s[12:13], vcc
	s_cbranch_execz .LBB475_4
; %bb.1:
	s_load_dwordx2 s[0:1], s[4:5], 0x8
	s_load_dwordx4 s[20:23], s[4:5], 0x10
	s_load_dwordx2 s[14:15], s[4:5], 0x20
	s_lshl_b32 s17, s16, 9
	v_add_u32_e32 v4, s17, v2
	v_ashrrev_i32_e32 v1, 31, v2
	s_waitcnt lgkmcnt(0)
	v_mul_lo_u32 v5, s23, v2
	v_mad_u64_u32 v[2:3], s[4:5], s22, v2, 0
	s_mul_i32 s4, s15, s2
	s_mul_hi_u32 s5, s14, s2
	s_add_i32 s5, s5, s4
	s_mul_i32 s4, s14, s2
	s_lshl_b64 s[4:5], s[4:5], 1
	s_lshl_b64 s[14:15], s[20:21], 1
	v_mul_lo_u32 v1, s22, v1
	s_add_u32 s0, s0, s14
	v_add3_u32 v3, v3, v1, v5
	s_addc_u32 s1, s1, s15
	v_lshlrev_b64 v[2:3], 1, v[2:3]
	s_add_u32 s0, s0, s4
	s_addc_u32 s1, s1, s5
	v_add_co_u32_e32 v2, vcc, s0, v2
	s_ashr_i32 s0, s17, 31
	v_mov_b32_e32 v1, s1
	s_mul_i32 s0, s22, s0
	s_mul_hi_u32 s1, s22, s17
	s_add_i32 s0, s1, s0
	s_mul_i32 s1, s23, s17
	s_add_i32 s1, s0, s1
	s_mul_i32 s0, s22, s17
	s_lshl_b64 s[14:15], s[0:1], 1
	v_addc_co_u32_e32 v3, vcc, v1, v3, vcc
	s_mov_b64 s[4:5], 0
	v_mov_b32_e32 v1, 0
	v_mov_b32_e32 v5, s15
	s_mov_b32 s15, s3
.LBB475_2:                              ; =>This Inner Loop Header: Depth=1
	global_load_ushort v6, v[2:3], off
	s_add_i32 s18, s15, 1
	v_add_co_u32_e64 v2, s[0:1], s14, v2
	v_addc_co_u32_e64 v3, s[0:1], v3, v5, s[0:1]
	s_cmp_gt_u32 s15, 6
	v_cmp_le_i32_e32 vcc, s7, v4
	s_cselect_b64 s[0:1], -1, 0
	s_or_b64 s[0:1], s[0:1], vcc
	s_and_b64 s[0:1], exec, s[0:1]
	v_add_u32_e32 v4, s17, v4
	s_mov_b32 s15, s18
	s_or_b64 s[4:5], s[0:1], s[4:5]
	s_waitcnt vmcnt(0)
	v_fma_mix_f32 v1, v6, v6, v1 op_sel_hi:[1,1,0]
	s_andn2_b64 exec, exec, s[4:5]
	s_cbranch_execnz .LBB475_2
; %bb.3:
	s_or_b64 exec, exec, s[4:5]
.LBB475_4:
	s_or_b64 exec, exec, s[12:13]
	v_and_b32_e32 v3, 63, v0
	v_cmp_gt_u32_e32 vcc, 64, v0
	v_lshlrev_b32_e32 v2, 2, v3
	s_and_saveexec_b64 s[0:1], vcc
	s_cbranch_execz .LBB475_6
; %bb.5:
	v_mov_b32_e32 v4, 0
	ds_write_b32 v2, v4
.LBB475_6:
	s_or_b64 exec, exec, s[0:1]
	v_mbcnt_lo_u32_b32 v4, -1, 0
	v_mbcnt_hi_u32_b32 v6, -1, v4
	v_and_b32_e32 v7, 63, v6
	v_cmp_gt_u32_e64 s[0:1], 32, v7
	v_cndmask_b32_e64 v4, 0, 1, s[0:1]
	v_lshlrev_b32_e32 v4, 5, v4
	v_add_lshl_u32 v4, v4, v6, 2
	ds_bpermute_b32 v4, v4, v1
	v_cmp_gt_u32_e64 s[0:1], 48, v7
	v_cndmask_b32_e64 v5, 0, 1, s[0:1]
	v_lshlrev_b32_e32 v5, 4, v5
	v_cmp_gt_u32_e64 s[0:1], 56, v7
	s_waitcnt lgkmcnt(0)
	v_add_f32_e32 v1, v1, v4
	v_add_lshl_u32 v4, v5, v6, 2
	ds_bpermute_b32 v4, v4, v1
	v_cndmask_b32_e64 v5, 0, 1, s[0:1]
	v_lshlrev_b32_e32 v5, 3, v5
	v_cmp_gt_u32_e64 s[0:1], 60, v7
	s_waitcnt lgkmcnt(0)
	v_add_f32_e32 v1, v1, v4
	v_add_lshl_u32 v4, v5, v6, 2
	ds_bpermute_b32 v4, v4, v1
	v_cndmask_b32_e64 v5, 0, 1, s[0:1]
	v_lshlrev_b32_e32 v5, 2, v5
	v_cmp_gt_u32_e64 s[0:1], 62, v7
	v_cndmask_b32_e64 v8, 0, 1, s[0:1]
	s_waitcnt lgkmcnt(0)
	v_add_f32_e32 v1, v1, v4
	v_add_lshl_u32 v4, v5, v6, 2
	ds_bpermute_b32 v5, v4, v1
	v_lshlrev_b32_e32 v8, 1, v8
	v_cmp_ne_u32_e64 s[0:1], 63, v7
	s_barrier
	s_waitcnt lgkmcnt(0)
	v_add_f32_e32 v1, v1, v5
	v_add_lshl_u32 v5, v8, v6, 2
	ds_bpermute_b32 v8, v5, v1
	v_addc_co_u32_e64 v6, s[0:1], 0, v6, s[0:1]
	v_lshlrev_b32_e32 v6, 2, v6
	v_cmp_eq_u32_e64 s[0:1], 0, v3
	s_waitcnt lgkmcnt(0)
	v_add_f32_e32 v1, v1, v8
	ds_bpermute_b32 v7, v6, v1
	s_and_saveexec_b64 s[4:5], s[0:1]
	s_cbranch_execz .LBB475_8
; %bb.7:
	v_lshrrev_b32_e32 v3, 4, v0
	s_waitcnt lgkmcnt(0)
	v_add_f32_e32 v1, v1, v7
	v_and_b32_e32 v3, 28, v3
	ds_write_b32 v3, v1
.LBB475_8:
	s_or_b64 exec, exec, s[4:5]
	v_cmp_gt_u32_e64 s[0:1], 8, v0
	v_mov_b32_e32 v1, 0
	s_waitcnt lgkmcnt(0)
	s_barrier
	s_and_saveexec_b64 s[4:5], s[0:1]
	s_cbranch_execnz .LBB475_12
; %bb.9:
	s_or_b64 exec, exec, s[4:5]
	s_and_saveexec_b64 s[0:1], vcc
	s_cbranch_execnz .LBB475_13
.LBB475_10:
	s_or_b64 exec, exec, s[0:1]
	v_cmp_eq_u32_e32 vcc, 0, v0
	s_and_saveexec_b64 s[0:1], vcc
	s_cbranch_execnz .LBB475_14
.LBB475_11:
	s_endpgm
.LBB475_12:
	ds_read_b32 v1, v2
	s_or_b64 exec, exec, s[4:5]
	s_and_saveexec_b64 s[0:1], vcc
	s_cbranch_execz .LBB475_10
.LBB475_13:
	s_waitcnt lgkmcnt(0)
	ds_bpermute_b32 v2, v4, v1
	s_waitcnt lgkmcnt(0)
	v_add_f32_e32 v1, v1, v2
	ds_bpermute_b32 v2, v5, v1
	s_waitcnt lgkmcnt(0)
	v_add_f32_e32 v1, v1, v2
	;; [unrolled: 3-line block ×3, first 2 shown]
	s_or_b64 exec, exec, s[0:1]
	v_cmp_eq_u32_e32 vcc, 0, v0
	s_and_saveexec_b64 s[0:1], vcc
	s_cbranch_execz .LBB475_11
.LBB475_14:
	s_cmp_lg_u32 s16, 1
	s_mov_b64 s[0:1], -1
	s_cbranch_scc0 .LBB475_16
; %bb.15:
	s_mul_hi_u32 s1, s16, s2
	s_mul_i32 s0, s16, s2
	s_lshl_b64 s[0:1], s[0:1], 2
	s_mov_b32 s7, 0
	s_add_u32 s4, s8, s0
	s_addc_u32 s5, s9, s1
	s_lshl_b64 s[0:1], s[6:7], 2
	s_add_u32 s0, s4, s0
	s_addc_u32 s1, s5, s1
	v_mov_b32_e32 v0, 0
	s_waitcnt lgkmcnt(0)
	global_store_dword v0, v1, s[0:1]
	s_mov_b64 s[0:1], 0
.LBB475_16:
	s_andn2_b64 vcc, exec, s[0:1]
	s_cbranch_vccnz .LBB475_11
; %bb.17:
	s_waitcnt lgkmcnt(0)
	v_cvt_f16_f32_e32 v0, v1
	s_lshl_b64 s[0:1], s[2:3], 1
	s_add_u32 s0, s10, s0
	s_addc_u32 s1, s11, s1
	v_mov_b32_e32 v1, 0
	global_store_short v1, v0, s[0:1]
	s_endpgm
	.section	.rodata,"a",@progbits
	.p2align	6, 0x0
	.amdhsa_kernel _ZL24rocblas_dot_kernel_magsqIlLb0ELi512ELi8ELb1EDF16_PKDF16_fEviT5_lT_liPT6_PT4_
		.amdhsa_group_segment_fixed_size 256
		.amdhsa_private_segment_fixed_size 0
		.amdhsa_kernarg_size 320
		.amdhsa_user_sgpr_count 6
		.amdhsa_user_sgpr_private_segment_buffer 1
		.amdhsa_user_sgpr_dispatch_ptr 0
		.amdhsa_user_sgpr_queue_ptr 0
		.amdhsa_user_sgpr_kernarg_segment_ptr 1
		.amdhsa_user_sgpr_dispatch_id 0
		.amdhsa_user_sgpr_flat_scratch_init 0
		.amdhsa_user_sgpr_kernarg_preload_length 0
		.amdhsa_user_sgpr_kernarg_preload_offset 0
		.amdhsa_user_sgpr_private_segment_size 0
		.amdhsa_uses_dynamic_stack 0
		.amdhsa_system_sgpr_private_segment_wavefront_offset 0
		.amdhsa_system_sgpr_workgroup_id_x 1
		.amdhsa_system_sgpr_workgroup_id_y 0
		.amdhsa_system_sgpr_workgroup_id_z 1
		.amdhsa_system_sgpr_workgroup_info 0
		.amdhsa_system_vgpr_workitem_id 0
		.amdhsa_next_free_vgpr 9
		.amdhsa_next_free_sgpr 24
		.amdhsa_accum_offset 12
		.amdhsa_reserve_vcc 1
		.amdhsa_reserve_flat_scratch 0
		.amdhsa_float_round_mode_32 0
		.amdhsa_float_round_mode_16_64 0
		.amdhsa_float_denorm_mode_32 3
		.amdhsa_float_denorm_mode_16_64 3
		.amdhsa_dx10_clamp 1
		.amdhsa_ieee_mode 1
		.amdhsa_fp16_overflow 0
		.amdhsa_tg_split 0
		.amdhsa_exception_fp_ieee_invalid_op 0
		.amdhsa_exception_fp_denorm_src 0
		.amdhsa_exception_fp_ieee_div_zero 0
		.amdhsa_exception_fp_ieee_overflow 0
		.amdhsa_exception_fp_ieee_underflow 0
		.amdhsa_exception_fp_ieee_inexact 0
		.amdhsa_exception_int_div_zero 0
	.end_amdhsa_kernel
	.section	.text._ZL24rocblas_dot_kernel_magsqIlLb0ELi512ELi8ELb1EDF16_PKDF16_fEviT5_lT_liPT6_PT4_,"axG",@progbits,_ZL24rocblas_dot_kernel_magsqIlLb0ELi512ELi8ELb1EDF16_PKDF16_fEviT5_lT_liPT6_PT4_,comdat
.Lfunc_end475:
	.size	_ZL24rocblas_dot_kernel_magsqIlLb0ELi512ELi8ELb1EDF16_PKDF16_fEviT5_lT_liPT6_PT4_, .Lfunc_end475-_ZL24rocblas_dot_kernel_magsqIlLb0ELi512ELi8ELb1EDF16_PKDF16_fEviT5_lT_liPT6_PT4_
                                        ; -- End function
	.section	.AMDGPU.csdata,"",@progbits
; Kernel info:
; codeLenInByte = 940
; NumSgprs: 28
; NumVgprs: 9
; NumAgprs: 0
; TotalNumVgprs: 9
; ScratchSize: 0
; MemoryBound: 0
; FloatMode: 240
; IeeeMode: 1
; LDSByteSize: 256 bytes/workgroup (compile time only)
; SGPRBlocks: 3
; VGPRBlocks: 1
; NumSGPRsForWavesPerEU: 28
; NumVGPRsForWavesPerEU: 9
; AccumOffset: 12
; Occupancy: 8
; WaveLimiterHint : 0
; COMPUTE_PGM_RSRC2:SCRATCH_EN: 0
; COMPUTE_PGM_RSRC2:USER_SGPR: 6
; COMPUTE_PGM_RSRC2:TRAP_HANDLER: 0
; COMPUTE_PGM_RSRC2:TGID_X_EN: 1
; COMPUTE_PGM_RSRC2:TGID_Y_EN: 0
; COMPUTE_PGM_RSRC2:TGID_Z_EN: 1
; COMPUTE_PGM_RSRC2:TIDIG_COMP_CNT: 0
; COMPUTE_PGM_RSRC3_GFX90A:ACCUM_OFFSET: 2
; COMPUTE_PGM_RSRC3_GFX90A:TG_SPLIT: 0
	.section	.text._ZL28rocblas_dot_batched_4_kernelIiLi32ELi4ELb1EfDF16_PKPKDF16_EviT5_lT_lS4_lS5_liPT4_,"axG",@progbits,_ZL28rocblas_dot_batched_4_kernelIiLi32ELi4ELb1EfDF16_PKPKDF16_EviT5_lT_lS4_lS5_liPT4_,comdat
	.globl	_ZL28rocblas_dot_batched_4_kernelIiLi32ELi4ELb1EfDF16_PKPKDF16_EviT5_lT_lS4_lS5_liPT4_ ; -- Begin function _ZL28rocblas_dot_batched_4_kernelIiLi32ELi4ELb1EfDF16_PKPKDF16_EviT5_lT_lS4_lS5_liPT4_
	.p2align	8
	.type	_ZL28rocblas_dot_batched_4_kernelIiLi32ELi4ELb1EfDF16_PKPKDF16_EviT5_lT_lS4_lS5_liPT4_,@function
_ZL28rocblas_dot_batched_4_kernelIiLi32ELi4ELb1EfDF16_PKPKDF16_EviT5_lT_lS4_lS5_liPT4_: ; @_ZL28rocblas_dot_batched_4_kernelIiLi32ELi4ELb1EfDF16_PKPKDF16_EviT5_lT_lS4_lS5_liPT4_
; %bb.0:
	s_load_dword s0, s[4:5], 0x48
	v_bfe_u32 v1, v0, 10, 10
	v_lshl_add_u32 v2, s6, 2, v1
	s_waitcnt lgkmcnt(0)
	v_cmp_gt_u32_e32 vcc, s0, v2
	s_and_saveexec_b64 s[0:1], vcc
	s_cbranch_execz .LBB476_7
; %bb.1:
	s_load_dword s14, s[4:5], 0x0
	s_load_dwordx2 s[6:7], s[4:5], 0x50
	v_mov_b32_e32 v3, 0
	v_and_b32_e32 v6, 0x3ff, v0
	v_mov_b32_e32 v7, v3
	s_waitcnt lgkmcnt(0)
	v_cmp_gt_i32_e32 vcc, s14, v6
	s_and_saveexec_b64 s[12:13], vcc
	s_cbranch_execz .LBB476_5
; %bb.2:
	s_load_dwordx4 s[0:3], s[4:5], 0x8
	s_load_dwordx4 s[8:11], s[4:5], 0x28
	v_lshlrev_b64 v[0:1], 3, v[2:3]
	s_load_dword s16, s[4:5], 0x18
	s_waitcnt lgkmcnt(0)
	v_mov_b32_e32 v5, s1
	v_add_co_u32_e32 v4, vcc, s0, v0
	v_addc_co_u32_e32 v5, vcc, v5, v1, vcc
	global_load_dwordx2 v[4:5], v[4:5], off
	v_mov_b32_e32 v7, s9
	v_add_co_u32_e32 v0, vcc, s8, v0
	v_addc_co_u32_e32 v1, vcc, v7, v1, vcc
	global_load_dwordx2 v[10:11], v[0:1], off
	s_load_dword s4, s[4:5], 0x38
	v_mad_i64_i32 v[0:1], s[8:9], s16, v6, 0
	s_lshl_b64 s[8:9], s[2:3], 1
	v_lshlrev_b64 v[0:1], 1, v[0:1]
	s_waitcnt lgkmcnt(0)
	v_mad_i64_i32 v[8:9], s[2:3], s4, v6, 0
	v_mov_b32_e32 v12, s9
	v_add_co_u32_e32 v0, vcc, s8, v0
	s_lshl_b64 s[10:11], s[10:11], 1
	v_lshlrev_b64 v[8:9], 1, v[8:9]
	v_addc_co_u32_e32 v1, vcc, v1, v12, vcc
	v_mov_b32_e32 v13, s11
	v_add_co_u32_e32 v12, vcc, s10, v8
	v_addc_co_u32_e32 v13, vcc, v9, v13, vcc
	s_ashr_i32 s17, s16, 31
	s_ashr_i32 s5, s4, 31
	s_lshl_b64 s[2:3], s[16:17], 6
	s_lshl_b64 s[4:5], s[4:5], 6
	s_mov_b64 s[0:1], 0
	v_mov_b32_e32 v7, 0
	v_mov_b32_e32 v8, s3
	;; [unrolled: 1-line block ×3, first 2 shown]
	s_waitcnt vmcnt(1)
	v_add_co_u32_e32 v0, vcc, v4, v0
	v_addc_co_u32_e32 v1, vcc, v5, v1, vcc
	s_waitcnt vmcnt(0)
	v_add_co_u32_e32 v4, vcc, v10, v12
	v_addc_co_u32_e32 v5, vcc, v11, v13, vcc
	v_mov_b32_e32 v10, v6
.LBB476_3:                              ; =>This Inner Loop Header: Depth=1
	global_load_ushort v11, v[0:1], off
	global_load_ushort v12, v[4:5], off
	v_add_co_u32_e32 v0, vcc, s2, v0
	v_addc_co_u32_e32 v1, vcc, v1, v8, vcc
	v_add_co_u32_e32 v4, vcc, s4, v4
	v_add_u32_e32 v10, 32, v10
	v_addc_co_u32_e32 v5, vcc, v5, v9, vcc
	v_cmp_le_i32_e32 vcc, s14, v10
	s_or_b64 s[0:1], vcc, s[0:1]
	s_waitcnt vmcnt(0)
	v_fma_mix_f32 v7, v11, v12, v7 op_sel_hi:[1,1,0]
	s_andn2_b64 exec, exec, s[0:1]
	s_cbranch_execnz .LBB476_3
; %bb.4:
	s_or_b64 exec, exec, s[0:1]
.LBB476_5:
	s_or_b64 exec, exec, s[12:13]
	v_mbcnt_lo_u32_b32 v0, -1, 0
	v_mbcnt_hi_u32_b32 v0, -1, v0
	v_and_b32_e32 v1, 63, v0
	v_cmp_gt_u32_e32 vcc, 48, v1
	v_cndmask_b32_e64 v4, 0, 1, vcc
	v_lshlrev_b32_e32 v4, 4, v4
	v_add_lshl_u32 v4, v4, v0, 2
	ds_bpermute_b32 v4, v4, v7
	v_cmp_gt_u32_e32 vcc, 56, v1
	v_cndmask_b32_e64 v5, 0, 1, vcc
	v_lshlrev_b32_e32 v5, 3, v5
	v_add_lshl_u32 v5, v5, v0, 2
	s_waitcnt lgkmcnt(0)
	v_add_f32_e32 v4, v7, v4
	ds_bpermute_b32 v5, v5, v4
	v_cmp_gt_u32_e32 vcc, 60, v1
	v_cndmask_b32_e64 v7, 0, 1, vcc
	v_lshlrev_b32_e32 v7, 2, v7
	v_cmp_gt_u32_e32 vcc, 62, v1
	s_waitcnt lgkmcnt(0)
	v_add_f32_e32 v4, v4, v5
	v_add_lshl_u32 v5, v7, v0, 2
	ds_bpermute_b32 v5, v5, v4
	v_cndmask_b32_e64 v7, 0, 1, vcc
	v_lshlrev_b32_e32 v7, 1, v7
	v_cmp_ne_u32_e32 vcc, 63, v1
	v_addc_co_u32_e32 v1, vcc, 0, v0, vcc
	s_waitcnt lgkmcnt(0)
	v_add_f32_e32 v4, v4, v5
	v_add_lshl_u32 v5, v7, v0, 2
	ds_bpermute_b32 v5, v5, v4
	v_lshlrev_b32_e32 v1, 2, v1
	v_cmp_eq_u32_e32 vcc, 0, v6
	s_waitcnt lgkmcnt(0)
	s_barrier
	v_add_f32_e32 v0, v4, v5
	ds_bpermute_b32 v1, v1, v0
	s_waitcnt lgkmcnt(0)
	s_and_b64 exec, exec, vcc
	s_cbranch_execz .LBB476_7
; %bb.6:
	v_add_f32_e32 v0, v0, v1
	v_cvt_f16_f32_e32 v5, v0
	v_lshlrev_b64 v[2:3], 1, v[2:3]
	v_mov_b32_e32 v4, s7
	v_add_co_u32_e32 v0, vcc, s6, v2
	v_addc_co_u32_e32 v1, vcc, v4, v3, vcc
	global_store_short v[0:1], v5, off
.LBB476_7:
	s_endpgm
	.section	.rodata,"a",@progbits
	.p2align	6, 0x0
	.amdhsa_kernel _ZL28rocblas_dot_batched_4_kernelIiLi32ELi4ELb1EfDF16_PKPKDF16_EviT5_lT_lS4_lS5_liPT4_
		.amdhsa_group_segment_fixed_size 0
		.amdhsa_private_segment_fixed_size 0
		.amdhsa_kernarg_size 88
		.amdhsa_user_sgpr_count 6
		.amdhsa_user_sgpr_private_segment_buffer 1
		.amdhsa_user_sgpr_dispatch_ptr 0
		.amdhsa_user_sgpr_queue_ptr 0
		.amdhsa_user_sgpr_kernarg_segment_ptr 1
		.amdhsa_user_sgpr_dispatch_id 0
		.amdhsa_user_sgpr_flat_scratch_init 0
		.amdhsa_user_sgpr_kernarg_preload_length 0
		.amdhsa_user_sgpr_kernarg_preload_offset 0
		.amdhsa_user_sgpr_private_segment_size 0
		.amdhsa_uses_dynamic_stack 0
		.amdhsa_system_sgpr_private_segment_wavefront_offset 0
		.amdhsa_system_sgpr_workgroup_id_x 1
		.amdhsa_system_sgpr_workgroup_id_y 0
		.amdhsa_system_sgpr_workgroup_id_z 0
		.amdhsa_system_sgpr_workgroup_info 0
		.amdhsa_system_vgpr_workitem_id 1
		.amdhsa_next_free_vgpr 14
		.amdhsa_next_free_sgpr 18
		.amdhsa_accum_offset 16
		.amdhsa_reserve_vcc 1
		.amdhsa_reserve_flat_scratch 0
		.amdhsa_float_round_mode_32 0
		.amdhsa_float_round_mode_16_64 0
		.amdhsa_float_denorm_mode_32 3
		.amdhsa_float_denorm_mode_16_64 3
		.amdhsa_dx10_clamp 1
		.amdhsa_ieee_mode 1
		.amdhsa_fp16_overflow 0
		.amdhsa_tg_split 0
		.amdhsa_exception_fp_ieee_invalid_op 0
		.amdhsa_exception_fp_denorm_src 0
		.amdhsa_exception_fp_ieee_div_zero 0
		.amdhsa_exception_fp_ieee_overflow 0
		.amdhsa_exception_fp_ieee_underflow 0
		.amdhsa_exception_fp_ieee_inexact 0
		.amdhsa_exception_int_div_zero 0
	.end_amdhsa_kernel
	.section	.text._ZL28rocblas_dot_batched_4_kernelIiLi32ELi4ELb1EfDF16_PKPKDF16_EviT5_lT_lS4_lS5_liPT4_,"axG",@progbits,_ZL28rocblas_dot_batched_4_kernelIiLi32ELi4ELb1EfDF16_PKPKDF16_EviT5_lT_lS4_lS5_liPT4_,comdat
.Lfunc_end476:
	.size	_ZL28rocblas_dot_batched_4_kernelIiLi32ELi4ELb1EfDF16_PKPKDF16_EviT5_lT_lS4_lS5_liPT4_, .Lfunc_end476-_ZL28rocblas_dot_batched_4_kernelIiLi32ELi4ELb1EfDF16_PKPKDF16_EviT5_lT_lS4_lS5_liPT4_
                                        ; -- End function
	.section	.AMDGPU.csdata,"",@progbits
; Kernel info:
; codeLenInByte = 632
; NumSgprs: 22
; NumVgprs: 14
; NumAgprs: 0
; TotalNumVgprs: 14
; ScratchSize: 0
; MemoryBound: 0
; FloatMode: 240
; IeeeMode: 1
; LDSByteSize: 0 bytes/workgroup (compile time only)
; SGPRBlocks: 2
; VGPRBlocks: 1
; NumSGPRsForWavesPerEU: 22
; NumVGPRsForWavesPerEU: 14
; AccumOffset: 16
; Occupancy: 8
; WaveLimiterHint : 0
; COMPUTE_PGM_RSRC2:SCRATCH_EN: 0
; COMPUTE_PGM_RSRC2:USER_SGPR: 6
; COMPUTE_PGM_RSRC2:TRAP_HANDLER: 0
; COMPUTE_PGM_RSRC2:TGID_X_EN: 1
; COMPUTE_PGM_RSRC2:TGID_Y_EN: 0
; COMPUTE_PGM_RSRC2:TGID_Z_EN: 0
; COMPUTE_PGM_RSRC2:TIDIG_COMP_CNT: 1
; COMPUTE_PGM_RSRC3_GFX90A:ACCUM_OFFSET: 3
; COMPUTE_PGM_RSRC3_GFX90A:TG_SPLIT: 0
	.section	.text._ZL28rocblas_dot_batched_4_kernelIiLi64ELi4ELb1EfDF16_PKPKDF16_EviT5_lT_lS4_lS5_liPT4_,"axG",@progbits,_ZL28rocblas_dot_batched_4_kernelIiLi64ELi4ELb1EfDF16_PKPKDF16_EviT5_lT_lS4_lS5_liPT4_,comdat
	.globl	_ZL28rocblas_dot_batched_4_kernelIiLi64ELi4ELb1EfDF16_PKPKDF16_EviT5_lT_lS4_lS5_liPT4_ ; -- Begin function _ZL28rocblas_dot_batched_4_kernelIiLi64ELi4ELb1EfDF16_PKPKDF16_EviT5_lT_lS4_lS5_liPT4_
	.p2align	8
	.type	_ZL28rocblas_dot_batched_4_kernelIiLi64ELi4ELb1EfDF16_PKPKDF16_EviT5_lT_lS4_lS5_liPT4_,@function
_ZL28rocblas_dot_batched_4_kernelIiLi64ELi4ELb1EfDF16_PKPKDF16_EviT5_lT_lS4_lS5_liPT4_: ; @_ZL28rocblas_dot_batched_4_kernelIiLi64ELi4ELb1EfDF16_PKPKDF16_EviT5_lT_lS4_lS5_liPT4_
; %bb.0:
	s_load_dword s0, s[4:5], 0x48
	v_bfe_u32 v1, v0, 10, 10
	v_lshl_add_u32 v2, s6, 2, v1
	s_waitcnt lgkmcnt(0)
	v_cmp_gt_u32_e32 vcc, s0, v2
	s_and_saveexec_b64 s[0:1], vcc
	s_cbranch_execz .LBB477_7
; %bb.1:
	s_load_dword s14, s[4:5], 0x0
	s_load_dwordx2 s[6:7], s[4:5], 0x50
	v_mov_b32_e32 v3, 0
	v_and_b32_e32 v6, 0x3ff, v0
	v_mov_b32_e32 v7, v3
	s_waitcnt lgkmcnt(0)
	v_cmp_gt_i32_e32 vcc, s14, v6
	s_and_saveexec_b64 s[12:13], vcc
	s_cbranch_execz .LBB477_5
; %bb.2:
	s_load_dwordx4 s[0:3], s[4:5], 0x8
	s_load_dwordx4 s[8:11], s[4:5], 0x28
	v_lshlrev_b64 v[0:1], 3, v[2:3]
	s_load_dword s16, s[4:5], 0x18
	s_waitcnt lgkmcnt(0)
	v_mov_b32_e32 v5, s1
	v_add_co_u32_e32 v4, vcc, s0, v0
	v_addc_co_u32_e32 v5, vcc, v5, v1, vcc
	global_load_dwordx2 v[4:5], v[4:5], off
	v_mov_b32_e32 v7, s9
	v_add_co_u32_e32 v0, vcc, s8, v0
	v_addc_co_u32_e32 v1, vcc, v7, v1, vcc
	global_load_dwordx2 v[10:11], v[0:1], off
	s_load_dword s4, s[4:5], 0x38
	v_mad_i64_i32 v[0:1], s[8:9], s16, v6, 0
	s_lshl_b64 s[8:9], s[2:3], 1
	v_lshlrev_b64 v[0:1], 1, v[0:1]
	s_waitcnt lgkmcnt(0)
	v_mad_i64_i32 v[8:9], s[2:3], s4, v6, 0
	v_mov_b32_e32 v12, s9
	v_add_co_u32_e32 v0, vcc, s8, v0
	s_lshl_b64 s[10:11], s[10:11], 1
	v_lshlrev_b64 v[8:9], 1, v[8:9]
	v_addc_co_u32_e32 v1, vcc, v1, v12, vcc
	v_mov_b32_e32 v13, s11
	v_add_co_u32_e32 v12, vcc, s10, v8
	v_addc_co_u32_e32 v13, vcc, v9, v13, vcc
	s_ashr_i32 s17, s16, 31
	s_ashr_i32 s5, s4, 31
	s_lshl_b64 s[2:3], s[16:17], 7
	s_lshl_b64 s[4:5], s[4:5], 7
	s_mov_b64 s[0:1], 0
	v_mov_b32_e32 v7, 0
	v_mov_b32_e32 v8, s3
	;; [unrolled: 1-line block ×3, first 2 shown]
	s_waitcnt vmcnt(1)
	v_add_co_u32_e32 v0, vcc, v4, v0
	v_addc_co_u32_e32 v1, vcc, v5, v1, vcc
	s_waitcnt vmcnt(0)
	v_add_co_u32_e32 v4, vcc, v10, v12
	v_addc_co_u32_e32 v5, vcc, v11, v13, vcc
	v_mov_b32_e32 v10, v6
.LBB477_3:                              ; =>This Inner Loop Header: Depth=1
	global_load_ushort v11, v[0:1], off
	global_load_ushort v12, v[4:5], off
	v_add_co_u32_e32 v0, vcc, s2, v0
	v_addc_co_u32_e32 v1, vcc, v1, v8, vcc
	v_add_co_u32_e32 v4, vcc, s4, v4
	v_add_u32_e32 v10, 64, v10
	v_addc_co_u32_e32 v5, vcc, v5, v9, vcc
	v_cmp_le_i32_e32 vcc, s14, v10
	s_or_b64 s[0:1], vcc, s[0:1]
	s_waitcnt vmcnt(0)
	v_fma_mix_f32 v7, v11, v12, v7 op_sel_hi:[1,1,0]
	s_andn2_b64 exec, exec, s[0:1]
	s_cbranch_execnz .LBB477_3
; %bb.4:
	s_or_b64 exec, exec, s[0:1]
.LBB477_5:
	s_or_b64 exec, exec, s[12:13]
	v_mbcnt_lo_u32_b32 v0, -1, 0
	v_mbcnt_hi_u32_b32 v0, -1, v0
	v_and_b32_e32 v1, 63, v0
	v_cmp_gt_u32_e32 vcc, 32, v1
	v_cndmask_b32_e64 v4, 0, 1, vcc
	v_lshlrev_b32_e32 v4, 5, v4
	v_add_lshl_u32 v4, v4, v0, 2
	ds_bpermute_b32 v4, v4, v7
	v_cmp_gt_u32_e32 vcc, 48, v1
	v_cndmask_b32_e64 v5, 0, 1, vcc
	v_lshlrev_b32_e32 v5, 4, v5
	v_add_lshl_u32 v5, v5, v0, 2
	s_waitcnt lgkmcnt(0)
	v_add_f32_e32 v4, v7, v4
	ds_bpermute_b32 v5, v5, v4
	v_cmp_gt_u32_e32 vcc, 56, v1
	v_cndmask_b32_e64 v7, 0, 1, vcc
	v_lshlrev_b32_e32 v7, 3, v7
	v_cmp_gt_u32_e32 vcc, 60, v1
	s_waitcnt lgkmcnt(0)
	v_add_f32_e32 v4, v4, v5
	v_add_lshl_u32 v5, v7, v0, 2
	ds_bpermute_b32 v5, v5, v4
	v_cndmask_b32_e64 v7, 0, 1, vcc
	v_lshlrev_b32_e32 v7, 2, v7
	v_cmp_gt_u32_e32 vcc, 62, v1
	s_waitcnt lgkmcnt(0)
	v_add_f32_e32 v4, v4, v5
	v_add_lshl_u32 v5, v7, v0, 2
	ds_bpermute_b32 v5, v5, v4
	v_cndmask_b32_e64 v7, 0, 1, vcc
	v_lshlrev_b32_e32 v7, 1, v7
	v_cmp_ne_u32_e32 vcc, 63, v1
	v_addc_co_u32_e32 v1, vcc, 0, v0, vcc
	s_waitcnt lgkmcnt(0)
	v_add_f32_e32 v4, v4, v5
	v_add_lshl_u32 v5, v7, v0, 2
	ds_bpermute_b32 v5, v5, v4
	v_lshlrev_b32_e32 v1, 2, v1
	v_cmp_eq_u32_e32 vcc, 0, v6
	s_barrier
	s_waitcnt lgkmcnt(0)
	v_add_f32_e32 v0, v4, v5
	ds_bpermute_b32 v1, v1, v0
	s_and_b64 exec, exec, vcc
	s_cbranch_execz .LBB477_7
; %bb.6:
	s_waitcnt lgkmcnt(0)
	v_add_f32_e32 v0, v0, v1
	v_cvt_f16_f32_e32 v5, v0
	v_lshlrev_b64 v[2:3], 1, v[2:3]
	v_mov_b32_e32 v4, s7
	v_add_co_u32_e32 v0, vcc, s6, v2
	v_addc_co_u32_e32 v1, vcc, v4, v3, vcc
	global_store_short v[0:1], v5, off
.LBB477_7:
	s_endpgm
	.section	.rodata,"a",@progbits
	.p2align	6, 0x0
	.amdhsa_kernel _ZL28rocblas_dot_batched_4_kernelIiLi64ELi4ELb1EfDF16_PKPKDF16_EviT5_lT_lS4_lS5_liPT4_
		.amdhsa_group_segment_fixed_size 0
		.amdhsa_private_segment_fixed_size 0
		.amdhsa_kernarg_size 88
		.amdhsa_user_sgpr_count 6
		.amdhsa_user_sgpr_private_segment_buffer 1
		.amdhsa_user_sgpr_dispatch_ptr 0
		.amdhsa_user_sgpr_queue_ptr 0
		.amdhsa_user_sgpr_kernarg_segment_ptr 1
		.amdhsa_user_sgpr_dispatch_id 0
		.amdhsa_user_sgpr_flat_scratch_init 0
		.amdhsa_user_sgpr_kernarg_preload_length 0
		.amdhsa_user_sgpr_kernarg_preload_offset 0
		.amdhsa_user_sgpr_private_segment_size 0
		.amdhsa_uses_dynamic_stack 0
		.amdhsa_system_sgpr_private_segment_wavefront_offset 0
		.amdhsa_system_sgpr_workgroup_id_x 1
		.amdhsa_system_sgpr_workgroup_id_y 0
		.amdhsa_system_sgpr_workgroup_id_z 0
		.amdhsa_system_sgpr_workgroup_info 0
		.amdhsa_system_vgpr_workitem_id 1
		.amdhsa_next_free_vgpr 14
		.amdhsa_next_free_sgpr 18
		.amdhsa_accum_offset 16
		.amdhsa_reserve_vcc 1
		.amdhsa_reserve_flat_scratch 0
		.amdhsa_float_round_mode_32 0
		.amdhsa_float_round_mode_16_64 0
		.amdhsa_float_denorm_mode_32 3
		.amdhsa_float_denorm_mode_16_64 3
		.amdhsa_dx10_clamp 1
		.amdhsa_ieee_mode 1
		.amdhsa_fp16_overflow 0
		.amdhsa_tg_split 0
		.amdhsa_exception_fp_ieee_invalid_op 0
		.amdhsa_exception_fp_denorm_src 0
		.amdhsa_exception_fp_ieee_div_zero 0
		.amdhsa_exception_fp_ieee_overflow 0
		.amdhsa_exception_fp_ieee_underflow 0
		.amdhsa_exception_fp_ieee_inexact 0
		.amdhsa_exception_int_div_zero 0
	.end_amdhsa_kernel
	.section	.text._ZL28rocblas_dot_batched_4_kernelIiLi64ELi4ELb1EfDF16_PKPKDF16_EviT5_lT_lS4_lS5_liPT4_,"axG",@progbits,_ZL28rocblas_dot_batched_4_kernelIiLi64ELi4ELb1EfDF16_PKPKDF16_EviT5_lT_lS4_lS5_liPT4_,comdat
.Lfunc_end477:
	.size	_ZL28rocblas_dot_batched_4_kernelIiLi64ELi4ELb1EfDF16_PKPKDF16_EviT5_lT_lS4_lS5_liPT4_, .Lfunc_end477-_ZL28rocblas_dot_batched_4_kernelIiLi64ELi4ELb1EfDF16_PKPKDF16_EviT5_lT_lS4_lS5_liPT4_
                                        ; -- End function
	.section	.AMDGPU.csdata,"",@progbits
; Kernel info:
; codeLenInByte = 672
; NumSgprs: 22
; NumVgprs: 14
; NumAgprs: 0
; TotalNumVgprs: 14
; ScratchSize: 0
; MemoryBound: 0
; FloatMode: 240
; IeeeMode: 1
; LDSByteSize: 0 bytes/workgroup (compile time only)
; SGPRBlocks: 2
; VGPRBlocks: 1
; NumSGPRsForWavesPerEU: 22
; NumVGPRsForWavesPerEU: 14
; AccumOffset: 16
; Occupancy: 8
; WaveLimiterHint : 0
; COMPUTE_PGM_RSRC2:SCRATCH_EN: 0
; COMPUTE_PGM_RSRC2:USER_SGPR: 6
; COMPUTE_PGM_RSRC2:TRAP_HANDLER: 0
; COMPUTE_PGM_RSRC2:TGID_X_EN: 1
; COMPUTE_PGM_RSRC2:TGID_Y_EN: 0
; COMPUTE_PGM_RSRC2:TGID_Z_EN: 0
; COMPUTE_PGM_RSRC2:TIDIG_COMP_CNT: 1
; COMPUTE_PGM_RSRC3_GFX90A:ACCUM_OFFSET: 3
; COMPUTE_PGM_RSRC3_GFX90A:TG_SPLIT: 0
	.section	.text._ZL26rocblas_dot_kernel_inc1by2ILb1ELi1024ELi32ELb1EDF16_PKPKDF16_fEviT4_llS4_lliPT5_PT3_,"axG",@progbits,_ZL26rocblas_dot_kernel_inc1by2ILb1ELi1024ELi32ELb1EDF16_PKPKDF16_fEviT4_llS4_lliPT5_PT3_,comdat
	.globl	_ZL26rocblas_dot_kernel_inc1by2ILb1ELi1024ELi32ELb1EDF16_PKPKDF16_fEviT4_llS4_lliPT5_PT3_ ; -- Begin function _ZL26rocblas_dot_kernel_inc1by2ILb1ELi1024ELi32ELb1EDF16_PKPKDF16_fEviT4_llS4_lliPT5_PT3_
	.p2align	8
	.type	_ZL26rocblas_dot_kernel_inc1by2ILb1ELi1024ELi32ELb1EDF16_PKPKDF16_fEviT4_llS4_lliPT5_PT3_,@function
_ZL26rocblas_dot_kernel_inc1by2ILb1ELi1024ELi32ELb1EDF16_PKPKDF16_fEviT4_llS4_lliPT5_PT3_: ; @_ZL26rocblas_dot_kernel_inc1by2ILb1ELi1024ELi32ELb1EDF16_PKPKDF16_fEviT4_llS4_lliPT5_PT3_
; %bb.0:
	s_load_dword s20, s[4:5], 0x0
	s_load_dwordx4 s[0:3], s[4:5], 0x8
	s_load_dwordx2 s[12:13], s[4:5], 0x48
	s_load_dwordx4 s[8:11], s[4:5], 0x20
	s_mov_b32 s6, s7
	s_mov_b32 s7, 0
	s_lshl_b64 s[14:15], s[6:7], 3
	s_waitcnt lgkmcnt(0)
	s_add_u32 s0, s0, s14
	s_addc_u32 s1, s1, s15
	s_load_dwordx2 s[4:5], s[0:1], 0x0
	s_add_u32 s0, s8, s14
	s_addc_u32 s1, s9, s15
	s_load_dwordx2 s[14:15], s[0:1], 0x0
	v_lshlrev_b32_e32 v6, 1, v0
	s_add_i32 s8, s20, -1
	v_cmp_gt_i32_e32 vcc, s8, v6
	v_mov_b32_e32 v1, 0
	s_and_saveexec_b64 s[16:17], vcc
	s_cbranch_execz .LBB478_4
; %bb.1:
	s_lshl_b64 s[0:1], s[10:11], 1
	s_waitcnt lgkmcnt(0)
	s_add_u32 s0, s14, s0
	v_lshlrev_b32_e32 v4, 2, v0
	s_addc_u32 s1, s15, s1
	v_mov_b32_e32 v3, s1
	v_add_co_u32_e32 v2, vcc, s0, v4
	s_lshl_b64 s[0:1], s[2:3], 1
	s_add_u32 s0, s4, s0
	v_addc_co_u32_e32 v3, vcc, 0, v3, vcc
	s_addc_u32 s1, s5, s1
	v_mov_b32_e32 v5, s1
	v_add_co_u32_e32 v4, vcc, s0, v4
	v_mov_b32_e32 v1, 0
	v_addc_co_u32_e32 v5, vcc, 0, v5, vcc
	s_mov_b64 s[18:19], 0
	s_mov_b32 s9, s7
.LBB478_2:                              ; =>This Inner Loop Header: Depth=1
	global_load_dword v7, v[2:3], off
	global_load_dword v10, v[4:5], off
	s_add_i32 s21, s9, 1
	v_add_u32_e32 v6, 0x800, v6
	s_cmp_gt_u32 s9, 30
	v_add_co_u32_e32 v2, vcc, 0x1000, v2
	v_cmp_le_i32_e64 s[0:1], s8, v6
	s_cselect_b64 s[22:23], -1, 0
	v_addc_co_u32_e32 v3, vcc, 0, v3, vcc
	s_or_b64 s[0:1], s[22:23], s[0:1]
	v_add_co_u32_e32 v4, vcc, 0x1000, v4
	s_and_b64 s[0:1], exec, s[0:1]
	s_mov_b32 s9, s21
	v_addc_co_u32_e32 v5, vcc, 0, v5, vcc
	s_or_b64 s[18:19], s[0:1], s[18:19]
	s_waitcnt vmcnt(1)
	v_cvt_f32_f16_sdwa v9, v7 dst_sel:DWORD dst_unused:UNUSED_PAD src0_sel:WORD_1
	v_cvt_f32_f16_e32 v8, v7
	s_waitcnt vmcnt(0)
	v_cvt_f32_f16_sdwa v11, v10 dst_sel:DWORD dst_unused:UNUSED_PAD src0_sel:WORD_1
	v_cvt_f32_f16_e32 v10, v10
	v_pk_mul_f32 v[8:9], v[8:9], v[10:11]
	v_add_f32_e32 v1, v1, v8
	v_add_f32_e32 v1, v1, v9
	s_andn2_b64 exec, exec, s[18:19]
	s_cbranch_execnz .LBB478_2
; %bb.3:
	s_or_b64 exec, exec, s[18:19]
.LBB478_4:
	s_or_b64 exec, exec, s[16:17]
	s_bitcmp1_b32 s20, 0
	s_cselect_b64 s[0:1], -1, 0
	v_cmp_eq_u32_e32 vcc, s8, v6
	s_and_b64 s[16:17], s[0:1], vcc
	s_and_saveexec_b64 s[0:1], s[16:17]
	s_cbranch_execz .LBB478_6
; %bb.5:
	s_lshl_b64 s[2:3], s[2:3], 1
	s_waitcnt lgkmcnt(0)
	s_add_u32 s16, s4, s2
	s_addc_u32 s17, s5, s3
	s_lshl_b64 s[2:3], s[10:11], 1
	s_add_u32 s4, s14, s2
	s_mov_b32 s9, 0
	s_addc_u32 s5, s15, s3
	s_lshl_b64 s[2:3], s[8:9], 1
	s_add_u32 s4, s4, s2
	s_addc_u32 s5, s5, s3
	v_mov_b32_e32 v2, 0
	s_add_u32 s2, s16, s2
	s_addc_u32 s3, s17, s3
	global_load_ushort v3, v2, s[4:5]
	global_load_ushort v4, v2, s[2:3]
	s_waitcnt vmcnt(0)
	v_fma_mix_f32 v1, v3, v4, v1 op_sel_hi:[1,1,0]
.LBB478_6:
	s_or_b64 exec, exec, s[0:1]
	v_and_b32_e32 v3, 63, v0
	v_cmp_gt_u32_e32 vcc, 64, v0
	v_lshlrev_b32_e32 v2, 2, v3
	s_and_saveexec_b64 s[0:1], vcc
	s_cbranch_execz .LBB478_8
; %bb.7:
	v_mov_b32_e32 v4, 0
	ds_write_b32 v2, v4
.LBB478_8:
	s_or_b64 exec, exec, s[0:1]
	v_mbcnt_lo_u32_b32 v4, -1, 0
	v_mbcnt_hi_u32_b32 v6, -1, v4
	v_and_b32_e32 v7, 63, v6
	v_cmp_gt_u32_e64 s[0:1], 32, v7
	v_cndmask_b32_e64 v4, 0, 1, s[0:1]
	v_lshlrev_b32_e32 v4, 5, v4
	v_add_lshl_u32 v4, v4, v6, 2
	ds_bpermute_b32 v4, v4, v1
	v_cmp_gt_u32_e64 s[0:1], 48, v7
	v_cndmask_b32_e64 v5, 0, 1, s[0:1]
	v_lshlrev_b32_e32 v5, 4, v5
	v_cmp_gt_u32_e64 s[0:1], 56, v7
	s_waitcnt lgkmcnt(0)
	v_add_f32_e32 v1, v1, v4
	v_add_lshl_u32 v4, v5, v6, 2
	ds_bpermute_b32 v4, v4, v1
	v_cndmask_b32_e64 v5, 0, 1, s[0:1]
	v_lshlrev_b32_e32 v5, 3, v5
	v_cmp_gt_u32_e64 s[0:1], 60, v7
	v_cndmask_b32_e64 v8, 0, 1, s[0:1]
	s_waitcnt lgkmcnt(0)
	v_add_f32_e32 v4, v1, v4
	v_add_lshl_u32 v1, v5, v6, 2
	ds_bpermute_b32 v5, v1, v4
	v_lshlrev_b32_e32 v8, 2, v8
	v_cmp_gt_u32_e64 s[0:1], 62, v7
	v_cndmask_b32_e64 v9, 0, 1, s[0:1]
	v_lshlrev_b32_e32 v9, 1, v9
	s_waitcnt lgkmcnt(0)
	v_add_f32_e32 v5, v4, v5
	v_add_lshl_u32 v4, v8, v6, 2
	ds_bpermute_b32 v8, v4, v5
	v_cmp_ne_u32_e64 s[0:1], 63, v7
	s_waitcnt lgkmcnt(0)
	s_barrier
	v_add_f32_e32 v8, v5, v8
	v_add_lshl_u32 v5, v9, v6, 2
	ds_bpermute_b32 v9, v5, v8
	v_addc_co_u32_e64 v6, s[0:1], 0, v6, s[0:1]
	v_lshlrev_b32_e32 v6, 2, v6
	v_cmp_eq_u32_e64 s[0:1], 0, v3
	s_waitcnt lgkmcnt(0)
	v_add_f32_e32 v7, v8, v9
	ds_bpermute_b32 v8, v6, v7
	s_and_saveexec_b64 s[2:3], s[0:1]
	s_cbranch_execz .LBB478_10
; %bb.9:
	s_waitcnt lgkmcnt(0)
	v_add_f32_e32 v3, v7, v8
	v_lshrrev_b32_e32 v7, 4, v0
	v_and_b32_e32 v7, 60, v7
	ds_write_b32 v7, v3
.LBB478_10:
	s_or_b64 exec, exec, s[2:3]
	v_cmp_gt_u32_e64 s[0:1], 16, v0
	v_mov_b32_e32 v3, 0
	s_waitcnt lgkmcnt(0)
	s_barrier
	s_and_saveexec_b64 s[2:3], s[0:1]
	s_cbranch_execnz .LBB478_14
; %bb.11:
	s_or_b64 exec, exec, s[2:3]
	s_and_saveexec_b64 s[0:1], vcc
	s_cbranch_execnz .LBB478_15
.LBB478_12:
	s_or_b64 exec, exec, s[0:1]
	v_cmp_eq_u32_e32 vcc, 0, v0
	s_and_saveexec_b64 s[0:1], vcc
	s_cbranch_execnz .LBB478_16
.LBB478_13:
	s_endpgm
.LBB478_14:
	ds_read_b32 v3, v2
	s_or_b64 exec, exec, s[2:3]
	s_and_saveexec_b64 s[0:1], vcc
	s_cbranch_execz .LBB478_12
.LBB478_15:
	s_waitcnt lgkmcnt(0)
	ds_bpermute_b32 v1, v1, v3
	s_waitcnt lgkmcnt(0)
	v_add_f32_e32 v1, v3, v1
	ds_bpermute_b32 v2, v4, v1
	s_waitcnt lgkmcnt(0)
	v_add_f32_e32 v1, v1, v2
	;; [unrolled: 3-line block ×4, first 2 shown]
	s_or_b64 exec, exec, s[0:1]
	v_cmp_eq_u32_e32 vcc, 0, v0
	s_and_saveexec_b64 s[0:1], vcc
	s_cbranch_execz .LBB478_13
.LBB478_16:
	s_waitcnt lgkmcnt(0)
	v_cvt_f16_f32_e32 v0, v3
	s_lshl_b64 s[0:1], s[6:7], 1
	s_add_u32 s0, s12, s0
	s_addc_u32 s1, s13, s1
	v_mov_b32_e32 v1, 0
	global_store_short v1, v0, s[0:1]
	s_endpgm
	.section	.rodata,"a",@progbits
	.p2align	6, 0x0
	.amdhsa_kernel _ZL26rocblas_dot_kernel_inc1by2ILb1ELi1024ELi32ELb1EDF16_PKPKDF16_fEviT4_llS4_lliPT5_PT3_
		.amdhsa_group_segment_fixed_size 256
		.amdhsa_private_segment_fixed_size 0
		.amdhsa_kernarg_size 80
		.amdhsa_user_sgpr_count 6
		.amdhsa_user_sgpr_private_segment_buffer 1
		.amdhsa_user_sgpr_dispatch_ptr 0
		.amdhsa_user_sgpr_queue_ptr 0
		.amdhsa_user_sgpr_kernarg_segment_ptr 1
		.amdhsa_user_sgpr_dispatch_id 0
		.amdhsa_user_sgpr_flat_scratch_init 0
		.amdhsa_user_sgpr_kernarg_preload_length 0
		.amdhsa_user_sgpr_kernarg_preload_offset 0
		.amdhsa_user_sgpr_private_segment_size 0
		.amdhsa_uses_dynamic_stack 0
		.amdhsa_system_sgpr_private_segment_wavefront_offset 0
		.amdhsa_system_sgpr_workgroup_id_x 1
		.amdhsa_system_sgpr_workgroup_id_y 0
		.amdhsa_system_sgpr_workgroup_id_z 1
		.amdhsa_system_sgpr_workgroup_info 0
		.amdhsa_system_vgpr_workitem_id 0
		.amdhsa_next_free_vgpr 12
		.amdhsa_next_free_sgpr 24
		.amdhsa_accum_offset 12
		.amdhsa_reserve_vcc 1
		.amdhsa_reserve_flat_scratch 0
		.amdhsa_float_round_mode_32 0
		.amdhsa_float_round_mode_16_64 0
		.amdhsa_float_denorm_mode_32 3
		.amdhsa_float_denorm_mode_16_64 3
		.amdhsa_dx10_clamp 1
		.amdhsa_ieee_mode 1
		.amdhsa_fp16_overflow 0
		.amdhsa_tg_split 0
		.amdhsa_exception_fp_ieee_invalid_op 0
		.amdhsa_exception_fp_denorm_src 0
		.amdhsa_exception_fp_ieee_div_zero 0
		.amdhsa_exception_fp_ieee_overflow 0
		.amdhsa_exception_fp_ieee_underflow 0
		.amdhsa_exception_fp_ieee_inexact 0
		.amdhsa_exception_int_div_zero 0
	.end_amdhsa_kernel
	.section	.text._ZL26rocblas_dot_kernel_inc1by2ILb1ELi1024ELi32ELb1EDF16_PKPKDF16_fEviT4_llS4_lliPT5_PT3_,"axG",@progbits,_ZL26rocblas_dot_kernel_inc1by2ILb1ELi1024ELi32ELb1EDF16_PKPKDF16_fEviT4_llS4_lliPT5_PT3_,comdat
.Lfunc_end478:
	.size	_ZL26rocblas_dot_kernel_inc1by2ILb1ELi1024ELi32ELb1EDF16_PKPKDF16_fEviT4_llS4_lliPT5_PT3_, .Lfunc_end478-_ZL26rocblas_dot_kernel_inc1by2ILb1ELi1024ELi32ELb1EDF16_PKPKDF16_fEviT4_llS4_lliPT5_PT3_
                                        ; -- End function
	.section	.AMDGPU.csdata,"",@progbits
; Kernel info:
; codeLenInByte = 984
; NumSgprs: 28
; NumVgprs: 12
; NumAgprs: 0
; TotalNumVgprs: 12
; ScratchSize: 0
; MemoryBound: 0
; FloatMode: 240
; IeeeMode: 1
; LDSByteSize: 256 bytes/workgroup (compile time only)
; SGPRBlocks: 3
; VGPRBlocks: 1
; NumSGPRsForWavesPerEU: 28
; NumVGPRsForWavesPerEU: 12
; AccumOffset: 12
; Occupancy: 8
; WaveLimiterHint : 1
; COMPUTE_PGM_RSRC2:SCRATCH_EN: 0
; COMPUTE_PGM_RSRC2:USER_SGPR: 6
; COMPUTE_PGM_RSRC2:TRAP_HANDLER: 0
; COMPUTE_PGM_RSRC2:TGID_X_EN: 1
; COMPUTE_PGM_RSRC2:TGID_Y_EN: 0
; COMPUTE_PGM_RSRC2:TGID_Z_EN: 1
; COMPUTE_PGM_RSRC2:TIDIG_COMP_CNT: 0
; COMPUTE_PGM_RSRC3_GFX90A:ACCUM_OFFSET: 2
; COMPUTE_PGM_RSRC3_GFX90A:TG_SPLIT: 0
	.section	.text._ZL18rocblas_dot_kernelIiLb1ELi1024ELi32ELb1EDF16_PKPKDF16_fEviT5_lT_lS4_lS5_liPT6_PT4_,"axG",@progbits,_ZL18rocblas_dot_kernelIiLb1ELi1024ELi32ELb1EDF16_PKPKDF16_fEviT5_lT_lS4_lS5_liPT6_PT4_,comdat
	.globl	_ZL18rocblas_dot_kernelIiLb1ELi1024ELi32ELb1EDF16_PKPKDF16_fEviT5_lT_lS4_lS5_liPT6_PT4_ ; -- Begin function _ZL18rocblas_dot_kernelIiLb1ELi1024ELi32ELb1EDF16_PKPKDF16_fEviT5_lT_lS4_lS5_liPT6_PT4_
	.p2align	8
	.type	_ZL18rocblas_dot_kernelIiLb1ELi1024ELi32ELb1EDF16_PKPKDF16_fEviT5_lT_lS4_lS5_liPT6_PT4_,@function
_ZL18rocblas_dot_kernelIiLb1ELi1024ELi32ELb1EDF16_PKPKDF16_fEviT5_lT_lS4_lS5_liPT6_PT4_: ; @_ZL18rocblas_dot_kernelIiLb1ELi1024ELi32ELb1EDF16_PKPKDF16_fEviT5_lT_lS4_lS5_liPT6_PT4_
; %bb.0:
	s_mov_b32 s2, s7
	s_load_dword s14, s[4:5], 0x0
	s_load_dwordx2 s[6:7], s[4:5], 0x58
	s_mov_b32 s3, 0
	v_mov_b32_e32 v1, 0
	s_waitcnt lgkmcnt(0)
	v_cmp_gt_i32_e32 vcc, s14, v0
	s_and_saveexec_b64 s[8:9], vcc
	s_cbranch_execz .LBB479_4
; %bb.1:
	s_load_dwordx4 s[16:19], s[4:5], 0x8
	s_load_dword s24, s[4:5], 0x18
	s_load_dwordx4 s[20:23], s[4:5], 0x28
	s_lshl_b64 s[0:1], s[2:3], 3
	s_waitcnt lgkmcnt(0)
	s_add_u32 s10, s16, s0
	s_addc_u32 s11, s17, s1
	s_load_dword s16, s[4:5], 0x38
	s_load_dword s15, s[4:5], 0x60
	s_load_dwordx2 s[12:13], s[10:11], 0x0
	s_add_u32 s0, s20, s0
	s_addc_u32 s1, s21, s1
	v_mad_i64_i32 v[2:3], s[4:5], s24, v0, 0
	s_load_dwordx2 s[0:1], s[0:1], 0x0
	s_waitcnt lgkmcnt(0)
	s_lshl_b32 s15, s15, 10
	s_lshl_b64 s[4:5], s[18:19], 1
	s_add_u32 s4, s12, s4
	v_lshlrev_b64 v[2:3], 1, v[2:3]
	s_addc_u32 s5, s13, s5
	v_mov_b32_e32 v1, s5
	v_add_co_u32_e32 v2, vcc, s4, v2
	s_mul_hi_i32 s5, s24, s15
	s_mul_i32 s4, s24, s15
	v_mad_i64_i32 v[4:5], s[10:11], s16, v0, 0
	s_lshl_b64 s[4:5], s[4:5], 1
	s_lshl_b64 s[10:11], s[22:23], 1
	s_add_u32 s0, s0, s10
	v_addc_co_u32_e32 v3, vcc, v1, v3, vcc
	v_lshlrev_b64 v[4:5], 1, v[4:5]
	s_addc_u32 s1, s1, s11
	v_mov_b32_e32 v1, s1
	v_add_co_u32_e32 v4, vcc, s0, v4
	s_mul_hi_i32 s1, s16, s15
	s_mul_i32 s0, s16, s15
	s_lshl_b64 s[12:13], s[0:1], 1
	v_or_b32_e32 v6, s15, v0
	v_addc_co_u32_e32 v5, vcc, v1, v5, vcc
	s_mov_b64 s[10:11], 0
	v_mov_b32_e32 v1, 0
	v_mov_b32_e32 v7, s5
	;; [unrolled: 1-line block ×3, first 2 shown]
	s_mov_b32 s5, s3
.LBB479_2:                              ; =>This Inner Loop Header: Depth=1
	global_load_ushort v9, v[4:5], off
	global_load_ushort v10, v[2:3], off
	v_add_co_u32_e64 v2, s[0:1], s4, v2
	v_addc_co_u32_e64 v3, s[0:1], v3, v7, s[0:1]
	s_add_i32 s13, s5, 1
	v_add_co_u32_e64 v4, s[0:1], s12, v4
	v_addc_co_u32_e64 v5, s[0:1], v5, v8, s[0:1]
	s_cmp_gt_u32 s5, 30
	v_cmp_le_i32_e32 vcc, s14, v6
	s_cselect_b64 s[0:1], -1, 0
	s_or_b64 s[0:1], s[0:1], vcc
	s_and_b64 s[0:1], exec, s[0:1]
	v_add_u32_e32 v6, s15, v6
	s_mov_b32 s5, s13
	s_or_b64 s[10:11], s[0:1], s[10:11]
	s_waitcnt vmcnt(0)
	v_fma_mix_f32 v1, v9, v10, v1 op_sel_hi:[1,1,0]
	s_andn2_b64 exec, exec, s[10:11]
	s_cbranch_execnz .LBB479_2
; %bb.3:
	s_or_b64 exec, exec, s[10:11]
.LBB479_4:
	s_or_b64 exec, exec, s[8:9]
	v_and_b32_e32 v3, 63, v0
	v_cmp_gt_u32_e32 vcc, 64, v0
	v_lshlrev_b32_e32 v2, 2, v3
	s_and_saveexec_b64 s[0:1], vcc
	s_cbranch_execz .LBB479_6
; %bb.5:
	v_mov_b32_e32 v4, 0
	ds_write_b32 v2, v4
.LBB479_6:
	s_or_b64 exec, exec, s[0:1]
	v_mbcnt_lo_u32_b32 v4, -1, 0
	v_mbcnt_hi_u32_b32 v6, -1, v4
	v_and_b32_e32 v7, 63, v6
	v_cmp_gt_u32_e64 s[0:1], 32, v7
	v_cndmask_b32_e64 v4, 0, 1, s[0:1]
	v_lshlrev_b32_e32 v4, 5, v4
	v_add_lshl_u32 v4, v4, v6, 2
	ds_bpermute_b32 v4, v4, v1
	v_cmp_gt_u32_e64 s[0:1], 48, v7
	v_cndmask_b32_e64 v5, 0, 1, s[0:1]
	v_lshlrev_b32_e32 v5, 4, v5
	v_cmp_gt_u32_e64 s[0:1], 56, v7
	s_waitcnt lgkmcnt(0)
	v_add_f32_e32 v1, v1, v4
	v_add_lshl_u32 v4, v5, v6, 2
	ds_bpermute_b32 v4, v4, v1
	v_cndmask_b32_e64 v5, 0, 1, s[0:1]
	v_lshlrev_b32_e32 v5, 3, v5
	v_cmp_gt_u32_e64 s[0:1], 60, v7
	v_cndmask_b32_e64 v8, 0, 1, s[0:1]
	s_waitcnt lgkmcnt(0)
	v_add_f32_e32 v4, v1, v4
	v_add_lshl_u32 v1, v5, v6, 2
	ds_bpermute_b32 v5, v1, v4
	v_lshlrev_b32_e32 v8, 2, v8
	v_cmp_gt_u32_e64 s[0:1], 62, v7
	v_cndmask_b32_e64 v9, 0, 1, s[0:1]
	v_lshlrev_b32_e32 v9, 1, v9
	s_waitcnt lgkmcnt(0)
	v_add_f32_e32 v5, v4, v5
	v_add_lshl_u32 v4, v8, v6, 2
	ds_bpermute_b32 v8, v4, v5
	v_cmp_ne_u32_e64 s[0:1], 63, v7
	s_waitcnt lgkmcnt(0)
	s_barrier
	v_add_f32_e32 v8, v5, v8
	v_add_lshl_u32 v5, v9, v6, 2
	ds_bpermute_b32 v9, v5, v8
	v_addc_co_u32_e64 v6, s[0:1], 0, v6, s[0:1]
	v_lshlrev_b32_e32 v6, 2, v6
	v_cmp_eq_u32_e64 s[0:1], 0, v3
	s_waitcnt lgkmcnt(0)
	v_add_f32_e32 v7, v8, v9
	ds_bpermute_b32 v8, v6, v7
	s_and_saveexec_b64 s[4:5], s[0:1]
	s_cbranch_execz .LBB479_8
; %bb.7:
	s_waitcnt lgkmcnt(0)
	v_add_f32_e32 v3, v7, v8
	v_lshrrev_b32_e32 v7, 4, v0
	v_and_b32_e32 v7, 60, v7
	ds_write_b32 v7, v3
.LBB479_8:
	s_or_b64 exec, exec, s[4:5]
	v_cmp_gt_u32_e64 s[0:1], 16, v0
	v_mov_b32_e32 v3, 0
	s_waitcnt lgkmcnt(0)
	s_barrier
	s_and_saveexec_b64 s[4:5], s[0:1]
	s_cbranch_execnz .LBB479_12
; %bb.9:
	s_or_b64 exec, exec, s[4:5]
	s_and_saveexec_b64 s[0:1], vcc
	s_cbranch_execnz .LBB479_13
.LBB479_10:
	s_or_b64 exec, exec, s[0:1]
	v_cmp_eq_u32_e32 vcc, 0, v0
	s_and_saveexec_b64 s[0:1], vcc
	s_cbranch_execnz .LBB479_14
.LBB479_11:
	s_endpgm
.LBB479_12:
	ds_read_b32 v3, v2
	s_or_b64 exec, exec, s[4:5]
	s_and_saveexec_b64 s[0:1], vcc
	s_cbranch_execz .LBB479_10
.LBB479_13:
	s_waitcnt lgkmcnt(0)
	ds_bpermute_b32 v1, v1, v3
	s_waitcnt lgkmcnt(0)
	v_add_f32_e32 v1, v3, v1
	ds_bpermute_b32 v2, v4, v1
	s_waitcnt lgkmcnt(0)
	v_add_f32_e32 v1, v1, v2
	;; [unrolled: 3-line block ×4, first 2 shown]
	s_or_b64 exec, exec, s[0:1]
	v_cmp_eq_u32_e32 vcc, 0, v0
	s_and_saveexec_b64 s[0:1], vcc
	s_cbranch_execz .LBB479_11
.LBB479_14:
	s_waitcnt lgkmcnt(0)
	v_cvt_f16_f32_e32 v0, v3
	s_lshl_b64 s[0:1], s[2:3], 1
	s_add_u32 s0, s6, s0
	s_addc_u32 s1, s7, s1
	v_mov_b32_e32 v1, 0
	global_store_short v1, v0, s[0:1]
	s_endpgm
	.section	.rodata,"a",@progbits
	.p2align	6, 0x0
	.amdhsa_kernel _ZL18rocblas_dot_kernelIiLb1ELi1024ELi32ELb1EDF16_PKPKDF16_fEviT5_lT_lS4_lS5_liPT6_PT4_
		.amdhsa_group_segment_fixed_size 256
		.amdhsa_private_segment_fixed_size 0
		.amdhsa_kernarg_size 352
		.amdhsa_user_sgpr_count 6
		.amdhsa_user_sgpr_private_segment_buffer 1
		.amdhsa_user_sgpr_dispatch_ptr 0
		.amdhsa_user_sgpr_queue_ptr 0
		.amdhsa_user_sgpr_kernarg_segment_ptr 1
		.amdhsa_user_sgpr_dispatch_id 0
		.amdhsa_user_sgpr_flat_scratch_init 0
		.amdhsa_user_sgpr_kernarg_preload_length 0
		.amdhsa_user_sgpr_kernarg_preload_offset 0
		.amdhsa_user_sgpr_private_segment_size 0
		.amdhsa_uses_dynamic_stack 0
		.amdhsa_system_sgpr_private_segment_wavefront_offset 0
		.amdhsa_system_sgpr_workgroup_id_x 1
		.amdhsa_system_sgpr_workgroup_id_y 0
		.amdhsa_system_sgpr_workgroup_id_z 1
		.amdhsa_system_sgpr_workgroup_info 0
		.amdhsa_system_vgpr_workitem_id 0
		.amdhsa_next_free_vgpr 11
		.amdhsa_next_free_sgpr 25
		.amdhsa_accum_offset 12
		.amdhsa_reserve_vcc 1
		.amdhsa_reserve_flat_scratch 0
		.amdhsa_float_round_mode_32 0
		.amdhsa_float_round_mode_16_64 0
		.amdhsa_float_denorm_mode_32 3
		.amdhsa_float_denorm_mode_16_64 3
		.amdhsa_dx10_clamp 1
		.amdhsa_ieee_mode 1
		.amdhsa_fp16_overflow 0
		.amdhsa_tg_split 0
		.amdhsa_exception_fp_ieee_invalid_op 0
		.amdhsa_exception_fp_denorm_src 0
		.amdhsa_exception_fp_ieee_div_zero 0
		.amdhsa_exception_fp_ieee_overflow 0
		.amdhsa_exception_fp_ieee_underflow 0
		.amdhsa_exception_fp_ieee_inexact 0
		.amdhsa_exception_int_div_zero 0
	.end_amdhsa_kernel
	.section	.text._ZL18rocblas_dot_kernelIiLb1ELi1024ELi32ELb1EDF16_PKPKDF16_fEviT5_lT_lS4_lS5_liPT6_PT4_,"axG",@progbits,_ZL18rocblas_dot_kernelIiLb1ELi1024ELi32ELb1EDF16_PKPKDF16_fEviT5_lT_lS4_lS5_liPT6_PT4_,comdat
.Lfunc_end479:
	.size	_ZL18rocblas_dot_kernelIiLb1ELi1024ELi32ELb1EDF16_PKPKDF16_fEviT5_lT_lS4_lS5_liPT6_PT4_, .Lfunc_end479-_ZL18rocblas_dot_kernelIiLb1ELi1024ELi32ELb1EDF16_PKPKDF16_fEviT5_lT_lS4_lS5_liPT6_PT4_
                                        ; -- End function
	.section	.AMDGPU.csdata,"",@progbits
; Kernel info:
; codeLenInByte = 924
; NumSgprs: 29
; NumVgprs: 11
; NumAgprs: 0
; TotalNumVgprs: 11
; ScratchSize: 0
; MemoryBound: 0
; FloatMode: 240
; IeeeMode: 1
; LDSByteSize: 256 bytes/workgroup (compile time only)
; SGPRBlocks: 3
; VGPRBlocks: 1
; NumSGPRsForWavesPerEU: 29
; NumVGPRsForWavesPerEU: 11
; AccumOffset: 12
; Occupancy: 8
; WaveLimiterHint : 0
; COMPUTE_PGM_RSRC2:SCRATCH_EN: 0
; COMPUTE_PGM_RSRC2:USER_SGPR: 6
; COMPUTE_PGM_RSRC2:TRAP_HANDLER: 0
; COMPUTE_PGM_RSRC2:TGID_X_EN: 1
; COMPUTE_PGM_RSRC2:TGID_Y_EN: 0
; COMPUTE_PGM_RSRC2:TGID_Z_EN: 1
; COMPUTE_PGM_RSRC2:TIDIG_COMP_CNT: 0
; COMPUTE_PGM_RSRC3_GFX90A:ACCUM_OFFSET: 2
; COMPUTE_PGM_RSRC3_GFX90A:TG_SPLIT: 0
	.section	.text._ZL24rocblas_dot_kernel_magsqIiLb1ELi1024ELi32ELb1EDF16_PKPKDF16_fEviT5_lT_liPT6_PT4_,"axG",@progbits,_ZL24rocblas_dot_kernel_magsqIiLb1ELi1024ELi32ELb1EDF16_PKPKDF16_fEviT5_lT_liPT6_PT4_,comdat
	.globl	_ZL24rocblas_dot_kernel_magsqIiLb1ELi1024ELi32ELb1EDF16_PKPKDF16_fEviT5_lT_liPT6_PT4_ ; -- Begin function _ZL24rocblas_dot_kernel_magsqIiLb1ELi1024ELi32ELb1EDF16_PKPKDF16_fEviT5_lT_liPT6_PT4_
	.p2align	8
	.type	_ZL24rocblas_dot_kernel_magsqIiLb1ELi1024ELi32ELb1EDF16_PKPKDF16_fEviT5_lT_liPT6_PT4_,@function
_ZL24rocblas_dot_kernel_magsqIiLb1ELi1024ELi32ELb1EDF16_PKPKDF16_fEviT5_lT_liPT6_PT4_: ; @_ZL24rocblas_dot_kernel_magsqIiLb1ELi1024ELi32ELb1EDF16_PKPKDF16_fEviT5_lT_liPT6_PT4_
; %bb.0:
	s_mov_b32 s2, s7
	s_load_dword s12, s[4:5], 0x0
	s_load_dwordx2 s[6:7], s[4:5], 0x38
	s_mov_b32 s3, 0
	v_mov_b32_e32 v1, 0
	s_waitcnt lgkmcnt(0)
	v_cmp_gt_i32_e32 vcc, s12, v0
	s_and_saveexec_b64 s[8:9], vcc
	s_cbranch_execz .LBB480_4
; %bb.1:
	s_load_dwordx4 s[16:19], s[4:5], 0x8
	s_load_dword s10, s[4:5], 0x40
	s_load_dword s11, s[4:5], 0x18
	s_lshl_b64 s[0:1], s[2:3], 3
	s_waitcnt lgkmcnt(0)
	s_add_u32 s0, s16, s0
	s_addc_u32 s1, s17, s1
	s_load_dwordx2 s[0:1], s[0:1], 0x0
	v_mad_i64_i32 v[2:3], s[4:5], s11, v0, 0
	s_lshl_b32 s13, s10, 10
	s_lshl_b64 s[4:5], s[18:19], 1
	s_waitcnt lgkmcnt(0)
	s_add_u32 s0, s0, s4
	v_lshlrev_b64 v[2:3], 1, v[2:3]
	s_addc_u32 s1, s1, s5
	v_mov_b32_e32 v1, s1
	v_add_co_u32_e32 v2, vcc, s0, v2
	s_mul_hi_i32 s1, s11, s13
	s_mul_i32 s0, s11, s13
	s_lshl_b64 s[10:11], s[0:1], 1
	v_or_b32_e32 v4, s13, v0
	v_addc_co_u32_e32 v3, vcc, v1, v3, vcc
	s_mov_b64 s[4:5], 0
	v_mov_b32_e32 v1, 0
	v_mov_b32_e32 v5, s11
	s_mov_b32 s11, s3
.LBB480_2:                              ; =>This Inner Loop Header: Depth=1
	global_load_ushort v6, v[2:3], off
	s_add_i32 s14, s11, 1
	v_add_co_u32_e64 v2, s[0:1], s10, v2
	v_addc_co_u32_e64 v3, s[0:1], v3, v5, s[0:1]
	s_cmp_gt_u32 s11, 30
	v_cmp_le_i32_e32 vcc, s12, v4
	s_cselect_b64 s[0:1], -1, 0
	s_or_b64 s[0:1], s[0:1], vcc
	s_and_b64 s[0:1], exec, s[0:1]
	v_add_u32_e32 v4, s13, v4
	s_mov_b32 s11, s14
	s_or_b64 s[4:5], s[0:1], s[4:5]
	s_waitcnt vmcnt(0)
	v_fma_mix_f32 v1, v6, v6, v1 op_sel_hi:[1,1,0]
	s_andn2_b64 exec, exec, s[4:5]
	s_cbranch_execnz .LBB480_2
; %bb.3:
	s_or_b64 exec, exec, s[4:5]
.LBB480_4:
	s_or_b64 exec, exec, s[8:9]
	v_and_b32_e32 v3, 63, v0
	v_cmp_gt_u32_e32 vcc, 64, v0
	v_lshlrev_b32_e32 v2, 2, v3
	s_and_saveexec_b64 s[0:1], vcc
	s_cbranch_execz .LBB480_6
; %bb.5:
	v_mov_b32_e32 v4, 0
	ds_write_b32 v2, v4
.LBB480_6:
	s_or_b64 exec, exec, s[0:1]
	v_mbcnt_lo_u32_b32 v4, -1, 0
	v_mbcnt_hi_u32_b32 v6, -1, v4
	v_and_b32_e32 v7, 63, v6
	v_cmp_gt_u32_e64 s[0:1], 32, v7
	v_cndmask_b32_e64 v4, 0, 1, s[0:1]
	v_lshlrev_b32_e32 v4, 5, v4
	v_add_lshl_u32 v4, v4, v6, 2
	ds_bpermute_b32 v4, v4, v1
	v_cmp_gt_u32_e64 s[0:1], 48, v7
	v_cndmask_b32_e64 v5, 0, 1, s[0:1]
	v_lshlrev_b32_e32 v5, 4, v5
	v_cmp_gt_u32_e64 s[0:1], 56, v7
	s_waitcnt lgkmcnt(0)
	v_add_f32_e32 v1, v1, v4
	v_add_lshl_u32 v4, v5, v6, 2
	ds_bpermute_b32 v4, v4, v1
	v_cndmask_b32_e64 v5, 0, 1, s[0:1]
	v_lshlrev_b32_e32 v5, 3, v5
	v_cmp_gt_u32_e64 s[0:1], 60, v7
	v_cndmask_b32_e64 v8, 0, 1, s[0:1]
	s_waitcnt lgkmcnt(0)
	v_add_f32_e32 v4, v1, v4
	v_add_lshl_u32 v1, v5, v6, 2
	ds_bpermute_b32 v5, v1, v4
	v_lshlrev_b32_e32 v8, 2, v8
	v_cmp_gt_u32_e64 s[0:1], 62, v7
	v_cndmask_b32_e64 v9, 0, 1, s[0:1]
	v_lshlrev_b32_e32 v9, 1, v9
	s_waitcnt lgkmcnt(0)
	v_add_f32_e32 v5, v4, v5
	v_add_lshl_u32 v4, v8, v6, 2
	ds_bpermute_b32 v8, v4, v5
	v_cmp_ne_u32_e64 s[0:1], 63, v7
	s_waitcnt lgkmcnt(0)
	s_barrier
	v_add_f32_e32 v8, v5, v8
	v_add_lshl_u32 v5, v9, v6, 2
	ds_bpermute_b32 v9, v5, v8
	v_addc_co_u32_e64 v6, s[0:1], 0, v6, s[0:1]
	v_lshlrev_b32_e32 v6, 2, v6
	v_cmp_eq_u32_e64 s[0:1], 0, v3
	s_waitcnt lgkmcnt(0)
	v_add_f32_e32 v7, v8, v9
	ds_bpermute_b32 v8, v6, v7
	s_and_saveexec_b64 s[4:5], s[0:1]
	s_cbranch_execz .LBB480_8
; %bb.7:
	s_waitcnt lgkmcnt(0)
	v_add_f32_e32 v3, v7, v8
	v_lshrrev_b32_e32 v7, 4, v0
	v_and_b32_e32 v7, 60, v7
	ds_write_b32 v7, v3
.LBB480_8:
	s_or_b64 exec, exec, s[4:5]
	v_cmp_gt_u32_e64 s[0:1], 16, v0
	v_mov_b32_e32 v3, 0
	s_waitcnt lgkmcnt(0)
	s_barrier
	s_and_saveexec_b64 s[4:5], s[0:1]
	s_cbranch_execnz .LBB480_12
; %bb.9:
	s_or_b64 exec, exec, s[4:5]
	s_and_saveexec_b64 s[0:1], vcc
	s_cbranch_execnz .LBB480_13
.LBB480_10:
	s_or_b64 exec, exec, s[0:1]
	v_cmp_eq_u32_e32 vcc, 0, v0
	s_and_saveexec_b64 s[0:1], vcc
	s_cbranch_execnz .LBB480_14
.LBB480_11:
	s_endpgm
.LBB480_12:
	ds_read_b32 v3, v2
	s_or_b64 exec, exec, s[4:5]
	s_and_saveexec_b64 s[0:1], vcc
	s_cbranch_execz .LBB480_10
.LBB480_13:
	s_waitcnt lgkmcnt(0)
	ds_bpermute_b32 v1, v1, v3
	s_waitcnt lgkmcnt(0)
	v_add_f32_e32 v1, v3, v1
	ds_bpermute_b32 v2, v4, v1
	s_waitcnt lgkmcnt(0)
	v_add_f32_e32 v1, v1, v2
	;; [unrolled: 3-line block ×4, first 2 shown]
	s_or_b64 exec, exec, s[0:1]
	v_cmp_eq_u32_e32 vcc, 0, v0
	s_and_saveexec_b64 s[0:1], vcc
	s_cbranch_execz .LBB480_11
.LBB480_14:
	s_waitcnt lgkmcnt(0)
	v_cvt_f16_f32_e32 v0, v3
	s_lshl_b64 s[0:1], s[2:3], 1
	s_add_u32 s0, s6, s0
	s_addc_u32 s1, s7, s1
	v_mov_b32_e32 v1, 0
	global_store_short v1, v0, s[0:1]
	s_endpgm
	.section	.rodata,"a",@progbits
	.p2align	6, 0x0
	.amdhsa_kernel _ZL24rocblas_dot_kernel_magsqIiLb1ELi1024ELi32ELb1EDF16_PKPKDF16_fEviT5_lT_liPT6_PT4_
		.amdhsa_group_segment_fixed_size 256
		.amdhsa_private_segment_fixed_size 0
		.amdhsa_kernarg_size 320
		.amdhsa_user_sgpr_count 6
		.amdhsa_user_sgpr_private_segment_buffer 1
		.amdhsa_user_sgpr_dispatch_ptr 0
		.amdhsa_user_sgpr_queue_ptr 0
		.amdhsa_user_sgpr_kernarg_segment_ptr 1
		.amdhsa_user_sgpr_dispatch_id 0
		.amdhsa_user_sgpr_flat_scratch_init 0
		.amdhsa_user_sgpr_kernarg_preload_length 0
		.amdhsa_user_sgpr_kernarg_preload_offset 0
		.amdhsa_user_sgpr_private_segment_size 0
		.amdhsa_uses_dynamic_stack 0
		.amdhsa_system_sgpr_private_segment_wavefront_offset 0
		.amdhsa_system_sgpr_workgroup_id_x 1
		.amdhsa_system_sgpr_workgroup_id_y 0
		.amdhsa_system_sgpr_workgroup_id_z 1
		.amdhsa_system_sgpr_workgroup_info 0
		.amdhsa_system_vgpr_workitem_id 0
		.amdhsa_next_free_vgpr 10
		.amdhsa_next_free_sgpr 20
		.amdhsa_accum_offset 12
		.amdhsa_reserve_vcc 1
		.amdhsa_reserve_flat_scratch 0
		.amdhsa_float_round_mode_32 0
		.amdhsa_float_round_mode_16_64 0
		.amdhsa_float_denorm_mode_32 3
		.amdhsa_float_denorm_mode_16_64 3
		.amdhsa_dx10_clamp 1
		.amdhsa_ieee_mode 1
		.amdhsa_fp16_overflow 0
		.amdhsa_tg_split 0
		.amdhsa_exception_fp_ieee_invalid_op 0
		.amdhsa_exception_fp_denorm_src 0
		.amdhsa_exception_fp_ieee_div_zero 0
		.amdhsa_exception_fp_ieee_overflow 0
		.amdhsa_exception_fp_ieee_underflow 0
		.amdhsa_exception_fp_ieee_inexact 0
		.amdhsa_exception_int_div_zero 0
	.end_amdhsa_kernel
	.section	.text._ZL24rocblas_dot_kernel_magsqIiLb1ELi1024ELi32ELb1EDF16_PKPKDF16_fEviT5_lT_liPT6_PT4_,"axG",@progbits,_ZL24rocblas_dot_kernel_magsqIiLb1ELi1024ELi32ELb1EDF16_PKPKDF16_fEviT5_lT_liPT6_PT4_,comdat
.Lfunc_end480:
	.size	_ZL24rocblas_dot_kernel_magsqIiLb1ELi1024ELi32ELb1EDF16_PKPKDF16_fEviT5_lT_liPT6_PT4_, .Lfunc_end480-_ZL24rocblas_dot_kernel_magsqIiLb1ELi1024ELi32ELb1EDF16_PKPKDF16_fEviT5_lT_liPT6_PT4_
                                        ; -- End function
	.section	.AMDGPU.csdata,"",@progbits
; Kernel info:
; codeLenInByte = 812
; NumSgprs: 24
; NumVgprs: 10
; NumAgprs: 0
; TotalNumVgprs: 10
; ScratchSize: 0
; MemoryBound: 0
; FloatMode: 240
; IeeeMode: 1
; LDSByteSize: 256 bytes/workgroup (compile time only)
; SGPRBlocks: 2
; VGPRBlocks: 1
; NumSGPRsForWavesPerEU: 24
; NumVGPRsForWavesPerEU: 10
; AccumOffset: 12
; Occupancy: 8
; WaveLimiterHint : 0
; COMPUTE_PGM_RSRC2:SCRATCH_EN: 0
; COMPUTE_PGM_RSRC2:USER_SGPR: 6
; COMPUTE_PGM_RSRC2:TRAP_HANDLER: 0
; COMPUTE_PGM_RSRC2:TGID_X_EN: 1
; COMPUTE_PGM_RSRC2:TGID_Y_EN: 0
; COMPUTE_PGM_RSRC2:TGID_Z_EN: 1
; COMPUTE_PGM_RSRC2:TIDIG_COMP_CNT: 0
; COMPUTE_PGM_RSRC3_GFX90A:ACCUM_OFFSET: 2
; COMPUTE_PGM_RSRC3_GFX90A:TG_SPLIT: 0
	.section	.text._ZL23rocblas_dot_kernel_inc1ILb0ELi512ELi8ELb1EDF16_PKPKDF16_fEviT4_llS4_lliPT5_PT3_,"axG",@progbits,_ZL23rocblas_dot_kernel_inc1ILb0ELi512ELi8ELb1EDF16_PKPKDF16_fEviT4_llS4_lliPT5_PT3_,comdat
	.globl	_ZL23rocblas_dot_kernel_inc1ILb0ELi512ELi8ELb1EDF16_PKPKDF16_fEviT4_llS4_lliPT5_PT3_ ; -- Begin function _ZL23rocblas_dot_kernel_inc1ILb0ELi512ELi8ELb1EDF16_PKPKDF16_fEviT4_llS4_lliPT5_PT3_
	.p2align	8
	.type	_ZL23rocblas_dot_kernel_inc1ILb0ELi512ELi8ELb1EDF16_PKPKDF16_fEviT4_llS4_lliPT5_PT3_,@function
_ZL23rocblas_dot_kernel_inc1ILb0ELi512ELi8ELb1EDF16_PKPKDF16_fEviT4_llS4_lliPT5_PT3_: ; @_ZL23rocblas_dot_kernel_inc1ILb0ELi512ELi8ELb1EDF16_PKPKDF16_fEviT4_llS4_lliPT5_PT3_
; %bb.0:
	s_mov_b32 s2, s7
	s_load_dword s18, s[4:5], 0x50
	s_load_dword s7, s[4:5], 0x0
	s_load_dwordx4 s[8:11], s[4:5], 0x40
	v_lshl_or_b32 v4, s6, 9, v0
	s_mov_b32 s3, 0
	v_mov_b32_e32 v1, 0
	s_waitcnt lgkmcnt(0)
	v_cmp_gt_i32_e32 vcc, s7, v4
	s_and_saveexec_b64 s[12:13], vcc
	s_cbranch_execz .LBB481_4
; %bb.1:
	s_load_dwordx4 s[20:23], s[4:5], 0x8
	s_load_dwordx4 s[24:27], s[4:5], 0x20
	s_lshl_b64 s[0:1], s[2:3], 3
	v_ashrrev_i32_e32 v5, 31, v4
	v_lshlrev_b64 v[2:3], 1, v[4:5]
	s_waitcnt lgkmcnt(0)
	s_add_u32 s4, s20, s0
	s_addc_u32 s5, s21, s1
	s_load_dwordx2 s[14:15], s[4:5], 0x0
	s_lshl_b64 s[16:17], s[22:23], 1
	s_mov_b64 s[4:5], 0
	v_mov_b32_e32 v1, 0
	s_waitcnt lgkmcnt(0)
	s_add_u32 s19, s14, s16
	s_addc_u32 s14, s15, s17
	s_add_u32 s0, s24, s0
	s_addc_u32 s1, s25, s1
	s_load_dwordx2 s[0:1], s[0:1], 0x0
	v_mov_b32_e32 v5, s14
	s_lshl_b64 s[14:15], s[26:27], 1
	s_waitcnt lgkmcnt(0)
	s_add_u32 s20, s0, s14
	s_addc_u32 s0, s1, s15
	s_lshl_b32 s14, s18, 9
	s_ashr_i32 s15, s14, 31
	s_lshl_b64 s[16:17], s[14:15], 1
	v_add_u32_e32 v4, s14, v4
	v_mov_b32_e32 v6, s0
	v_mov_b32_e32 v7, s17
	s_mov_b32 s15, s3
.LBB481_2:                              ; =>This Inner Loop Header: Depth=1
	v_add_co_u32_e32 v8, vcc, s20, v2
	v_addc_co_u32_e32 v9, vcc, v6, v3, vcc
	v_add_co_u32_e32 v10, vcc, s19, v2
	v_addc_co_u32_e32 v11, vcc, v5, v3, vcc
	global_load_ushort v12, v[8:9], off
	global_load_ushort v13, v[10:11], off
	s_add_i32 s17, s15, 1
	v_add_co_u32_e64 v2, s[0:1], s16, v2
	v_addc_co_u32_e64 v3, s[0:1], v3, v7, s[0:1]
	s_cmp_gt_u32 s15, 6
	v_cmp_le_i32_e32 vcc, s7, v4
	s_cselect_b64 s[0:1], -1, 0
	s_or_b64 s[0:1], s[0:1], vcc
	s_and_b64 s[0:1], exec, s[0:1]
	v_add_u32_e32 v4, s14, v4
	s_mov_b32 s15, s17
	s_or_b64 s[4:5], s[0:1], s[4:5]
	s_waitcnt vmcnt(0)
	v_fma_mix_f32 v1, v12, v13, v1 op_sel_hi:[1,1,0]
	s_andn2_b64 exec, exec, s[4:5]
	s_cbranch_execnz .LBB481_2
; %bb.3:
	s_or_b64 exec, exec, s[4:5]
.LBB481_4:
	s_or_b64 exec, exec, s[12:13]
	v_and_b32_e32 v3, 63, v0
	v_cmp_gt_u32_e32 vcc, 64, v0
	v_lshlrev_b32_e32 v2, 2, v3
	s_and_saveexec_b64 s[0:1], vcc
	s_cbranch_execz .LBB481_6
; %bb.5:
	v_mov_b32_e32 v4, 0
	ds_write_b32 v2, v4
.LBB481_6:
	s_or_b64 exec, exec, s[0:1]
	v_mbcnt_lo_u32_b32 v4, -1, 0
	v_mbcnt_hi_u32_b32 v6, -1, v4
	v_and_b32_e32 v7, 63, v6
	v_cmp_gt_u32_e64 s[0:1], 32, v7
	v_cndmask_b32_e64 v4, 0, 1, s[0:1]
	v_lshlrev_b32_e32 v4, 5, v4
	v_add_lshl_u32 v4, v4, v6, 2
	ds_bpermute_b32 v4, v4, v1
	v_cmp_gt_u32_e64 s[0:1], 48, v7
	v_cndmask_b32_e64 v5, 0, 1, s[0:1]
	v_lshlrev_b32_e32 v5, 4, v5
	v_cmp_gt_u32_e64 s[0:1], 56, v7
	s_waitcnt lgkmcnt(0)
	v_add_f32_e32 v1, v1, v4
	v_add_lshl_u32 v4, v5, v6, 2
	ds_bpermute_b32 v4, v4, v1
	v_cndmask_b32_e64 v5, 0, 1, s[0:1]
	v_lshlrev_b32_e32 v5, 3, v5
	v_cmp_gt_u32_e64 s[0:1], 60, v7
	s_waitcnt lgkmcnt(0)
	v_add_f32_e32 v1, v1, v4
	v_add_lshl_u32 v4, v5, v6, 2
	ds_bpermute_b32 v4, v4, v1
	v_cndmask_b32_e64 v5, 0, 1, s[0:1]
	v_lshlrev_b32_e32 v5, 2, v5
	v_cmp_gt_u32_e64 s[0:1], 62, v7
	v_cndmask_b32_e64 v8, 0, 1, s[0:1]
	s_waitcnt lgkmcnt(0)
	v_add_f32_e32 v1, v1, v4
	v_add_lshl_u32 v4, v5, v6, 2
	ds_bpermute_b32 v5, v4, v1
	v_lshlrev_b32_e32 v8, 1, v8
	v_cmp_ne_u32_e64 s[0:1], 63, v7
	s_barrier
	s_waitcnt lgkmcnt(0)
	v_add_f32_e32 v1, v1, v5
	v_add_lshl_u32 v5, v8, v6, 2
	ds_bpermute_b32 v8, v5, v1
	v_addc_co_u32_e64 v6, s[0:1], 0, v6, s[0:1]
	v_lshlrev_b32_e32 v6, 2, v6
	v_cmp_eq_u32_e64 s[0:1], 0, v3
	s_waitcnt lgkmcnt(0)
	v_add_f32_e32 v1, v1, v8
	ds_bpermute_b32 v7, v6, v1
	s_and_saveexec_b64 s[4:5], s[0:1]
	s_cbranch_execz .LBB481_8
; %bb.7:
	v_lshrrev_b32_e32 v3, 4, v0
	s_waitcnt lgkmcnt(0)
	v_add_f32_e32 v1, v1, v7
	v_and_b32_e32 v3, 28, v3
	ds_write_b32 v3, v1
.LBB481_8:
	s_or_b64 exec, exec, s[4:5]
	v_cmp_gt_u32_e64 s[0:1], 8, v0
	v_mov_b32_e32 v1, 0
	s_waitcnt lgkmcnt(0)
	s_barrier
	s_and_saveexec_b64 s[4:5], s[0:1]
	s_cbranch_execnz .LBB481_12
; %bb.9:
	s_or_b64 exec, exec, s[4:5]
	s_and_saveexec_b64 s[0:1], vcc
	s_cbranch_execnz .LBB481_13
.LBB481_10:
	s_or_b64 exec, exec, s[0:1]
	v_cmp_eq_u32_e32 vcc, 0, v0
	s_and_saveexec_b64 s[0:1], vcc
	s_cbranch_execnz .LBB481_14
.LBB481_11:
	s_endpgm
.LBB481_12:
	ds_read_b32 v1, v2
	s_or_b64 exec, exec, s[4:5]
	s_and_saveexec_b64 s[0:1], vcc
	s_cbranch_execz .LBB481_10
.LBB481_13:
	s_waitcnt lgkmcnt(0)
	ds_bpermute_b32 v2, v4, v1
	s_waitcnt lgkmcnt(0)
	v_add_f32_e32 v1, v1, v2
	ds_bpermute_b32 v2, v5, v1
	s_waitcnt lgkmcnt(0)
	v_add_f32_e32 v1, v1, v2
	;; [unrolled: 3-line block ×3, first 2 shown]
	s_or_b64 exec, exec, s[0:1]
	v_cmp_eq_u32_e32 vcc, 0, v0
	s_and_saveexec_b64 s[0:1], vcc
	s_cbranch_execz .LBB481_11
.LBB481_14:
	s_cmp_lg_u32 s18, 1
	s_mov_b64 s[0:1], -1
	s_cbranch_scc0 .LBB481_16
; %bb.15:
	s_mul_hi_u32 s1, s18, s2
	s_mul_i32 s0, s18, s2
	s_lshl_b64 s[0:1], s[0:1], 2
	s_mov_b32 s7, 0
	s_add_u32 s4, s8, s0
	s_addc_u32 s5, s9, s1
	s_lshl_b64 s[0:1], s[6:7], 2
	s_add_u32 s0, s4, s0
	s_addc_u32 s1, s5, s1
	v_mov_b32_e32 v0, 0
	s_waitcnt lgkmcnt(0)
	global_store_dword v0, v1, s[0:1]
	s_mov_b64 s[0:1], 0
.LBB481_16:
	s_andn2_b64 vcc, exec, s[0:1]
	s_cbranch_vccnz .LBB481_11
; %bb.17:
	s_waitcnt lgkmcnt(0)
	v_cvt_f16_f32_e32 v0, v1
	s_lshl_b64 s[0:1], s[2:3], 1
	s_add_u32 s0, s10, s0
	s_addc_u32 s1, s11, s1
	v_mov_b32_e32 v1, 0
	global_store_short v1, v0, s[0:1]
	s_endpgm
	.section	.rodata,"a",@progbits
	.p2align	6, 0x0
	.amdhsa_kernel _ZL23rocblas_dot_kernel_inc1ILb0ELi512ELi8ELb1EDF16_PKPKDF16_fEviT4_llS4_lliPT5_PT3_
		.amdhsa_group_segment_fixed_size 256
		.amdhsa_private_segment_fixed_size 0
		.amdhsa_kernarg_size 336
		.amdhsa_user_sgpr_count 6
		.amdhsa_user_sgpr_private_segment_buffer 1
		.amdhsa_user_sgpr_dispatch_ptr 0
		.amdhsa_user_sgpr_queue_ptr 0
		.amdhsa_user_sgpr_kernarg_segment_ptr 1
		.amdhsa_user_sgpr_dispatch_id 0
		.amdhsa_user_sgpr_flat_scratch_init 0
		.amdhsa_user_sgpr_kernarg_preload_length 0
		.amdhsa_user_sgpr_kernarg_preload_offset 0
		.amdhsa_user_sgpr_private_segment_size 0
		.amdhsa_uses_dynamic_stack 0
		.amdhsa_system_sgpr_private_segment_wavefront_offset 0
		.amdhsa_system_sgpr_workgroup_id_x 1
		.amdhsa_system_sgpr_workgroup_id_y 0
		.amdhsa_system_sgpr_workgroup_id_z 1
		.amdhsa_system_sgpr_workgroup_info 0
		.amdhsa_system_vgpr_workitem_id 0
		.amdhsa_next_free_vgpr 14
		.amdhsa_next_free_sgpr 28
		.amdhsa_accum_offset 16
		.amdhsa_reserve_vcc 1
		.amdhsa_reserve_flat_scratch 0
		.amdhsa_float_round_mode_32 0
		.amdhsa_float_round_mode_16_64 0
		.amdhsa_float_denorm_mode_32 3
		.amdhsa_float_denorm_mode_16_64 3
		.amdhsa_dx10_clamp 1
		.amdhsa_ieee_mode 1
		.amdhsa_fp16_overflow 0
		.amdhsa_tg_split 0
		.amdhsa_exception_fp_ieee_invalid_op 0
		.amdhsa_exception_fp_denorm_src 0
		.amdhsa_exception_fp_ieee_div_zero 0
		.amdhsa_exception_fp_ieee_overflow 0
		.amdhsa_exception_fp_ieee_underflow 0
		.amdhsa_exception_fp_ieee_inexact 0
		.amdhsa_exception_int_div_zero 0
	.end_amdhsa_kernel
	.section	.text._ZL23rocblas_dot_kernel_inc1ILb0ELi512ELi8ELb1EDF16_PKPKDF16_fEviT4_llS4_lliPT5_PT3_,"axG",@progbits,_ZL23rocblas_dot_kernel_inc1ILb0ELi512ELi8ELb1EDF16_PKPKDF16_fEviT4_llS4_lliPT5_PT3_,comdat
.Lfunc_end481:
	.size	_ZL23rocblas_dot_kernel_inc1ILb0ELi512ELi8ELb1EDF16_PKPKDF16_fEviT4_llS4_lliPT5_PT3_, .Lfunc_end481-_ZL23rocblas_dot_kernel_inc1ILb0ELi512ELi8ELb1EDF16_PKPKDF16_fEviT4_llS4_lliPT5_PT3_
                                        ; -- End function
	.section	.AMDGPU.csdata,"",@progbits
; Kernel info:
; codeLenInByte = 924
; NumSgprs: 32
; NumVgprs: 14
; NumAgprs: 0
; TotalNumVgprs: 14
; ScratchSize: 0
; MemoryBound: 0
; FloatMode: 240
; IeeeMode: 1
; LDSByteSize: 256 bytes/workgroup (compile time only)
; SGPRBlocks: 3
; VGPRBlocks: 1
; NumSGPRsForWavesPerEU: 32
; NumVGPRsForWavesPerEU: 14
; AccumOffset: 16
; Occupancy: 8
; WaveLimiterHint : 1
; COMPUTE_PGM_RSRC2:SCRATCH_EN: 0
; COMPUTE_PGM_RSRC2:USER_SGPR: 6
; COMPUTE_PGM_RSRC2:TRAP_HANDLER: 0
; COMPUTE_PGM_RSRC2:TGID_X_EN: 1
; COMPUTE_PGM_RSRC2:TGID_Y_EN: 0
; COMPUTE_PGM_RSRC2:TGID_Z_EN: 1
; COMPUTE_PGM_RSRC2:TIDIG_COMP_CNT: 0
; COMPUTE_PGM_RSRC3_GFX90A:ACCUM_OFFSET: 3
; COMPUTE_PGM_RSRC3_GFX90A:TG_SPLIT: 0
	.section	.text._ZL18rocblas_dot_kernelIiLb0ELi512ELi8ELb1EDF16_PKPKDF16_fEviT5_lT_lS4_lS5_liPT6_PT4_,"axG",@progbits,_ZL18rocblas_dot_kernelIiLb0ELi512ELi8ELb1EDF16_PKPKDF16_fEviT5_lT_lS4_lS5_liPT6_PT4_,comdat
	.globl	_ZL18rocblas_dot_kernelIiLb0ELi512ELi8ELb1EDF16_PKPKDF16_fEviT5_lT_lS4_lS5_liPT6_PT4_ ; -- Begin function _ZL18rocblas_dot_kernelIiLb0ELi512ELi8ELb1EDF16_PKPKDF16_fEviT5_lT_lS4_lS5_liPT6_PT4_
	.p2align	8
	.type	_ZL18rocblas_dot_kernelIiLb0ELi512ELi8ELb1EDF16_PKPKDF16_fEviT5_lT_lS4_lS5_liPT6_PT4_,@function
_ZL18rocblas_dot_kernelIiLb0ELi512ELi8ELb1EDF16_PKPKDF16_fEviT5_lT_lS4_lS5_liPT6_PT4_: ; @_ZL18rocblas_dot_kernelIiLb0ELi512ELi8ELb1EDF16_PKPKDF16_fEviT5_lT_lS4_lS5_liPT6_PT4_
; %bb.0:
	s_mov_b32 s2, s7
	s_load_dword s18, s[4:5], 0x60
	s_load_dword s7, s[4:5], 0x0
	s_load_dwordx4 s[8:11], s[4:5], 0x50
	v_lshl_or_b32 v4, s6, 9, v0
	s_mov_b32 s3, 0
	v_mov_b32_e32 v1, 0
	s_waitcnt lgkmcnt(0)
	v_cmp_gt_i32_e32 vcc, s7, v4
	s_and_saveexec_b64 s[12:13], vcc
	s_cbranch_execz .LBB482_4
; %bb.1:
	s_load_dwordx4 s[20:23], s[4:5], 0x8
	s_load_dword s16, s[4:5], 0x18
	s_load_dwordx4 s[24:27], s[4:5], 0x28
	s_load_dword s17, s[4:5], 0x38
	s_lshl_b64 s[0:1], s[2:3], 3
	s_waitcnt lgkmcnt(0)
	s_add_u32 s4, s20, s0
	s_addc_u32 s5, s21, s1
	s_load_dwordx2 s[4:5], s[4:5], 0x0
	s_add_u32 s0, s24, s0
	s_addc_u32 s1, s25, s1
	v_mad_i64_i32 v[2:3], s[14:15], s16, v4, 0
	s_load_dwordx2 s[0:1], s[0:1], 0x0
	s_lshl_b32 s19, s18, 9
	s_lshl_b64 s[14:15], s[22:23], 1
	s_waitcnt lgkmcnt(0)
	s_add_u32 s4, s4, s14
	v_lshlrev_b64 v[2:3], 1, v[2:3]
	s_addc_u32 s5, s5, s15
	v_add_u32_e32 v6, s19, v4
	v_mov_b32_e32 v1, s5
	v_add_co_u32_e32 v2, vcc, s4, v2
	s_mul_hi_i32 s5, s16, s19
	s_mul_i32 s4, s16, s19
	v_mad_i64_i32 v[4:5], s[14:15], s17, v4, 0
	s_lshl_b64 s[4:5], s[4:5], 1
	s_lshl_b64 s[14:15], s[26:27], 1
	s_add_u32 s0, s0, s14
	v_addc_co_u32_e32 v3, vcc, v1, v3, vcc
	v_lshlrev_b64 v[4:5], 1, v[4:5]
	s_addc_u32 s1, s1, s15
	v_mov_b32_e32 v1, s1
	v_add_co_u32_e32 v4, vcc, s0, v4
	s_mul_hi_i32 s1, s17, s19
	s_mul_i32 s0, s17, s19
	s_lshl_b64 s[16:17], s[0:1], 1
	v_addc_co_u32_e32 v5, vcc, v1, v5, vcc
	s_mov_b64 s[14:15], 0
	v_mov_b32_e32 v1, 0
	v_mov_b32_e32 v7, s5
	;; [unrolled: 1-line block ×3, first 2 shown]
	s_mov_b32 s5, s3
.LBB482_2:                              ; =>This Inner Loop Header: Depth=1
	global_load_ushort v9, v[4:5], off
	global_load_ushort v10, v[2:3], off
	v_add_co_u32_e64 v2, s[0:1], s4, v2
	v_addc_co_u32_e64 v3, s[0:1], v3, v7, s[0:1]
	s_add_i32 s17, s5, 1
	v_add_co_u32_e64 v4, s[0:1], s16, v4
	v_addc_co_u32_e64 v5, s[0:1], v5, v8, s[0:1]
	s_cmp_gt_u32 s5, 6
	v_cmp_le_i32_e32 vcc, s7, v6
	s_cselect_b64 s[0:1], -1, 0
	s_or_b64 s[0:1], s[0:1], vcc
	s_and_b64 s[0:1], exec, s[0:1]
	v_add_u32_e32 v6, s19, v6
	s_mov_b32 s5, s17
	s_or_b64 s[14:15], s[0:1], s[14:15]
	s_waitcnt vmcnt(0)
	v_fma_mix_f32 v1, v9, v10, v1 op_sel_hi:[1,1,0]
	s_andn2_b64 exec, exec, s[14:15]
	s_cbranch_execnz .LBB482_2
; %bb.3:
	s_or_b64 exec, exec, s[14:15]
.LBB482_4:
	s_or_b64 exec, exec, s[12:13]
	v_and_b32_e32 v3, 63, v0
	v_cmp_gt_u32_e32 vcc, 64, v0
	v_lshlrev_b32_e32 v2, 2, v3
	s_and_saveexec_b64 s[0:1], vcc
	s_cbranch_execz .LBB482_6
; %bb.5:
	v_mov_b32_e32 v4, 0
	ds_write_b32 v2, v4
.LBB482_6:
	s_or_b64 exec, exec, s[0:1]
	v_mbcnt_lo_u32_b32 v4, -1, 0
	v_mbcnt_hi_u32_b32 v6, -1, v4
	v_and_b32_e32 v7, 63, v6
	v_cmp_gt_u32_e64 s[0:1], 32, v7
	v_cndmask_b32_e64 v4, 0, 1, s[0:1]
	v_lshlrev_b32_e32 v4, 5, v4
	v_add_lshl_u32 v4, v4, v6, 2
	ds_bpermute_b32 v4, v4, v1
	v_cmp_gt_u32_e64 s[0:1], 48, v7
	v_cndmask_b32_e64 v5, 0, 1, s[0:1]
	v_lshlrev_b32_e32 v5, 4, v5
	v_cmp_gt_u32_e64 s[0:1], 56, v7
	s_waitcnt lgkmcnt(0)
	v_add_f32_e32 v1, v1, v4
	v_add_lshl_u32 v4, v5, v6, 2
	ds_bpermute_b32 v4, v4, v1
	v_cndmask_b32_e64 v5, 0, 1, s[0:1]
	v_lshlrev_b32_e32 v5, 3, v5
	v_cmp_gt_u32_e64 s[0:1], 60, v7
	s_waitcnt lgkmcnt(0)
	v_add_f32_e32 v1, v1, v4
	v_add_lshl_u32 v4, v5, v6, 2
	ds_bpermute_b32 v4, v4, v1
	v_cndmask_b32_e64 v5, 0, 1, s[0:1]
	v_lshlrev_b32_e32 v5, 2, v5
	v_cmp_gt_u32_e64 s[0:1], 62, v7
	v_cndmask_b32_e64 v8, 0, 1, s[0:1]
	s_waitcnt lgkmcnt(0)
	v_add_f32_e32 v1, v1, v4
	v_add_lshl_u32 v4, v5, v6, 2
	ds_bpermute_b32 v5, v4, v1
	v_lshlrev_b32_e32 v8, 1, v8
	v_cmp_ne_u32_e64 s[0:1], 63, v7
	s_barrier
	s_waitcnt lgkmcnt(0)
	v_add_f32_e32 v1, v1, v5
	v_add_lshl_u32 v5, v8, v6, 2
	ds_bpermute_b32 v8, v5, v1
	v_addc_co_u32_e64 v6, s[0:1], 0, v6, s[0:1]
	v_lshlrev_b32_e32 v6, 2, v6
	v_cmp_eq_u32_e64 s[0:1], 0, v3
	s_waitcnt lgkmcnt(0)
	v_add_f32_e32 v1, v1, v8
	ds_bpermute_b32 v7, v6, v1
	s_and_saveexec_b64 s[4:5], s[0:1]
	s_cbranch_execz .LBB482_8
; %bb.7:
	v_lshrrev_b32_e32 v3, 4, v0
	s_waitcnt lgkmcnt(0)
	v_add_f32_e32 v1, v1, v7
	v_and_b32_e32 v3, 28, v3
	ds_write_b32 v3, v1
.LBB482_8:
	s_or_b64 exec, exec, s[4:5]
	v_cmp_gt_u32_e64 s[0:1], 8, v0
	v_mov_b32_e32 v1, 0
	s_waitcnt lgkmcnt(0)
	s_barrier
	s_and_saveexec_b64 s[4:5], s[0:1]
	s_cbranch_execnz .LBB482_12
; %bb.9:
	s_or_b64 exec, exec, s[4:5]
	s_and_saveexec_b64 s[0:1], vcc
	s_cbranch_execnz .LBB482_13
.LBB482_10:
	s_or_b64 exec, exec, s[0:1]
	v_cmp_eq_u32_e32 vcc, 0, v0
	s_and_saveexec_b64 s[0:1], vcc
	s_cbranch_execnz .LBB482_14
.LBB482_11:
	s_endpgm
.LBB482_12:
	ds_read_b32 v1, v2
	s_or_b64 exec, exec, s[4:5]
	s_and_saveexec_b64 s[0:1], vcc
	s_cbranch_execz .LBB482_10
.LBB482_13:
	s_waitcnt lgkmcnt(0)
	ds_bpermute_b32 v2, v4, v1
	s_waitcnt lgkmcnt(0)
	v_add_f32_e32 v1, v1, v2
	ds_bpermute_b32 v2, v5, v1
	s_waitcnt lgkmcnt(0)
	v_add_f32_e32 v1, v1, v2
	;; [unrolled: 3-line block ×3, first 2 shown]
	s_or_b64 exec, exec, s[0:1]
	v_cmp_eq_u32_e32 vcc, 0, v0
	s_and_saveexec_b64 s[0:1], vcc
	s_cbranch_execz .LBB482_11
.LBB482_14:
	s_cmp_lg_u32 s18, 1
	s_mov_b64 s[0:1], -1
	s_cbranch_scc0 .LBB482_16
; %bb.15:
	s_mul_hi_u32 s1, s18, s2
	s_mul_i32 s0, s18, s2
	s_lshl_b64 s[0:1], s[0:1], 2
	s_mov_b32 s7, 0
	s_add_u32 s4, s8, s0
	s_addc_u32 s5, s9, s1
	s_lshl_b64 s[0:1], s[6:7], 2
	s_add_u32 s0, s4, s0
	s_addc_u32 s1, s5, s1
	v_mov_b32_e32 v0, 0
	s_waitcnt lgkmcnt(0)
	global_store_dword v0, v1, s[0:1]
	s_mov_b64 s[0:1], 0
.LBB482_16:
	s_andn2_b64 vcc, exec, s[0:1]
	s_cbranch_vccnz .LBB482_11
; %bb.17:
	s_waitcnt lgkmcnt(0)
	v_cvt_f16_f32_e32 v0, v1
	s_lshl_b64 s[0:1], s[2:3], 1
	s_add_u32 s0, s10, s0
	s_addc_u32 s1, s11, s1
	v_mov_b32_e32 v1, 0
	global_store_short v1, v0, s[0:1]
	s_endpgm
	.section	.rodata,"a",@progbits
	.p2align	6, 0x0
	.amdhsa_kernel _ZL18rocblas_dot_kernelIiLb0ELi512ELi8ELb1EDF16_PKPKDF16_fEviT5_lT_lS4_lS5_liPT6_PT4_
		.amdhsa_group_segment_fixed_size 256
		.amdhsa_private_segment_fixed_size 0
		.amdhsa_kernarg_size 352
		.amdhsa_user_sgpr_count 6
		.amdhsa_user_sgpr_private_segment_buffer 1
		.amdhsa_user_sgpr_dispatch_ptr 0
		.amdhsa_user_sgpr_queue_ptr 0
		.amdhsa_user_sgpr_kernarg_segment_ptr 1
		.amdhsa_user_sgpr_dispatch_id 0
		.amdhsa_user_sgpr_flat_scratch_init 0
		.amdhsa_user_sgpr_kernarg_preload_length 0
		.amdhsa_user_sgpr_kernarg_preload_offset 0
		.amdhsa_user_sgpr_private_segment_size 0
		.amdhsa_uses_dynamic_stack 0
		.amdhsa_system_sgpr_private_segment_wavefront_offset 0
		.amdhsa_system_sgpr_workgroup_id_x 1
		.amdhsa_system_sgpr_workgroup_id_y 0
		.amdhsa_system_sgpr_workgroup_id_z 1
		.amdhsa_system_sgpr_workgroup_info 0
		.amdhsa_system_vgpr_workitem_id 0
		.amdhsa_next_free_vgpr 11
		.amdhsa_next_free_sgpr 28
		.amdhsa_accum_offset 12
		.amdhsa_reserve_vcc 1
		.amdhsa_reserve_flat_scratch 0
		.amdhsa_float_round_mode_32 0
		.amdhsa_float_round_mode_16_64 0
		.amdhsa_float_denorm_mode_32 3
		.amdhsa_float_denorm_mode_16_64 3
		.amdhsa_dx10_clamp 1
		.amdhsa_ieee_mode 1
		.amdhsa_fp16_overflow 0
		.amdhsa_tg_split 0
		.amdhsa_exception_fp_ieee_invalid_op 0
		.amdhsa_exception_fp_denorm_src 0
		.amdhsa_exception_fp_ieee_div_zero 0
		.amdhsa_exception_fp_ieee_overflow 0
		.amdhsa_exception_fp_ieee_underflow 0
		.amdhsa_exception_fp_ieee_inexact 0
		.amdhsa_exception_int_div_zero 0
	.end_amdhsa_kernel
	.section	.text._ZL18rocblas_dot_kernelIiLb0ELi512ELi8ELb1EDF16_PKPKDF16_fEviT5_lT_lS4_lS5_liPT6_PT4_,"axG",@progbits,_ZL18rocblas_dot_kernelIiLb0ELi512ELi8ELb1EDF16_PKPKDF16_fEviT5_lT_lS4_lS5_liPT6_PT4_,comdat
.Lfunc_end482:
	.size	_ZL18rocblas_dot_kernelIiLb0ELi512ELi8ELb1EDF16_PKPKDF16_fEviT5_lT_lS4_lS5_liPT6_PT4_, .Lfunc_end482-_ZL18rocblas_dot_kernelIiLb0ELi512ELi8ELb1EDF16_PKPKDF16_fEviT5_lT_lS4_lS5_liPT6_PT4_
                                        ; -- End function
	.section	.AMDGPU.csdata,"",@progbits
; Kernel info:
; codeLenInByte = 992
; NumSgprs: 32
; NumVgprs: 11
; NumAgprs: 0
; TotalNumVgprs: 11
; ScratchSize: 0
; MemoryBound: 0
; FloatMode: 240
; IeeeMode: 1
; LDSByteSize: 256 bytes/workgroup (compile time only)
; SGPRBlocks: 3
; VGPRBlocks: 1
; NumSGPRsForWavesPerEU: 32
; NumVGPRsForWavesPerEU: 11
; AccumOffset: 12
; Occupancy: 8
; WaveLimiterHint : 0
; COMPUTE_PGM_RSRC2:SCRATCH_EN: 0
; COMPUTE_PGM_RSRC2:USER_SGPR: 6
; COMPUTE_PGM_RSRC2:TRAP_HANDLER: 0
; COMPUTE_PGM_RSRC2:TGID_X_EN: 1
; COMPUTE_PGM_RSRC2:TGID_Y_EN: 0
; COMPUTE_PGM_RSRC2:TGID_Z_EN: 1
; COMPUTE_PGM_RSRC2:TIDIG_COMP_CNT: 0
; COMPUTE_PGM_RSRC3_GFX90A:ACCUM_OFFSET: 2
; COMPUTE_PGM_RSRC3_GFX90A:TG_SPLIT: 0
	.section	.text._ZL24rocblas_dot_kernel_magsqIiLb0ELi512ELi8ELb1EDF16_PKPKDF16_fEviT5_lT_liPT6_PT4_,"axG",@progbits,_ZL24rocblas_dot_kernel_magsqIiLb0ELi512ELi8ELb1EDF16_PKPKDF16_fEviT5_lT_liPT6_PT4_,comdat
	.globl	_ZL24rocblas_dot_kernel_magsqIiLb0ELi512ELi8ELb1EDF16_PKPKDF16_fEviT5_lT_liPT6_PT4_ ; -- Begin function _ZL24rocblas_dot_kernel_magsqIiLb0ELi512ELi8ELb1EDF16_PKPKDF16_fEviT5_lT_liPT6_PT4_
	.p2align	8
	.type	_ZL24rocblas_dot_kernel_magsqIiLb0ELi512ELi8ELb1EDF16_PKPKDF16_fEviT5_lT_liPT6_PT4_,@function
_ZL24rocblas_dot_kernel_magsqIiLb0ELi512ELi8ELb1EDF16_PKPKDF16_fEviT5_lT_liPT6_PT4_: ; @_ZL24rocblas_dot_kernel_magsqIiLb0ELi512ELi8ELb1EDF16_PKPKDF16_fEviT5_lT_liPT6_PT4_
; %bb.0:
	s_mov_b32 s2, s7
	s_load_dword s7, s[4:5], 0x0
	s_load_dwordx4 s[8:11], s[4:5], 0x30
	s_load_dword s16, s[4:5], 0x40
	v_lshl_or_b32 v2, s6, 9, v0
	s_mov_b32 s3, 0
	s_waitcnt lgkmcnt(0)
	v_cmp_gt_i32_e32 vcc, s7, v2
	v_mov_b32_e32 v1, 0
	s_and_saveexec_b64 s[12:13], vcc
	s_cbranch_execz .LBB483_4
; %bb.1:
	s_load_dwordx4 s[20:23], s[4:5], 0x8
	s_load_dword s14, s[4:5], 0x18
	s_lshl_b64 s[0:1], s[2:3], 3
	s_waitcnt lgkmcnt(0)
	s_add_u32 s0, s20, s0
	s_addc_u32 s1, s21, s1
	s_load_dwordx2 s[0:1], s[0:1], 0x0
	v_mad_i64_i32 v[4:5], s[4:5], s14, v2, 0
	s_lshl_b32 s17, s16, 9
	s_lshl_b64 s[4:5], s[22:23], 1
	s_waitcnt lgkmcnt(0)
	s_add_u32 s0, s0, s4
	v_lshlrev_b64 v[6:7], 1, v[4:5]
	s_addc_u32 s1, s1, s5
	v_add_u32_e32 v4, s17, v2
	v_mov_b32_e32 v1, s1
	v_add_co_u32_e32 v2, vcc, s0, v6
	s_mul_hi_i32 s1, s14, s17
	s_mul_i32 s0, s14, s17
	s_lshl_b64 s[14:15], s[0:1], 1
	v_addc_co_u32_e32 v3, vcc, v1, v7, vcc
	s_mov_b64 s[4:5], 0
	v_mov_b32_e32 v1, 0
	v_mov_b32_e32 v5, s15
	s_mov_b32 s15, s3
.LBB483_2:                              ; =>This Inner Loop Header: Depth=1
	global_load_ushort v6, v[2:3], off
	s_add_i32 s18, s15, 1
	v_add_co_u32_e64 v2, s[0:1], s14, v2
	v_addc_co_u32_e64 v3, s[0:1], v3, v5, s[0:1]
	s_cmp_gt_u32 s15, 6
	v_cmp_le_i32_e32 vcc, s7, v4
	s_cselect_b64 s[0:1], -1, 0
	s_or_b64 s[0:1], s[0:1], vcc
	s_and_b64 s[0:1], exec, s[0:1]
	v_add_u32_e32 v4, s17, v4
	s_mov_b32 s15, s18
	s_or_b64 s[4:5], s[0:1], s[4:5]
	s_waitcnt vmcnt(0)
	v_fma_mix_f32 v1, v6, v6, v1 op_sel_hi:[1,1,0]
	s_andn2_b64 exec, exec, s[4:5]
	s_cbranch_execnz .LBB483_2
; %bb.3:
	s_or_b64 exec, exec, s[4:5]
.LBB483_4:
	s_or_b64 exec, exec, s[12:13]
	v_and_b32_e32 v3, 63, v0
	v_cmp_gt_u32_e32 vcc, 64, v0
	v_lshlrev_b32_e32 v2, 2, v3
	s_and_saveexec_b64 s[0:1], vcc
	s_cbranch_execz .LBB483_6
; %bb.5:
	v_mov_b32_e32 v4, 0
	ds_write_b32 v2, v4
.LBB483_6:
	s_or_b64 exec, exec, s[0:1]
	v_mbcnt_lo_u32_b32 v4, -1, 0
	v_mbcnt_hi_u32_b32 v6, -1, v4
	v_and_b32_e32 v7, 63, v6
	v_cmp_gt_u32_e64 s[0:1], 32, v7
	v_cndmask_b32_e64 v4, 0, 1, s[0:1]
	v_lshlrev_b32_e32 v4, 5, v4
	v_add_lshl_u32 v4, v4, v6, 2
	ds_bpermute_b32 v4, v4, v1
	v_cmp_gt_u32_e64 s[0:1], 48, v7
	v_cndmask_b32_e64 v5, 0, 1, s[0:1]
	v_lshlrev_b32_e32 v5, 4, v5
	v_cmp_gt_u32_e64 s[0:1], 56, v7
	s_waitcnt lgkmcnt(0)
	v_add_f32_e32 v1, v1, v4
	v_add_lshl_u32 v4, v5, v6, 2
	ds_bpermute_b32 v4, v4, v1
	v_cndmask_b32_e64 v5, 0, 1, s[0:1]
	v_lshlrev_b32_e32 v5, 3, v5
	v_cmp_gt_u32_e64 s[0:1], 60, v7
	s_waitcnt lgkmcnt(0)
	v_add_f32_e32 v1, v1, v4
	v_add_lshl_u32 v4, v5, v6, 2
	ds_bpermute_b32 v4, v4, v1
	v_cndmask_b32_e64 v5, 0, 1, s[0:1]
	v_lshlrev_b32_e32 v5, 2, v5
	v_cmp_gt_u32_e64 s[0:1], 62, v7
	v_cndmask_b32_e64 v8, 0, 1, s[0:1]
	s_waitcnt lgkmcnt(0)
	v_add_f32_e32 v1, v1, v4
	v_add_lshl_u32 v4, v5, v6, 2
	ds_bpermute_b32 v5, v4, v1
	v_lshlrev_b32_e32 v8, 1, v8
	v_cmp_ne_u32_e64 s[0:1], 63, v7
	s_barrier
	s_waitcnt lgkmcnt(0)
	v_add_f32_e32 v1, v1, v5
	v_add_lshl_u32 v5, v8, v6, 2
	ds_bpermute_b32 v8, v5, v1
	v_addc_co_u32_e64 v6, s[0:1], 0, v6, s[0:1]
	v_lshlrev_b32_e32 v6, 2, v6
	v_cmp_eq_u32_e64 s[0:1], 0, v3
	s_waitcnt lgkmcnt(0)
	v_add_f32_e32 v1, v1, v8
	ds_bpermute_b32 v7, v6, v1
	s_and_saveexec_b64 s[4:5], s[0:1]
	s_cbranch_execz .LBB483_8
; %bb.7:
	v_lshrrev_b32_e32 v3, 4, v0
	s_waitcnt lgkmcnt(0)
	v_add_f32_e32 v1, v1, v7
	v_and_b32_e32 v3, 28, v3
	ds_write_b32 v3, v1
.LBB483_8:
	s_or_b64 exec, exec, s[4:5]
	v_cmp_gt_u32_e64 s[0:1], 8, v0
	v_mov_b32_e32 v1, 0
	s_waitcnt lgkmcnt(0)
	s_barrier
	s_and_saveexec_b64 s[4:5], s[0:1]
	s_cbranch_execnz .LBB483_12
; %bb.9:
	s_or_b64 exec, exec, s[4:5]
	s_and_saveexec_b64 s[0:1], vcc
	s_cbranch_execnz .LBB483_13
.LBB483_10:
	s_or_b64 exec, exec, s[0:1]
	v_cmp_eq_u32_e32 vcc, 0, v0
	s_and_saveexec_b64 s[0:1], vcc
	s_cbranch_execnz .LBB483_14
.LBB483_11:
	s_endpgm
.LBB483_12:
	ds_read_b32 v1, v2
	s_or_b64 exec, exec, s[4:5]
	s_and_saveexec_b64 s[0:1], vcc
	s_cbranch_execz .LBB483_10
.LBB483_13:
	s_waitcnt lgkmcnt(0)
	ds_bpermute_b32 v2, v4, v1
	s_waitcnt lgkmcnt(0)
	v_add_f32_e32 v1, v1, v2
	ds_bpermute_b32 v2, v5, v1
	s_waitcnt lgkmcnt(0)
	v_add_f32_e32 v1, v1, v2
	;; [unrolled: 3-line block ×3, first 2 shown]
	s_or_b64 exec, exec, s[0:1]
	v_cmp_eq_u32_e32 vcc, 0, v0
	s_and_saveexec_b64 s[0:1], vcc
	s_cbranch_execz .LBB483_11
.LBB483_14:
	s_cmp_lg_u32 s16, 1
	s_mov_b64 s[0:1], -1
	s_cbranch_scc0 .LBB483_16
; %bb.15:
	s_mul_hi_u32 s1, s16, s2
	s_mul_i32 s0, s16, s2
	s_lshl_b64 s[0:1], s[0:1], 2
	s_mov_b32 s7, 0
	s_add_u32 s4, s8, s0
	s_addc_u32 s5, s9, s1
	s_lshl_b64 s[0:1], s[6:7], 2
	s_add_u32 s0, s4, s0
	s_addc_u32 s1, s5, s1
	v_mov_b32_e32 v0, 0
	s_waitcnt lgkmcnt(0)
	global_store_dword v0, v1, s[0:1]
	s_mov_b64 s[0:1], 0
.LBB483_16:
	s_andn2_b64 vcc, exec, s[0:1]
	s_cbranch_vccnz .LBB483_11
; %bb.17:
	s_waitcnt lgkmcnt(0)
	v_cvt_f16_f32_e32 v0, v1
	s_lshl_b64 s[0:1], s[2:3], 1
	s_add_u32 s0, s10, s0
	s_addc_u32 s1, s11, s1
	v_mov_b32_e32 v1, 0
	global_store_short v1, v0, s[0:1]
	s_endpgm
	.section	.rodata,"a",@progbits
	.p2align	6, 0x0
	.amdhsa_kernel _ZL24rocblas_dot_kernel_magsqIiLb0ELi512ELi8ELb1EDF16_PKPKDF16_fEviT5_lT_liPT6_PT4_
		.amdhsa_group_segment_fixed_size 256
		.amdhsa_private_segment_fixed_size 0
		.amdhsa_kernarg_size 320
		.amdhsa_user_sgpr_count 6
		.amdhsa_user_sgpr_private_segment_buffer 1
		.amdhsa_user_sgpr_dispatch_ptr 0
		.amdhsa_user_sgpr_queue_ptr 0
		.amdhsa_user_sgpr_kernarg_segment_ptr 1
		.amdhsa_user_sgpr_dispatch_id 0
		.amdhsa_user_sgpr_flat_scratch_init 0
		.amdhsa_user_sgpr_kernarg_preload_length 0
		.amdhsa_user_sgpr_kernarg_preload_offset 0
		.amdhsa_user_sgpr_private_segment_size 0
		.amdhsa_uses_dynamic_stack 0
		.amdhsa_system_sgpr_private_segment_wavefront_offset 0
		.amdhsa_system_sgpr_workgroup_id_x 1
		.amdhsa_system_sgpr_workgroup_id_y 0
		.amdhsa_system_sgpr_workgroup_id_z 1
		.amdhsa_system_sgpr_workgroup_info 0
		.amdhsa_system_vgpr_workitem_id 0
		.amdhsa_next_free_vgpr 9
		.amdhsa_next_free_sgpr 24
		.amdhsa_accum_offset 12
		.amdhsa_reserve_vcc 1
		.amdhsa_reserve_flat_scratch 0
		.amdhsa_float_round_mode_32 0
		.amdhsa_float_round_mode_16_64 0
		.amdhsa_float_denorm_mode_32 3
		.amdhsa_float_denorm_mode_16_64 3
		.amdhsa_dx10_clamp 1
		.amdhsa_ieee_mode 1
		.amdhsa_fp16_overflow 0
		.amdhsa_tg_split 0
		.amdhsa_exception_fp_ieee_invalid_op 0
		.amdhsa_exception_fp_denorm_src 0
		.amdhsa_exception_fp_ieee_div_zero 0
		.amdhsa_exception_fp_ieee_overflow 0
		.amdhsa_exception_fp_ieee_underflow 0
		.amdhsa_exception_fp_ieee_inexact 0
		.amdhsa_exception_int_div_zero 0
	.end_amdhsa_kernel
	.section	.text._ZL24rocblas_dot_kernel_magsqIiLb0ELi512ELi8ELb1EDF16_PKPKDF16_fEviT5_lT_liPT6_PT4_,"axG",@progbits,_ZL24rocblas_dot_kernel_magsqIiLb0ELi512ELi8ELb1EDF16_PKPKDF16_fEviT5_lT_liPT6_PT4_,comdat
.Lfunc_end483:
	.size	_ZL24rocblas_dot_kernel_magsqIiLb0ELi512ELi8ELb1EDF16_PKPKDF16_fEviT5_lT_liPT6_PT4_, .Lfunc_end483-_ZL24rocblas_dot_kernel_magsqIiLb0ELi512ELi8ELb1EDF16_PKPKDF16_fEviT5_lT_liPT6_PT4_
                                        ; -- End function
	.section	.AMDGPU.csdata,"",@progbits
; Kernel info:
; codeLenInByte = 880
; NumSgprs: 28
; NumVgprs: 9
; NumAgprs: 0
; TotalNumVgprs: 9
; ScratchSize: 0
; MemoryBound: 0
; FloatMode: 240
; IeeeMode: 1
; LDSByteSize: 256 bytes/workgroup (compile time only)
; SGPRBlocks: 3
; VGPRBlocks: 1
; NumSGPRsForWavesPerEU: 28
; NumVGPRsForWavesPerEU: 9
; AccumOffset: 12
; Occupancy: 8
; WaveLimiterHint : 0
; COMPUTE_PGM_RSRC2:SCRATCH_EN: 0
; COMPUTE_PGM_RSRC2:USER_SGPR: 6
; COMPUTE_PGM_RSRC2:TRAP_HANDLER: 0
; COMPUTE_PGM_RSRC2:TGID_X_EN: 1
; COMPUTE_PGM_RSRC2:TGID_Y_EN: 0
; COMPUTE_PGM_RSRC2:TGID_Z_EN: 1
; COMPUTE_PGM_RSRC2:TIDIG_COMP_CNT: 0
; COMPUTE_PGM_RSRC3_GFX90A:ACCUM_OFFSET: 2
; COMPUTE_PGM_RSRC3_GFX90A:TG_SPLIT: 0
	.section	.text._ZL28rocblas_dot_batched_4_kernelIiLi32ELi4ELb1EffPKPKDF16_EviT5_lT_lS4_lS5_liPT4_,"axG",@progbits,_ZL28rocblas_dot_batched_4_kernelIiLi32ELi4ELb1EffPKPKDF16_EviT5_lT_lS4_lS5_liPT4_,comdat
	.globl	_ZL28rocblas_dot_batched_4_kernelIiLi32ELi4ELb1EffPKPKDF16_EviT5_lT_lS4_lS5_liPT4_ ; -- Begin function _ZL28rocblas_dot_batched_4_kernelIiLi32ELi4ELb1EffPKPKDF16_EviT5_lT_lS4_lS5_liPT4_
	.p2align	8
	.type	_ZL28rocblas_dot_batched_4_kernelIiLi32ELi4ELb1EffPKPKDF16_EviT5_lT_lS4_lS5_liPT4_,@function
_ZL28rocblas_dot_batched_4_kernelIiLi32ELi4ELb1EffPKPKDF16_EviT5_lT_lS4_lS5_liPT4_: ; @_ZL28rocblas_dot_batched_4_kernelIiLi32ELi4ELb1EffPKPKDF16_EviT5_lT_lS4_lS5_liPT4_
; %bb.0:
	s_load_dword s0, s[4:5], 0x48
	v_bfe_u32 v1, v0, 10, 10
	v_lshl_add_u32 v2, s6, 2, v1
	s_waitcnt lgkmcnt(0)
	v_cmp_gt_u32_e32 vcc, s0, v2
	s_and_saveexec_b64 s[0:1], vcc
	s_cbranch_execz .LBB484_7
; %bb.1:
	s_load_dword s14, s[4:5], 0x0
	s_load_dwordx2 s[6:7], s[4:5], 0x50
	v_mov_b32_e32 v3, 0
	v_and_b32_e32 v6, 0x3ff, v0
	v_mov_b32_e32 v7, v3
	s_waitcnt lgkmcnt(0)
	v_cmp_gt_i32_e32 vcc, s14, v6
	s_and_saveexec_b64 s[12:13], vcc
	s_cbranch_execz .LBB484_5
; %bb.2:
	s_load_dwordx4 s[0:3], s[4:5], 0x8
	s_load_dwordx4 s[8:11], s[4:5], 0x28
	v_lshlrev_b64 v[0:1], 3, v[2:3]
	s_load_dword s16, s[4:5], 0x18
	s_waitcnt lgkmcnt(0)
	v_mov_b32_e32 v5, s1
	v_add_co_u32_e32 v4, vcc, s0, v0
	v_addc_co_u32_e32 v5, vcc, v5, v1, vcc
	global_load_dwordx2 v[4:5], v[4:5], off
	v_mov_b32_e32 v7, s9
	v_add_co_u32_e32 v0, vcc, s8, v0
	v_addc_co_u32_e32 v1, vcc, v7, v1, vcc
	global_load_dwordx2 v[10:11], v[0:1], off
	s_load_dword s4, s[4:5], 0x38
	v_mad_i64_i32 v[0:1], s[8:9], s16, v6, 0
	s_lshl_b64 s[8:9], s[2:3], 1
	v_lshlrev_b64 v[0:1], 1, v[0:1]
	s_waitcnt lgkmcnt(0)
	v_mad_i64_i32 v[8:9], s[2:3], s4, v6, 0
	v_mov_b32_e32 v12, s9
	v_add_co_u32_e32 v0, vcc, s8, v0
	s_lshl_b64 s[10:11], s[10:11], 1
	v_lshlrev_b64 v[8:9], 1, v[8:9]
	v_addc_co_u32_e32 v1, vcc, v1, v12, vcc
	v_mov_b32_e32 v13, s11
	v_add_co_u32_e32 v12, vcc, s10, v8
	v_addc_co_u32_e32 v13, vcc, v9, v13, vcc
	s_ashr_i32 s17, s16, 31
	s_ashr_i32 s5, s4, 31
	s_lshl_b64 s[2:3], s[16:17], 6
	s_lshl_b64 s[4:5], s[4:5], 6
	s_mov_b64 s[0:1], 0
	v_mov_b32_e32 v7, 0
	v_mov_b32_e32 v8, s3
	;; [unrolled: 1-line block ×3, first 2 shown]
	s_waitcnt vmcnt(1)
	v_add_co_u32_e32 v0, vcc, v4, v0
	v_addc_co_u32_e32 v1, vcc, v5, v1, vcc
	s_waitcnt vmcnt(0)
	v_add_co_u32_e32 v4, vcc, v10, v12
	v_addc_co_u32_e32 v5, vcc, v11, v13, vcc
	v_mov_b32_e32 v10, v6
.LBB484_3:                              ; =>This Inner Loop Header: Depth=1
	global_load_ushort v11, v[0:1], off
	global_load_ushort v12, v[4:5], off
	v_add_co_u32_e32 v0, vcc, s2, v0
	v_addc_co_u32_e32 v1, vcc, v1, v8, vcc
	v_add_co_u32_e32 v4, vcc, s4, v4
	v_add_u32_e32 v10, 32, v10
	v_addc_co_u32_e32 v5, vcc, v5, v9, vcc
	v_cmp_le_i32_e32 vcc, s14, v10
	s_or_b64 s[0:1], vcc, s[0:1]
	s_waitcnt vmcnt(0)
	v_fma_mix_f32 v7, v11, v12, v7 op_sel_hi:[1,1,0]
	s_andn2_b64 exec, exec, s[0:1]
	s_cbranch_execnz .LBB484_3
; %bb.4:
	s_or_b64 exec, exec, s[0:1]
.LBB484_5:
	s_or_b64 exec, exec, s[12:13]
	v_mbcnt_lo_u32_b32 v0, -1, 0
	v_mbcnt_hi_u32_b32 v0, -1, v0
	v_and_b32_e32 v1, 63, v0
	v_cmp_gt_u32_e32 vcc, 48, v1
	v_cndmask_b32_e64 v4, 0, 1, vcc
	v_lshlrev_b32_e32 v4, 4, v4
	v_add_lshl_u32 v4, v4, v0, 2
	ds_bpermute_b32 v4, v4, v7
	v_cmp_gt_u32_e32 vcc, 56, v1
	v_cndmask_b32_e64 v5, 0, 1, vcc
	v_lshlrev_b32_e32 v5, 3, v5
	v_add_lshl_u32 v5, v5, v0, 2
	s_waitcnt lgkmcnt(0)
	v_add_f32_e32 v4, v7, v4
	ds_bpermute_b32 v5, v5, v4
	v_cmp_gt_u32_e32 vcc, 60, v1
	v_cndmask_b32_e64 v7, 0, 1, vcc
	v_lshlrev_b32_e32 v7, 2, v7
	v_cmp_gt_u32_e32 vcc, 62, v1
	s_waitcnt lgkmcnt(0)
	v_add_f32_e32 v4, v4, v5
	v_add_lshl_u32 v5, v7, v0, 2
	ds_bpermute_b32 v5, v5, v4
	v_cndmask_b32_e64 v7, 0, 1, vcc
	v_lshlrev_b32_e32 v7, 1, v7
	v_cmp_ne_u32_e32 vcc, 63, v1
	v_addc_co_u32_e32 v1, vcc, 0, v0, vcc
	s_waitcnt lgkmcnt(0)
	v_add_f32_e32 v4, v4, v5
	v_add_lshl_u32 v5, v7, v0, 2
	ds_bpermute_b32 v5, v5, v4
	v_lshlrev_b32_e32 v1, 2, v1
	v_cmp_eq_u32_e32 vcc, 0, v6
	s_waitcnt lgkmcnt(0)
	s_barrier
	v_add_f32_e32 v0, v4, v5
	ds_bpermute_b32 v1, v1, v0
	s_waitcnt lgkmcnt(0)
	s_and_b64 exec, exec, vcc
	s_cbranch_execz .LBB484_7
; %bb.6:
	v_lshlrev_b64 v[2:3], 2, v[2:3]
	v_mov_b32_e32 v4, s7
	v_add_co_u32_e32 v2, vcc, s6, v2
	v_addc_co_u32_e32 v3, vcc, v4, v3, vcc
	v_add_f32_e32 v0, v0, v1
	global_store_dword v[2:3], v0, off
.LBB484_7:
	s_endpgm
	.section	.rodata,"a",@progbits
	.p2align	6, 0x0
	.amdhsa_kernel _ZL28rocblas_dot_batched_4_kernelIiLi32ELi4ELb1EffPKPKDF16_EviT5_lT_lS4_lS5_liPT4_
		.amdhsa_group_segment_fixed_size 0
		.amdhsa_private_segment_fixed_size 0
		.amdhsa_kernarg_size 88
		.amdhsa_user_sgpr_count 6
		.amdhsa_user_sgpr_private_segment_buffer 1
		.amdhsa_user_sgpr_dispatch_ptr 0
		.amdhsa_user_sgpr_queue_ptr 0
		.amdhsa_user_sgpr_kernarg_segment_ptr 1
		.amdhsa_user_sgpr_dispatch_id 0
		.amdhsa_user_sgpr_flat_scratch_init 0
		.amdhsa_user_sgpr_kernarg_preload_length 0
		.amdhsa_user_sgpr_kernarg_preload_offset 0
		.amdhsa_user_sgpr_private_segment_size 0
		.amdhsa_uses_dynamic_stack 0
		.amdhsa_system_sgpr_private_segment_wavefront_offset 0
		.amdhsa_system_sgpr_workgroup_id_x 1
		.amdhsa_system_sgpr_workgroup_id_y 0
		.amdhsa_system_sgpr_workgroup_id_z 0
		.amdhsa_system_sgpr_workgroup_info 0
		.amdhsa_system_vgpr_workitem_id 1
		.amdhsa_next_free_vgpr 14
		.amdhsa_next_free_sgpr 18
		.amdhsa_accum_offset 16
		.amdhsa_reserve_vcc 1
		.amdhsa_reserve_flat_scratch 0
		.amdhsa_float_round_mode_32 0
		.amdhsa_float_round_mode_16_64 0
		.amdhsa_float_denorm_mode_32 3
		.amdhsa_float_denorm_mode_16_64 3
		.amdhsa_dx10_clamp 1
		.amdhsa_ieee_mode 1
		.amdhsa_fp16_overflow 0
		.amdhsa_tg_split 0
		.amdhsa_exception_fp_ieee_invalid_op 0
		.amdhsa_exception_fp_denorm_src 0
		.amdhsa_exception_fp_ieee_div_zero 0
		.amdhsa_exception_fp_ieee_overflow 0
		.amdhsa_exception_fp_ieee_underflow 0
		.amdhsa_exception_fp_ieee_inexact 0
		.amdhsa_exception_int_div_zero 0
	.end_amdhsa_kernel
	.section	.text._ZL28rocblas_dot_batched_4_kernelIiLi32ELi4ELb1EffPKPKDF16_EviT5_lT_lS4_lS5_liPT4_,"axG",@progbits,_ZL28rocblas_dot_batched_4_kernelIiLi32ELi4ELb1EffPKPKDF16_EviT5_lT_lS4_lS5_liPT4_,comdat
.Lfunc_end484:
	.size	_ZL28rocblas_dot_batched_4_kernelIiLi32ELi4ELb1EffPKPKDF16_EviT5_lT_lS4_lS5_liPT4_, .Lfunc_end484-_ZL28rocblas_dot_batched_4_kernelIiLi32ELi4ELb1EffPKPKDF16_EviT5_lT_lS4_lS5_liPT4_
                                        ; -- End function
	.section	.AMDGPU.csdata,"",@progbits
; Kernel info:
; codeLenInByte = 628
; NumSgprs: 22
; NumVgprs: 14
; NumAgprs: 0
; TotalNumVgprs: 14
; ScratchSize: 0
; MemoryBound: 0
; FloatMode: 240
; IeeeMode: 1
; LDSByteSize: 0 bytes/workgroup (compile time only)
; SGPRBlocks: 2
; VGPRBlocks: 1
; NumSGPRsForWavesPerEU: 22
; NumVGPRsForWavesPerEU: 14
; AccumOffset: 16
; Occupancy: 8
; WaveLimiterHint : 0
; COMPUTE_PGM_RSRC2:SCRATCH_EN: 0
; COMPUTE_PGM_RSRC2:USER_SGPR: 6
; COMPUTE_PGM_RSRC2:TRAP_HANDLER: 0
; COMPUTE_PGM_RSRC2:TGID_X_EN: 1
; COMPUTE_PGM_RSRC2:TGID_Y_EN: 0
; COMPUTE_PGM_RSRC2:TGID_Z_EN: 0
; COMPUTE_PGM_RSRC2:TIDIG_COMP_CNT: 1
; COMPUTE_PGM_RSRC3_GFX90A:ACCUM_OFFSET: 3
; COMPUTE_PGM_RSRC3_GFX90A:TG_SPLIT: 0
	.section	.text._ZL28rocblas_dot_batched_4_kernelIiLi64ELi4ELb1EffPKPKDF16_EviT5_lT_lS4_lS5_liPT4_,"axG",@progbits,_ZL28rocblas_dot_batched_4_kernelIiLi64ELi4ELb1EffPKPKDF16_EviT5_lT_lS4_lS5_liPT4_,comdat
	.globl	_ZL28rocblas_dot_batched_4_kernelIiLi64ELi4ELb1EffPKPKDF16_EviT5_lT_lS4_lS5_liPT4_ ; -- Begin function _ZL28rocblas_dot_batched_4_kernelIiLi64ELi4ELb1EffPKPKDF16_EviT5_lT_lS4_lS5_liPT4_
	.p2align	8
	.type	_ZL28rocblas_dot_batched_4_kernelIiLi64ELi4ELb1EffPKPKDF16_EviT5_lT_lS4_lS5_liPT4_,@function
_ZL28rocblas_dot_batched_4_kernelIiLi64ELi4ELb1EffPKPKDF16_EviT5_lT_lS4_lS5_liPT4_: ; @_ZL28rocblas_dot_batched_4_kernelIiLi64ELi4ELb1EffPKPKDF16_EviT5_lT_lS4_lS5_liPT4_
; %bb.0:
	s_load_dword s0, s[4:5], 0x48
	v_bfe_u32 v1, v0, 10, 10
	v_lshl_add_u32 v2, s6, 2, v1
	s_waitcnt lgkmcnt(0)
	v_cmp_gt_u32_e32 vcc, s0, v2
	s_and_saveexec_b64 s[0:1], vcc
	s_cbranch_execz .LBB485_7
; %bb.1:
	s_load_dword s14, s[4:5], 0x0
	s_load_dwordx2 s[6:7], s[4:5], 0x50
	v_mov_b32_e32 v3, 0
	v_and_b32_e32 v6, 0x3ff, v0
	v_mov_b32_e32 v7, v3
	s_waitcnt lgkmcnt(0)
	v_cmp_gt_i32_e32 vcc, s14, v6
	s_and_saveexec_b64 s[12:13], vcc
	s_cbranch_execz .LBB485_5
; %bb.2:
	s_load_dwordx4 s[0:3], s[4:5], 0x8
	s_load_dwordx4 s[8:11], s[4:5], 0x28
	v_lshlrev_b64 v[0:1], 3, v[2:3]
	s_load_dword s16, s[4:5], 0x18
	s_waitcnt lgkmcnt(0)
	v_mov_b32_e32 v5, s1
	v_add_co_u32_e32 v4, vcc, s0, v0
	v_addc_co_u32_e32 v5, vcc, v5, v1, vcc
	global_load_dwordx2 v[4:5], v[4:5], off
	v_mov_b32_e32 v7, s9
	v_add_co_u32_e32 v0, vcc, s8, v0
	v_addc_co_u32_e32 v1, vcc, v7, v1, vcc
	global_load_dwordx2 v[10:11], v[0:1], off
	s_load_dword s4, s[4:5], 0x38
	v_mad_i64_i32 v[0:1], s[8:9], s16, v6, 0
	s_lshl_b64 s[8:9], s[2:3], 1
	v_lshlrev_b64 v[0:1], 1, v[0:1]
	s_waitcnt lgkmcnt(0)
	v_mad_i64_i32 v[8:9], s[2:3], s4, v6, 0
	v_mov_b32_e32 v12, s9
	v_add_co_u32_e32 v0, vcc, s8, v0
	s_lshl_b64 s[10:11], s[10:11], 1
	v_lshlrev_b64 v[8:9], 1, v[8:9]
	v_addc_co_u32_e32 v1, vcc, v1, v12, vcc
	v_mov_b32_e32 v13, s11
	v_add_co_u32_e32 v12, vcc, s10, v8
	v_addc_co_u32_e32 v13, vcc, v9, v13, vcc
	s_ashr_i32 s17, s16, 31
	s_ashr_i32 s5, s4, 31
	s_lshl_b64 s[2:3], s[16:17], 7
	s_lshl_b64 s[4:5], s[4:5], 7
	s_mov_b64 s[0:1], 0
	v_mov_b32_e32 v7, 0
	v_mov_b32_e32 v8, s3
	;; [unrolled: 1-line block ×3, first 2 shown]
	s_waitcnt vmcnt(1)
	v_add_co_u32_e32 v0, vcc, v4, v0
	v_addc_co_u32_e32 v1, vcc, v5, v1, vcc
	s_waitcnt vmcnt(0)
	v_add_co_u32_e32 v4, vcc, v10, v12
	v_addc_co_u32_e32 v5, vcc, v11, v13, vcc
	v_mov_b32_e32 v10, v6
.LBB485_3:                              ; =>This Inner Loop Header: Depth=1
	global_load_ushort v11, v[0:1], off
	global_load_ushort v12, v[4:5], off
	v_add_co_u32_e32 v0, vcc, s2, v0
	v_addc_co_u32_e32 v1, vcc, v1, v8, vcc
	v_add_co_u32_e32 v4, vcc, s4, v4
	v_add_u32_e32 v10, 64, v10
	v_addc_co_u32_e32 v5, vcc, v5, v9, vcc
	v_cmp_le_i32_e32 vcc, s14, v10
	s_or_b64 s[0:1], vcc, s[0:1]
	s_waitcnt vmcnt(0)
	v_fma_mix_f32 v7, v11, v12, v7 op_sel_hi:[1,1,0]
	s_andn2_b64 exec, exec, s[0:1]
	s_cbranch_execnz .LBB485_3
; %bb.4:
	s_or_b64 exec, exec, s[0:1]
.LBB485_5:
	s_or_b64 exec, exec, s[12:13]
	v_mbcnt_lo_u32_b32 v0, -1, 0
	v_mbcnt_hi_u32_b32 v0, -1, v0
	v_and_b32_e32 v1, 63, v0
	v_cmp_gt_u32_e32 vcc, 32, v1
	v_cndmask_b32_e64 v4, 0, 1, vcc
	v_lshlrev_b32_e32 v4, 5, v4
	v_add_lshl_u32 v4, v4, v0, 2
	ds_bpermute_b32 v4, v4, v7
	v_cmp_gt_u32_e32 vcc, 48, v1
	v_cndmask_b32_e64 v5, 0, 1, vcc
	v_lshlrev_b32_e32 v5, 4, v5
	v_add_lshl_u32 v5, v5, v0, 2
	s_waitcnt lgkmcnt(0)
	v_add_f32_e32 v4, v7, v4
	ds_bpermute_b32 v5, v5, v4
	v_cmp_gt_u32_e32 vcc, 56, v1
	v_cndmask_b32_e64 v7, 0, 1, vcc
	v_lshlrev_b32_e32 v7, 3, v7
	v_cmp_gt_u32_e32 vcc, 60, v1
	s_waitcnt lgkmcnt(0)
	v_add_f32_e32 v4, v4, v5
	v_add_lshl_u32 v5, v7, v0, 2
	ds_bpermute_b32 v5, v5, v4
	v_cndmask_b32_e64 v7, 0, 1, vcc
	v_lshlrev_b32_e32 v7, 2, v7
	v_cmp_gt_u32_e32 vcc, 62, v1
	s_waitcnt lgkmcnt(0)
	v_add_f32_e32 v4, v4, v5
	v_add_lshl_u32 v5, v7, v0, 2
	ds_bpermute_b32 v5, v5, v4
	v_cndmask_b32_e64 v7, 0, 1, vcc
	v_lshlrev_b32_e32 v7, 1, v7
	v_cmp_ne_u32_e32 vcc, 63, v1
	v_addc_co_u32_e32 v1, vcc, 0, v0, vcc
	s_waitcnt lgkmcnt(0)
	v_add_f32_e32 v4, v4, v5
	v_add_lshl_u32 v5, v7, v0, 2
	ds_bpermute_b32 v5, v5, v4
	v_lshlrev_b32_e32 v1, 2, v1
	v_cmp_eq_u32_e32 vcc, 0, v6
	s_barrier
	s_waitcnt lgkmcnt(0)
	v_add_f32_e32 v0, v4, v5
	ds_bpermute_b32 v1, v1, v0
	s_and_b64 exec, exec, vcc
	s_cbranch_execz .LBB485_7
; %bb.6:
	v_lshlrev_b64 v[2:3], 2, v[2:3]
	v_mov_b32_e32 v4, s7
	v_add_co_u32_e32 v2, vcc, s6, v2
	v_addc_co_u32_e32 v3, vcc, v4, v3, vcc
	s_waitcnt lgkmcnt(0)
	v_add_f32_e32 v0, v0, v1
	global_store_dword v[2:3], v0, off
.LBB485_7:
	s_endpgm
	.section	.rodata,"a",@progbits
	.p2align	6, 0x0
	.amdhsa_kernel _ZL28rocblas_dot_batched_4_kernelIiLi64ELi4ELb1EffPKPKDF16_EviT5_lT_lS4_lS5_liPT4_
		.amdhsa_group_segment_fixed_size 0
		.amdhsa_private_segment_fixed_size 0
		.amdhsa_kernarg_size 88
		.amdhsa_user_sgpr_count 6
		.amdhsa_user_sgpr_private_segment_buffer 1
		.amdhsa_user_sgpr_dispatch_ptr 0
		.amdhsa_user_sgpr_queue_ptr 0
		.amdhsa_user_sgpr_kernarg_segment_ptr 1
		.amdhsa_user_sgpr_dispatch_id 0
		.amdhsa_user_sgpr_flat_scratch_init 0
		.amdhsa_user_sgpr_kernarg_preload_length 0
		.amdhsa_user_sgpr_kernarg_preload_offset 0
		.amdhsa_user_sgpr_private_segment_size 0
		.amdhsa_uses_dynamic_stack 0
		.amdhsa_system_sgpr_private_segment_wavefront_offset 0
		.amdhsa_system_sgpr_workgroup_id_x 1
		.amdhsa_system_sgpr_workgroup_id_y 0
		.amdhsa_system_sgpr_workgroup_id_z 0
		.amdhsa_system_sgpr_workgroup_info 0
		.amdhsa_system_vgpr_workitem_id 1
		.amdhsa_next_free_vgpr 14
		.amdhsa_next_free_sgpr 18
		.amdhsa_accum_offset 16
		.amdhsa_reserve_vcc 1
		.amdhsa_reserve_flat_scratch 0
		.amdhsa_float_round_mode_32 0
		.amdhsa_float_round_mode_16_64 0
		.amdhsa_float_denorm_mode_32 3
		.amdhsa_float_denorm_mode_16_64 3
		.amdhsa_dx10_clamp 1
		.amdhsa_ieee_mode 1
		.amdhsa_fp16_overflow 0
		.amdhsa_tg_split 0
		.amdhsa_exception_fp_ieee_invalid_op 0
		.amdhsa_exception_fp_denorm_src 0
		.amdhsa_exception_fp_ieee_div_zero 0
		.amdhsa_exception_fp_ieee_overflow 0
		.amdhsa_exception_fp_ieee_underflow 0
		.amdhsa_exception_fp_ieee_inexact 0
		.amdhsa_exception_int_div_zero 0
	.end_amdhsa_kernel
	.section	.text._ZL28rocblas_dot_batched_4_kernelIiLi64ELi4ELb1EffPKPKDF16_EviT5_lT_lS4_lS5_liPT4_,"axG",@progbits,_ZL28rocblas_dot_batched_4_kernelIiLi64ELi4ELb1EffPKPKDF16_EviT5_lT_lS4_lS5_liPT4_,comdat
.Lfunc_end485:
	.size	_ZL28rocblas_dot_batched_4_kernelIiLi64ELi4ELb1EffPKPKDF16_EviT5_lT_lS4_lS5_liPT4_, .Lfunc_end485-_ZL28rocblas_dot_batched_4_kernelIiLi64ELi4ELb1EffPKPKDF16_EviT5_lT_lS4_lS5_liPT4_
                                        ; -- End function
	.section	.AMDGPU.csdata,"",@progbits
; Kernel info:
; codeLenInByte = 668
; NumSgprs: 22
; NumVgprs: 14
; NumAgprs: 0
; TotalNumVgprs: 14
; ScratchSize: 0
; MemoryBound: 0
; FloatMode: 240
; IeeeMode: 1
; LDSByteSize: 0 bytes/workgroup (compile time only)
; SGPRBlocks: 2
; VGPRBlocks: 1
; NumSGPRsForWavesPerEU: 22
; NumVGPRsForWavesPerEU: 14
; AccumOffset: 16
; Occupancy: 8
; WaveLimiterHint : 0
; COMPUTE_PGM_RSRC2:SCRATCH_EN: 0
; COMPUTE_PGM_RSRC2:USER_SGPR: 6
; COMPUTE_PGM_RSRC2:TRAP_HANDLER: 0
; COMPUTE_PGM_RSRC2:TGID_X_EN: 1
; COMPUTE_PGM_RSRC2:TGID_Y_EN: 0
; COMPUTE_PGM_RSRC2:TGID_Z_EN: 0
; COMPUTE_PGM_RSRC2:TIDIG_COMP_CNT: 1
; COMPUTE_PGM_RSRC3_GFX90A:ACCUM_OFFSET: 3
; COMPUTE_PGM_RSRC3_GFX90A:TG_SPLIT: 0
	.section	.text._ZL18rocblas_dot_kernelIiLb1ELi1024ELi32ELb1EfPKPKDF16_fEviT5_lT_lS4_lS5_liPT6_PT4_,"axG",@progbits,_ZL18rocblas_dot_kernelIiLb1ELi1024ELi32ELb1EfPKPKDF16_fEviT5_lT_lS4_lS5_liPT6_PT4_,comdat
	.globl	_ZL18rocblas_dot_kernelIiLb1ELi1024ELi32ELb1EfPKPKDF16_fEviT5_lT_lS4_lS5_liPT6_PT4_ ; -- Begin function _ZL18rocblas_dot_kernelIiLb1ELi1024ELi32ELb1EfPKPKDF16_fEviT5_lT_lS4_lS5_liPT6_PT4_
	.p2align	8
	.type	_ZL18rocblas_dot_kernelIiLb1ELi1024ELi32ELb1EfPKPKDF16_fEviT5_lT_lS4_lS5_liPT6_PT4_,@function
_ZL18rocblas_dot_kernelIiLb1ELi1024ELi32ELb1EfPKPKDF16_fEviT5_lT_lS4_lS5_liPT6_PT4_: ; @_ZL18rocblas_dot_kernelIiLb1ELi1024ELi32ELb1EfPKPKDF16_fEviT5_lT_lS4_lS5_liPT6_PT4_
; %bb.0:
	s_mov_b32 s2, s7
	s_load_dword s14, s[4:5], 0x0
	s_load_dwordx2 s[6:7], s[4:5], 0x58
	s_mov_b32 s3, 0
	v_mov_b32_e32 v1, 0
	s_waitcnt lgkmcnt(0)
	v_cmp_gt_i32_e32 vcc, s14, v0
	s_and_saveexec_b64 s[8:9], vcc
	s_cbranch_execz .LBB486_4
; %bb.1:
	s_load_dwordx4 s[16:19], s[4:5], 0x8
	s_load_dword s24, s[4:5], 0x18
	s_load_dwordx4 s[20:23], s[4:5], 0x28
	s_lshl_b64 s[0:1], s[2:3], 3
	s_waitcnt lgkmcnt(0)
	s_add_u32 s10, s16, s0
	s_addc_u32 s11, s17, s1
	s_load_dword s16, s[4:5], 0x38
	s_load_dword s15, s[4:5], 0x60
	s_load_dwordx2 s[12:13], s[10:11], 0x0
	s_add_u32 s0, s20, s0
	s_addc_u32 s1, s21, s1
	v_mad_i64_i32 v[2:3], s[4:5], s24, v0, 0
	s_load_dwordx2 s[0:1], s[0:1], 0x0
	s_waitcnt lgkmcnt(0)
	s_lshl_b32 s15, s15, 10
	s_lshl_b64 s[4:5], s[18:19], 1
	s_add_u32 s4, s12, s4
	v_lshlrev_b64 v[2:3], 1, v[2:3]
	s_addc_u32 s5, s13, s5
	v_mov_b32_e32 v1, s5
	v_add_co_u32_e32 v2, vcc, s4, v2
	s_mul_hi_i32 s5, s24, s15
	s_mul_i32 s4, s24, s15
	v_mad_i64_i32 v[4:5], s[10:11], s16, v0, 0
	s_lshl_b64 s[4:5], s[4:5], 1
	s_lshl_b64 s[10:11], s[22:23], 1
	s_add_u32 s0, s0, s10
	v_addc_co_u32_e32 v3, vcc, v1, v3, vcc
	v_lshlrev_b64 v[4:5], 1, v[4:5]
	s_addc_u32 s1, s1, s11
	v_mov_b32_e32 v1, s1
	v_add_co_u32_e32 v4, vcc, s0, v4
	s_mul_hi_i32 s1, s16, s15
	s_mul_i32 s0, s16, s15
	s_lshl_b64 s[12:13], s[0:1], 1
	v_or_b32_e32 v6, s15, v0
	v_addc_co_u32_e32 v5, vcc, v1, v5, vcc
	s_mov_b64 s[10:11], 0
	v_mov_b32_e32 v1, 0
	v_mov_b32_e32 v7, s5
	;; [unrolled: 1-line block ×3, first 2 shown]
	s_mov_b32 s5, s3
.LBB486_2:                              ; =>This Inner Loop Header: Depth=1
	global_load_ushort v9, v[4:5], off
	global_load_ushort v10, v[2:3], off
	v_add_co_u32_e64 v2, s[0:1], s4, v2
	v_addc_co_u32_e64 v3, s[0:1], v3, v7, s[0:1]
	s_add_i32 s13, s5, 1
	v_add_co_u32_e64 v4, s[0:1], s12, v4
	v_addc_co_u32_e64 v5, s[0:1], v5, v8, s[0:1]
	s_cmp_gt_u32 s5, 30
	v_cmp_le_i32_e32 vcc, s14, v6
	s_cselect_b64 s[0:1], -1, 0
	s_or_b64 s[0:1], s[0:1], vcc
	s_and_b64 s[0:1], exec, s[0:1]
	v_add_u32_e32 v6, s15, v6
	s_mov_b32 s5, s13
	s_or_b64 s[10:11], s[0:1], s[10:11]
	s_waitcnt vmcnt(0)
	v_fma_mix_f32 v1, v9, v10, v1 op_sel_hi:[1,1,0]
	s_andn2_b64 exec, exec, s[10:11]
	s_cbranch_execnz .LBB486_2
; %bb.3:
	s_or_b64 exec, exec, s[10:11]
.LBB486_4:
	s_or_b64 exec, exec, s[8:9]
	v_and_b32_e32 v3, 63, v0
	v_cmp_gt_u32_e32 vcc, 64, v0
	v_lshlrev_b32_e32 v2, 2, v3
	s_and_saveexec_b64 s[0:1], vcc
	s_cbranch_execz .LBB486_6
; %bb.5:
	v_mov_b32_e32 v4, 0
	ds_write_b32 v2, v4
.LBB486_6:
	s_or_b64 exec, exec, s[0:1]
	v_mbcnt_lo_u32_b32 v4, -1, 0
	v_mbcnt_hi_u32_b32 v6, -1, v4
	v_and_b32_e32 v7, 63, v6
	v_cmp_gt_u32_e64 s[0:1], 32, v7
	v_cndmask_b32_e64 v4, 0, 1, s[0:1]
	v_lshlrev_b32_e32 v4, 5, v4
	v_add_lshl_u32 v4, v4, v6, 2
	ds_bpermute_b32 v4, v4, v1
	v_cmp_gt_u32_e64 s[0:1], 48, v7
	v_cndmask_b32_e64 v5, 0, 1, s[0:1]
	v_lshlrev_b32_e32 v5, 4, v5
	v_cmp_gt_u32_e64 s[0:1], 56, v7
	s_waitcnt lgkmcnt(0)
	v_add_f32_e32 v1, v1, v4
	v_add_lshl_u32 v4, v5, v6, 2
	ds_bpermute_b32 v4, v4, v1
	v_cndmask_b32_e64 v5, 0, 1, s[0:1]
	v_lshlrev_b32_e32 v5, 3, v5
	v_cmp_gt_u32_e64 s[0:1], 60, v7
	v_cndmask_b32_e64 v8, 0, 1, s[0:1]
	s_waitcnt lgkmcnt(0)
	v_add_f32_e32 v4, v1, v4
	v_add_lshl_u32 v1, v5, v6, 2
	ds_bpermute_b32 v5, v1, v4
	v_lshlrev_b32_e32 v8, 2, v8
	v_cmp_gt_u32_e64 s[0:1], 62, v7
	v_cndmask_b32_e64 v9, 0, 1, s[0:1]
	v_lshlrev_b32_e32 v9, 1, v9
	s_waitcnt lgkmcnt(0)
	v_add_f32_e32 v5, v4, v5
	v_add_lshl_u32 v4, v8, v6, 2
	ds_bpermute_b32 v8, v4, v5
	v_cmp_ne_u32_e64 s[0:1], 63, v7
	s_waitcnt lgkmcnt(0)
	s_barrier
	v_add_f32_e32 v8, v5, v8
	v_add_lshl_u32 v5, v9, v6, 2
	ds_bpermute_b32 v9, v5, v8
	v_addc_co_u32_e64 v6, s[0:1], 0, v6, s[0:1]
	v_lshlrev_b32_e32 v6, 2, v6
	v_cmp_eq_u32_e64 s[0:1], 0, v3
	s_waitcnt lgkmcnt(0)
	v_add_f32_e32 v7, v8, v9
	ds_bpermute_b32 v8, v6, v7
	s_and_saveexec_b64 s[4:5], s[0:1]
	s_cbranch_execz .LBB486_8
; %bb.7:
	s_waitcnt lgkmcnt(0)
	v_add_f32_e32 v3, v7, v8
	v_lshrrev_b32_e32 v7, 4, v0
	v_and_b32_e32 v7, 60, v7
	ds_write_b32 v7, v3
.LBB486_8:
	s_or_b64 exec, exec, s[4:5]
	v_cmp_gt_u32_e64 s[0:1], 16, v0
	v_mov_b32_e32 v3, 0
	s_waitcnt lgkmcnt(0)
	s_barrier
	s_and_saveexec_b64 s[4:5], s[0:1]
	s_cbranch_execnz .LBB486_12
; %bb.9:
	s_or_b64 exec, exec, s[4:5]
	s_and_saveexec_b64 s[0:1], vcc
	s_cbranch_execnz .LBB486_13
.LBB486_10:
	s_or_b64 exec, exec, s[0:1]
	v_cmp_eq_u32_e32 vcc, 0, v0
	s_and_saveexec_b64 s[0:1], vcc
	s_cbranch_execnz .LBB486_14
.LBB486_11:
	s_endpgm
.LBB486_12:
	ds_read_b32 v3, v2
	s_or_b64 exec, exec, s[4:5]
	s_and_saveexec_b64 s[0:1], vcc
	s_cbranch_execz .LBB486_10
.LBB486_13:
	s_waitcnt lgkmcnt(0)
	ds_bpermute_b32 v1, v1, v3
	s_waitcnt lgkmcnt(0)
	v_add_f32_e32 v1, v3, v1
	ds_bpermute_b32 v2, v4, v1
	s_waitcnt lgkmcnt(0)
	v_add_f32_e32 v1, v1, v2
	;; [unrolled: 3-line block ×4, first 2 shown]
	s_or_b64 exec, exec, s[0:1]
	v_cmp_eq_u32_e32 vcc, 0, v0
	s_and_saveexec_b64 s[0:1], vcc
	s_cbranch_execz .LBB486_11
.LBB486_14:
	s_lshl_b64 s[0:1], s[2:3], 2
	s_add_u32 s0, s6, s0
	s_addc_u32 s1, s7, s1
	v_mov_b32_e32 v0, 0
	s_waitcnt lgkmcnt(0)
	global_store_dword v0, v3, s[0:1]
	s_endpgm
	.section	.rodata,"a",@progbits
	.p2align	6, 0x0
	.amdhsa_kernel _ZL18rocblas_dot_kernelIiLb1ELi1024ELi32ELb1EfPKPKDF16_fEviT5_lT_lS4_lS5_liPT6_PT4_
		.amdhsa_group_segment_fixed_size 256
		.amdhsa_private_segment_fixed_size 0
		.amdhsa_kernarg_size 352
		.amdhsa_user_sgpr_count 6
		.amdhsa_user_sgpr_private_segment_buffer 1
		.amdhsa_user_sgpr_dispatch_ptr 0
		.amdhsa_user_sgpr_queue_ptr 0
		.amdhsa_user_sgpr_kernarg_segment_ptr 1
		.amdhsa_user_sgpr_dispatch_id 0
		.amdhsa_user_sgpr_flat_scratch_init 0
		.amdhsa_user_sgpr_kernarg_preload_length 0
		.amdhsa_user_sgpr_kernarg_preload_offset 0
		.amdhsa_user_sgpr_private_segment_size 0
		.amdhsa_uses_dynamic_stack 0
		.amdhsa_system_sgpr_private_segment_wavefront_offset 0
		.amdhsa_system_sgpr_workgroup_id_x 1
		.amdhsa_system_sgpr_workgroup_id_y 0
		.amdhsa_system_sgpr_workgroup_id_z 1
		.amdhsa_system_sgpr_workgroup_info 0
		.amdhsa_system_vgpr_workitem_id 0
		.amdhsa_next_free_vgpr 11
		.amdhsa_next_free_sgpr 25
		.amdhsa_accum_offset 12
		.amdhsa_reserve_vcc 1
		.amdhsa_reserve_flat_scratch 0
		.amdhsa_float_round_mode_32 0
		.amdhsa_float_round_mode_16_64 0
		.amdhsa_float_denorm_mode_32 3
		.amdhsa_float_denorm_mode_16_64 3
		.amdhsa_dx10_clamp 1
		.amdhsa_ieee_mode 1
		.amdhsa_fp16_overflow 0
		.amdhsa_tg_split 0
		.amdhsa_exception_fp_ieee_invalid_op 0
		.amdhsa_exception_fp_denorm_src 0
		.amdhsa_exception_fp_ieee_div_zero 0
		.amdhsa_exception_fp_ieee_overflow 0
		.amdhsa_exception_fp_ieee_underflow 0
		.amdhsa_exception_fp_ieee_inexact 0
		.amdhsa_exception_int_div_zero 0
	.end_amdhsa_kernel
	.section	.text._ZL18rocblas_dot_kernelIiLb1ELi1024ELi32ELb1EfPKPKDF16_fEviT5_lT_lS4_lS5_liPT6_PT4_,"axG",@progbits,_ZL18rocblas_dot_kernelIiLb1ELi1024ELi32ELb1EfPKPKDF16_fEviT5_lT_lS4_lS5_liPT6_PT4_,comdat
.Lfunc_end486:
	.size	_ZL18rocblas_dot_kernelIiLb1ELi1024ELi32ELb1EfPKPKDF16_fEviT5_lT_lS4_lS5_liPT6_PT4_, .Lfunc_end486-_ZL18rocblas_dot_kernelIiLb1ELi1024ELi32ELb1EfPKPKDF16_fEviT5_lT_lS4_lS5_liPT6_PT4_
                                        ; -- End function
	.section	.AMDGPU.csdata,"",@progbits
; Kernel info:
; codeLenInByte = 920
; NumSgprs: 29
; NumVgprs: 11
; NumAgprs: 0
; TotalNumVgprs: 11
; ScratchSize: 0
; MemoryBound: 0
; FloatMode: 240
; IeeeMode: 1
; LDSByteSize: 256 bytes/workgroup (compile time only)
; SGPRBlocks: 3
; VGPRBlocks: 1
; NumSGPRsForWavesPerEU: 29
; NumVGPRsForWavesPerEU: 11
; AccumOffset: 12
; Occupancy: 8
; WaveLimiterHint : 0
; COMPUTE_PGM_RSRC2:SCRATCH_EN: 0
; COMPUTE_PGM_RSRC2:USER_SGPR: 6
; COMPUTE_PGM_RSRC2:TRAP_HANDLER: 0
; COMPUTE_PGM_RSRC2:TGID_X_EN: 1
; COMPUTE_PGM_RSRC2:TGID_Y_EN: 0
; COMPUTE_PGM_RSRC2:TGID_Z_EN: 1
; COMPUTE_PGM_RSRC2:TIDIG_COMP_CNT: 0
; COMPUTE_PGM_RSRC3_GFX90A:ACCUM_OFFSET: 2
; COMPUTE_PGM_RSRC3_GFX90A:TG_SPLIT: 0
	.section	.text._ZL24rocblas_dot_kernel_magsqIiLb1ELi1024ELi32ELb1EfPKPKDF16_fEviT5_lT_liPT6_PT4_,"axG",@progbits,_ZL24rocblas_dot_kernel_magsqIiLb1ELi1024ELi32ELb1EfPKPKDF16_fEviT5_lT_liPT6_PT4_,comdat
	.globl	_ZL24rocblas_dot_kernel_magsqIiLb1ELi1024ELi32ELb1EfPKPKDF16_fEviT5_lT_liPT6_PT4_ ; -- Begin function _ZL24rocblas_dot_kernel_magsqIiLb1ELi1024ELi32ELb1EfPKPKDF16_fEviT5_lT_liPT6_PT4_
	.p2align	8
	.type	_ZL24rocblas_dot_kernel_magsqIiLb1ELi1024ELi32ELb1EfPKPKDF16_fEviT5_lT_liPT6_PT4_,@function
_ZL24rocblas_dot_kernel_magsqIiLb1ELi1024ELi32ELb1EfPKPKDF16_fEviT5_lT_liPT6_PT4_: ; @_ZL24rocblas_dot_kernel_magsqIiLb1ELi1024ELi32ELb1EfPKPKDF16_fEviT5_lT_liPT6_PT4_
; %bb.0:
	s_mov_b32 s2, s7
	s_load_dword s12, s[4:5], 0x0
	s_load_dwordx2 s[6:7], s[4:5], 0x38
	s_mov_b32 s3, 0
	v_mov_b32_e32 v1, 0
	s_waitcnt lgkmcnt(0)
	v_cmp_gt_i32_e32 vcc, s12, v0
	s_and_saveexec_b64 s[8:9], vcc
	s_cbranch_execz .LBB487_4
; %bb.1:
	s_load_dwordx4 s[16:19], s[4:5], 0x8
	s_load_dword s10, s[4:5], 0x40
	s_load_dword s11, s[4:5], 0x18
	s_lshl_b64 s[0:1], s[2:3], 3
	s_waitcnt lgkmcnt(0)
	s_add_u32 s0, s16, s0
	s_addc_u32 s1, s17, s1
	s_load_dwordx2 s[0:1], s[0:1], 0x0
	v_mad_i64_i32 v[2:3], s[4:5], s11, v0, 0
	s_lshl_b32 s13, s10, 10
	s_lshl_b64 s[4:5], s[18:19], 1
	s_waitcnt lgkmcnt(0)
	s_add_u32 s0, s0, s4
	v_lshlrev_b64 v[2:3], 1, v[2:3]
	s_addc_u32 s1, s1, s5
	v_mov_b32_e32 v1, s1
	v_add_co_u32_e32 v2, vcc, s0, v2
	s_mul_hi_i32 s1, s11, s13
	s_mul_i32 s0, s11, s13
	s_lshl_b64 s[10:11], s[0:1], 1
	v_or_b32_e32 v4, s13, v0
	v_addc_co_u32_e32 v3, vcc, v1, v3, vcc
	s_mov_b64 s[4:5], 0
	v_mov_b32_e32 v1, 0
	v_mov_b32_e32 v5, s11
	s_mov_b32 s11, s3
.LBB487_2:                              ; =>This Inner Loop Header: Depth=1
	global_load_ushort v6, v[2:3], off
	s_add_i32 s14, s11, 1
	v_add_co_u32_e64 v2, s[0:1], s10, v2
	v_addc_co_u32_e64 v3, s[0:1], v3, v5, s[0:1]
	s_cmp_gt_u32 s11, 30
	v_cmp_le_i32_e32 vcc, s12, v4
	s_cselect_b64 s[0:1], -1, 0
	s_or_b64 s[0:1], s[0:1], vcc
	s_and_b64 s[0:1], exec, s[0:1]
	v_add_u32_e32 v4, s13, v4
	s_mov_b32 s11, s14
	s_or_b64 s[4:5], s[0:1], s[4:5]
	s_waitcnt vmcnt(0)
	v_fma_mix_f32 v1, v6, v6, v1 op_sel_hi:[1,1,0]
	s_andn2_b64 exec, exec, s[4:5]
	s_cbranch_execnz .LBB487_2
; %bb.3:
	s_or_b64 exec, exec, s[4:5]
.LBB487_4:
	s_or_b64 exec, exec, s[8:9]
	v_and_b32_e32 v3, 63, v0
	v_cmp_gt_u32_e32 vcc, 64, v0
	v_lshlrev_b32_e32 v2, 2, v3
	s_and_saveexec_b64 s[0:1], vcc
	s_cbranch_execz .LBB487_6
; %bb.5:
	v_mov_b32_e32 v4, 0
	ds_write_b32 v2, v4
.LBB487_6:
	s_or_b64 exec, exec, s[0:1]
	v_mbcnt_lo_u32_b32 v4, -1, 0
	v_mbcnt_hi_u32_b32 v6, -1, v4
	v_and_b32_e32 v7, 63, v6
	v_cmp_gt_u32_e64 s[0:1], 32, v7
	v_cndmask_b32_e64 v4, 0, 1, s[0:1]
	v_lshlrev_b32_e32 v4, 5, v4
	v_add_lshl_u32 v4, v4, v6, 2
	ds_bpermute_b32 v4, v4, v1
	v_cmp_gt_u32_e64 s[0:1], 48, v7
	v_cndmask_b32_e64 v5, 0, 1, s[0:1]
	v_lshlrev_b32_e32 v5, 4, v5
	v_cmp_gt_u32_e64 s[0:1], 56, v7
	s_waitcnt lgkmcnt(0)
	v_add_f32_e32 v1, v1, v4
	v_add_lshl_u32 v4, v5, v6, 2
	ds_bpermute_b32 v4, v4, v1
	v_cndmask_b32_e64 v5, 0, 1, s[0:1]
	v_lshlrev_b32_e32 v5, 3, v5
	v_cmp_gt_u32_e64 s[0:1], 60, v7
	v_cndmask_b32_e64 v8, 0, 1, s[0:1]
	s_waitcnt lgkmcnt(0)
	v_add_f32_e32 v4, v1, v4
	v_add_lshl_u32 v1, v5, v6, 2
	ds_bpermute_b32 v5, v1, v4
	v_lshlrev_b32_e32 v8, 2, v8
	v_cmp_gt_u32_e64 s[0:1], 62, v7
	v_cndmask_b32_e64 v9, 0, 1, s[0:1]
	v_lshlrev_b32_e32 v9, 1, v9
	s_waitcnt lgkmcnt(0)
	v_add_f32_e32 v5, v4, v5
	v_add_lshl_u32 v4, v8, v6, 2
	ds_bpermute_b32 v8, v4, v5
	v_cmp_ne_u32_e64 s[0:1], 63, v7
	s_waitcnt lgkmcnt(0)
	s_barrier
	v_add_f32_e32 v8, v5, v8
	v_add_lshl_u32 v5, v9, v6, 2
	ds_bpermute_b32 v9, v5, v8
	v_addc_co_u32_e64 v6, s[0:1], 0, v6, s[0:1]
	v_lshlrev_b32_e32 v6, 2, v6
	v_cmp_eq_u32_e64 s[0:1], 0, v3
	s_waitcnt lgkmcnt(0)
	v_add_f32_e32 v7, v8, v9
	ds_bpermute_b32 v8, v6, v7
	s_and_saveexec_b64 s[4:5], s[0:1]
	s_cbranch_execz .LBB487_8
; %bb.7:
	s_waitcnt lgkmcnt(0)
	v_add_f32_e32 v3, v7, v8
	v_lshrrev_b32_e32 v7, 4, v0
	v_and_b32_e32 v7, 60, v7
	ds_write_b32 v7, v3
.LBB487_8:
	s_or_b64 exec, exec, s[4:5]
	v_cmp_gt_u32_e64 s[0:1], 16, v0
	v_mov_b32_e32 v3, 0
	s_waitcnt lgkmcnt(0)
	s_barrier
	s_and_saveexec_b64 s[4:5], s[0:1]
	s_cbranch_execnz .LBB487_12
; %bb.9:
	s_or_b64 exec, exec, s[4:5]
	s_and_saveexec_b64 s[0:1], vcc
	s_cbranch_execnz .LBB487_13
.LBB487_10:
	s_or_b64 exec, exec, s[0:1]
	v_cmp_eq_u32_e32 vcc, 0, v0
	s_and_saveexec_b64 s[0:1], vcc
	s_cbranch_execnz .LBB487_14
.LBB487_11:
	s_endpgm
.LBB487_12:
	ds_read_b32 v3, v2
	s_or_b64 exec, exec, s[4:5]
	s_and_saveexec_b64 s[0:1], vcc
	s_cbranch_execz .LBB487_10
.LBB487_13:
	s_waitcnt lgkmcnt(0)
	ds_bpermute_b32 v1, v1, v3
	s_waitcnt lgkmcnt(0)
	v_add_f32_e32 v1, v3, v1
	ds_bpermute_b32 v2, v4, v1
	s_waitcnt lgkmcnt(0)
	v_add_f32_e32 v1, v1, v2
	;; [unrolled: 3-line block ×4, first 2 shown]
	s_or_b64 exec, exec, s[0:1]
	v_cmp_eq_u32_e32 vcc, 0, v0
	s_and_saveexec_b64 s[0:1], vcc
	s_cbranch_execz .LBB487_11
.LBB487_14:
	s_lshl_b64 s[0:1], s[2:3], 2
	s_add_u32 s0, s6, s0
	s_addc_u32 s1, s7, s1
	v_mov_b32_e32 v0, 0
	s_waitcnt lgkmcnt(0)
	global_store_dword v0, v3, s[0:1]
	s_endpgm
	.section	.rodata,"a",@progbits
	.p2align	6, 0x0
	.amdhsa_kernel _ZL24rocblas_dot_kernel_magsqIiLb1ELi1024ELi32ELb1EfPKPKDF16_fEviT5_lT_liPT6_PT4_
		.amdhsa_group_segment_fixed_size 256
		.amdhsa_private_segment_fixed_size 0
		.amdhsa_kernarg_size 320
		.amdhsa_user_sgpr_count 6
		.amdhsa_user_sgpr_private_segment_buffer 1
		.amdhsa_user_sgpr_dispatch_ptr 0
		.amdhsa_user_sgpr_queue_ptr 0
		.amdhsa_user_sgpr_kernarg_segment_ptr 1
		.amdhsa_user_sgpr_dispatch_id 0
		.amdhsa_user_sgpr_flat_scratch_init 0
		.amdhsa_user_sgpr_kernarg_preload_length 0
		.amdhsa_user_sgpr_kernarg_preload_offset 0
		.amdhsa_user_sgpr_private_segment_size 0
		.amdhsa_uses_dynamic_stack 0
		.amdhsa_system_sgpr_private_segment_wavefront_offset 0
		.amdhsa_system_sgpr_workgroup_id_x 1
		.amdhsa_system_sgpr_workgroup_id_y 0
		.amdhsa_system_sgpr_workgroup_id_z 1
		.amdhsa_system_sgpr_workgroup_info 0
		.amdhsa_system_vgpr_workitem_id 0
		.amdhsa_next_free_vgpr 10
		.amdhsa_next_free_sgpr 20
		.amdhsa_accum_offset 12
		.amdhsa_reserve_vcc 1
		.amdhsa_reserve_flat_scratch 0
		.amdhsa_float_round_mode_32 0
		.amdhsa_float_round_mode_16_64 0
		.amdhsa_float_denorm_mode_32 3
		.amdhsa_float_denorm_mode_16_64 3
		.amdhsa_dx10_clamp 1
		.amdhsa_ieee_mode 1
		.amdhsa_fp16_overflow 0
		.amdhsa_tg_split 0
		.amdhsa_exception_fp_ieee_invalid_op 0
		.amdhsa_exception_fp_denorm_src 0
		.amdhsa_exception_fp_ieee_div_zero 0
		.amdhsa_exception_fp_ieee_overflow 0
		.amdhsa_exception_fp_ieee_underflow 0
		.amdhsa_exception_fp_ieee_inexact 0
		.amdhsa_exception_int_div_zero 0
	.end_amdhsa_kernel
	.section	.text._ZL24rocblas_dot_kernel_magsqIiLb1ELi1024ELi32ELb1EfPKPKDF16_fEviT5_lT_liPT6_PT4_,"axG",@progbits,_ZL24rocblas_dot_kernel_magsqIiLb1ELi1024ELi32ELb1EfPKPKDF16_fEviT5_lT_liPT6_PT4_,comdat
.Lfunc_end487:
	.size	_ZL24rocblas_dot_kernel_magsqIiLb1ELi1024ELi32ELb1EfPKPKDF16_fEviT5_lT_liPT6_PT4_, .Lfunc_end487-_ZL24rocblas_dot_kernel_magsqIiLb1ELi1024ELi32ELb1EfPKPKDF16_fEviT5_lT_liPT6_PT4_
                                        ; -- End function
	.section	.AMDGPU.csdata,"",@progbits
; Kernel info:
; codeLenInByte = 808
; NumSgprs: 24
; NumVgprs: 10
; NumAgprs: 0
; TotalNumVgprs: 10
; ScratchSize: 0
; MemoryBound: 0
; FloatMode: 240
; IeeeMode: 1
; LDSByteSize: 256 bytes/workgroup (compile time only)
; SGPRBlocks: 2
; VGPRBlocks: 1
; NumSGPRsForWavesPerEU: 24
; NumVGPRsForWavesPerEU: 10
; AccumOffset: 12
; Occupancy: 8
; WaveLimiterHint : 0
; COMPUTE_PGM_RSRC2:SCRATCH_EN: 0
; COMPUTE_PGM_RSRC2:USER_SGPR: 6
; COMPUTE_PGM_RSRC2:TRAP_HANDLER: 0
; COMPUTE_PGM_RSRC2:TGID_X_EN: 1
; COMPUTE_PGM_RSRC2:TGID_Y_EN: 0
; COMPUTE_PGM_RSRC2:TGID_Z_EN: 1
; COMPUTE_PGM_RSRC2:TIDIG_COMP_CNT: 0
; COMPUTE_PGM_RSRC3_GFX90A:ACCUM_OFFSET: 2
; COMPUTE_PGM_RSRC3_GFX90A:TG_SPLIT: 0
	.section	.text._ZL18rocblas_dot_kernelIiLb0ELi512ELi4ELb1EfPKPKDF16_fEviT5_lT_lS4_lS5_liPT6_PT4_,"axG",@progbits,_ZL18rocblas_dot_kernelIiLb0ELi512ELi4ELb1EfPKPKDF16_fEviT5_lT_lS4_lS5_liPT6_PT4_,comdat
	.globl	_ZL18rocblas_dot_kernelIiLb0ELi512ELi4ELb1EfPKPKDF16_fEviT5_lT_lS4_lS5_liPT6_PT4_ ; -- Begin function _ZL18rocblas_dot_kernelIiLb0ELi512ELi4ELb1EfPKPKDF16_fEviT5_lT_lS4_lS5_liPT6_PT4_
	.p2align	8
	.type	_ZL18rocblas_dot_kernelIiLb0ELi512ELi4ELb1EfPKPKDF16_fEviT5_lT_lS4_lS5_liPT6_PT4_,@function
_ZL18rocblas_dot_kernelIiLb0ELi512ELi4ELb1EfPKPKDF16_fEviT5_lT_lS4_lS5_liPT6_PT4_: ; @_ZL18rocblas_dot_kernelIiLb0ELi512ELi4ELb1EfPKPKDF16_fEviT5_lT_lS4_lS5_liPT6_PT4_
; %bb.0:
	s_mov_b32 s2, s7
	s_load_dword s18, s[4:5], 0x60
	s_load_dword s7, s[4:5], 0x0
	s_load_dwordx4 s[8:11], s[4:5], 0x50
	v_lshl_or_b32 v4, s6, 9, v0
	s_mov_b32 s3, 0
	v_mov_b32_e32 v1, 0
	s_waitcnt lgkmcnt(0)
	v_cmp_gt_i32_e32 vcc, s7, v4
	s_and_saveexec_b64 s[12:13], vcc
	s_cbranch_execz .LBB488_4
; %bb.1:
	s_load_dwordx4 s[20:23], s[4:5], 0x8
	s_load_dword s16, s[4:5], 0x18
	s_load_dwordx4 s[24:27], s[4:5], 0x28
	s_load_dword s17, s[4:5], 0x38
	s_lshl_b64 s[0:1], s[2:3], 3
	s_waitcnt lgkmcnt(0)
	s_add_u32 s4, s20, s0
	s_addc_u32 s5, s21, s1
	s_load_dwordx2 s[4:5], s[4:5], 0x0
	s_add_u32 s0, s24, s0
	s_addc_u32 s1, s25, s1
	v_mad_i64_i32 v[2:3], s[14:15], s16, v4, 0
	s_load_dwordx2 s[0:1], s[0:1], 0x0
	s_lshl_b32 s19, s18, 9
	s_lshl_b64 s[14:15], s[22:23], 1
	s_waitcnt lgkmcnt(0)
	s_add_u32 s4, s4, s14
	v_lshlrev_b64 v[2:3], 1, v[2:3]
	s_addc_u32 s5, s5, s15
	v_add_u32_e32 v6, s19, v4
	v_mov_b32_e32 v1, s5
	v_add_co_u32_e32 v2, vcc, s4, v2
	s_mul_hi_i32 s5, s16, s19
	s_mul_i32 s4, s16, s19
	v_mad_i64_i32 v[4:5], s[14:15], s17, v4, 0
	s_lshl_b64 s[4:5], s[4:5], 1
	s_lshl_b64 s[14:15], s[26:27], 1
	s_add_u32 s0, s0, s14
	v_addc_co_u32_e32 v3, vcc, v1, v3, vcc
	v_lshlrev_b64 v[4:5], 1, v[4:5]
	s_addc_u32 s1, s1, s15
	v_mov_b32_e32 v1, s1
	v_add_co_u32_e32 v4, vcc, s0, v4
	s_mul_hi_i32 s1, s17, s19
	s_mul_i32 s0, s17, s19
	s_lshl_b64 s[16:17], s[0:1], 1
	v_addc_co_u32_e32 v5, vcc, v1, v5, vcc
	s_mov_b64 s[14:15], 0
	v_mov_b32_e32 v1, 0
	v_mov_b32_e32 v7, s5
	;; [unrolled: 1-line block ×3, first 2 shown]
	s_mov_b32 s5, s3
.LBB488_2:                              ; =>This Inner Loop Header: Depth=1
	global_load_ushort v9, v[4:5], off
	global_load_ushort v10, v[2:3], off
	v_add_co_u32_e64 v2, s[0:1], s4, v2
	v_addc_co_u32_e64 v3, s[0:1], v3, v7, s[0:1]
	s_add_i32 s17, s5, 1
	v_add_co_u32_e64 v4, s[0:1], s16, v4
	v_addc_co_u32_e64 v5, s[0:1], v5, v8, s[0:1]
	s_cmp_gt_u32 s5, 2
	v_cmp_le_i32_e32 vcc, s7, v6
	s_cselect_b64 s[0:1], -1, 0
	s_or_b64 s[0:1], s[0:1], vcc
	s_and_b64 s[0:1], exec, s[0:1]
	v_add_u32_e32 v6, s19, v6
	s_mov_b32 s5, s17
	s_or_b64 s[14:15], s[0:1], s[14:15]
	s_waitcnt vmcnt(0)
	v_fma_mix_f32 v1, v9, v10, v1 op_sel_hi:[1,1,0]
	s_andn2_b64 exec, exec, s[14:15]
	s_cbranch_execnz .LBB488_2
; %bb.3:
	s_or_b64 exec, exec, s[14:15]
.LBB488_4:
	s_or_b64 exec, exec, s[12:13]
	v_and_b32_e32 v3, 63, v0
	v_cmp_gt_u32_e32 vcc, 64, v0
	v_lshlrev_b32_e32 v2, 2, v3
	s_and_saveexec_b64 s[0:1], vcc
	s_cbranch_execz .LBB488_6
; %bb.5:
	v_mov_b32_e32 v4, 0
	ds_write_b32 v2, v4
.LBB488_6:
	s_or_b64 exec, exec, s[0:1]
	v_mbcnt_lo_u32_b32 v4, -1, 0
	v_mbcnt_hi_u32_b32 v6, -1, v4
	v_and_b32_e32 v7, 63, v6
	v_cmp_gt_u32_e64 s[0:1], 32, v7
	v_cndmask_b32_e64 v4, 0, 1, s[0:1]
	v_lshlrev_b32_e32 v4, 5, v4
	v_add_lshl_u32 v4, v4, v6, 2
	ds_bpermute_b32 v4, v4, v1
	v_cmp_gt_u32_e64 s[0:1], 48, v7
	v_cndmask_b32_e64 v5, 0, 1, s[0:1]
	v_lshlrev_b32_e32 v5, 4, v5
	v_cmp_gt_u32_e64 s[0:1], 56, v7
	s_waitcnt lgkmcnt(0)
	v_add_f32_e32 v1, v1, v4
	v_add_lshl_u32 v4, v5, v6, 2
	ds_bpermute_b32 v4, v4, v1
	v_cndmask_b32_e64 v5, 0, 1, s[0:1]
	v_lshlrev_b32_e32 v5, 3, v5
	v_cmp_gt_u32_e64 s[0:1], 60, v7
	s_waitcnt lgkmcnt(0)
	v_add_f32_e32 v1, v1, v4
	v_add_lshl_u32 v4, v5, v6, 2
	ds_bpermute_b32 v4, v4, v1
	v_cndmask_b32_e64 v5, 0, 1, s[0:1]
	v_lshlrev_b32_e32 v5, 2, v5
	v_cmp_gt_u32_e64 s[0:1], 62, v7
	v_cndmask_b32_e64 v8, 0, 1, s[0:1]
	s_waitcnt lgkmcnt(0)
	v_add_f32_e32 v1, v1, v4
	v_add_lshl_u32 v4, v5, v6, 2
	ds_bpermute_b32 v5, v4, v1
	v_lshlrev_b32_e32 v8, 1, v8
	v_cmp_ne_u32_e64 s[0:1], 63, v7
	s_barrier
	s_waitcnt lgkmcnt(0)
	v_add_f32_e32 v1, v1, v5
	v_add_lshl_u32 v5, v8, v6, 2
	ds_bpermute_b32 v8, v5, v1
	v_addc_co_u32_e64 v6, s[0:1], 0, v6, s[0:1]
	v_lshlrev_b32_e32 v6, 2, v6
	v_cmp_eq_u32_e64 s[0:1], 0, v3
	s_waitcnt lgkmcnt(0)
	v_add_f32_e32 v1, v1, v8
	ds_bpermute_b32 v7, v6, v1
	s_and_saveexec_b64 s[4:5], s[0:1]
	s_cbranch_execz .LBB488_8
; %bb.7:
	v_lshrrev_b32_e32 v3, 4, v0
	s_waitcnt lgkmcnt(0)
	v_add_f32_e32 v1, v1, v7
	v_and_b32_e32 v3, 28, v3
	ds_write_b32 v3, v1
.LBB488_8:
	s_or_b64 exec, exec, s[4:5]
	v_cmp_gt_u32_e64 s[0:1], 8, v0
	v_mov_b32_e32 v1, 0
	s_waitcnt lgkmcnt(0)
	s_barrier
	s_and_saveexec_b64 s[4:5], s[0:1]
	s_cbranch_execnz .LBB488_12
; %bb.9:
	s_or_b64 exec, exec, s[4:5]
	s_and_saveexec_b64 s[0:1], vcc
	s_cbranch_execnz .LBB488_13
.LBB488_10:
	s_or_b64 exec, exec, s[0:1]
	v_cmp_eq_u32_e32 vcc, 0, v0
	s_and_saveexec_b64 s[0:1], vcc
	s_cbranch_execnz .LBB488_14
.LBB488_11:
	s_endpgm
.LBB488_12:
	ds_read_b32 v1, v2
	s_or_b64 exec, exec, s[4:5]
	s_and_saveexec_b64 s[0:1], vcc
	s_cbranch_execz .LBB488_10
.LBB488_13:
	s_waitcnt lgkmcnt(0)
	ds_bpermute_b32 v2, v4, v1
	s_waitcnt lgkmcnt(0)
	v_add_f32_e32 v1, v1, v2
	ds_bpermute_b32 v2, v5, v1
	s_waitcnt lgkmcnt(0)
	v_add_f32_e32 v1, v1, v2
	;; [unrolled: 3-line block ×3, first 2 shown]
	s_or_b64 exec, exec, s[0:1]
	v_cmp_eq_u32_e32 vcc, 0, v0
	s_and_saveexec_b64 s[0:1], vcc
	s_cbranch_execz .LBB488_11
.LBB488_14:
	s_cmp_lg_u32 s18, 1
	s_cbranch_scc0 .LBB488_16
; %bb.15:
	s_mul_hi_u32 s1, s18, s2
	s_mul_i32 s0, s18, s2
	s_lshl_b64 s[0:1], s[0:1], 2
	s_mov_b32 s7, 0
	s_add_u32 s4, s8, s0
	s_addc_u32 s5, s9, s1
	s_lshl_b64 s[0:1], s[6:7], 2
	s_add_u32 s0, s4, s0
	s_addc_u32 s1, s5, s1
	s_cbranch_execz .LBB488_17
	s_branch .LBB488_18
.LBB488_16:
                                        ; implicit-def: $sgpr0_sgpr1
.LBB488_17:
	s_lshl_b64 s[0:1], s[2:3], 2
	s_add_u32 s0, s10, s0
	s_addc_u32 s1, s11, s1
.LBB488_18:
	v_mov_b32_e32 v0, 0
	s_waitcnt lgkmcnt(0)
	global_store_dword v0, v1, s[0:1]
	s_endpgm
	.section	.rodata,"a",@progbits
	.p2align	6, 0x0
	.amdhsa_kernel _ZL18rocblas_dot_kernelIiLb0ELi512ELi4ELb1EfPKPKDF16_fEviT5_lT_lS4_lS5_liPT6_PT4_
		.amdhsa_group_segment_fixed_size 256
		.amdhsa_private_segment_fixed_size 0
		.amdhsa_kernarg_size 352
		.amdhsa_user_sgpr_count 6
		.amdhsa_user_sgpr_private_segment_buffer 1
		.amdhsa_user_sgpr_dispatch_ptr 0
		.amdhsa_user_sgpr_queue_ptr 0
		.amdhsa_user_sgpr_kernarg_segment_ptr 1
		.amdhsa_user_sgpr_dispatch_id 0
		.amdhsa_user_sgpr_flat_scratch_init 0
		.amdhsa_user_sgpr_kernarg_preload_length 0
		.amdhsa_user_sgpr_kernarg_preload_offset 0
		.amdhsa_user_sgpr_private_segment_size 0
		.amdhsa_uses_dynamic_stack 0
		.amdhsa_system_sgpr_private_segment_wavefront_offset 0
		.amdhsa_system_sgpr_workgroup_id_x 1
		.amdhsa_system_sgpr_workgroup_id_y 0
		.amdhsa_system_sgpr_workgroup_id_z 1
		.amdhsa_system_sgpr_workgroup_info 0
		.amdhsa_system_vgpr_workitem_id 0
		.amdhsa_next_free_vgpr 11
		.amdhsa_next_free_sgpr 28
		.amdhsa_accum_offset 12
		.amdhsa_reserve_vcc 1
		.amdhsa_reserve_flat_scratch 0
		.amdhsa_float_round_mode_32 0
		.amdhsa_float_round_mode_16_64 0
		.amdhsa_float_denorm_mode_32 3
		.amdhsa_float_denorm_mode_16_64 3
		.amdhsa_dx10_clamp 1
		.amdhsa_ieee_mode 1
		.amdhsa_fp16_overflow 0
		.amdhsa_tg_split 0
		.amdhsa_exception_fp_ieee_invalid_op 0
		.amdhsa_exception_fp_denorm_src 0
		.amdhsa_exception_fp_ieee_div_zero 0
		.amdhsa_exception_fp_ieee_overflow 0
		.amdhsa_exception_fp_ieee_underflow 0
		.amdhsa_exception_fp_ieee_inexact 0
		.amdhsa_exception_int_div_zero 0
	.end_amdhsa_kernel
	.section	.text._ZL18rocblas_dot_kernelIiLb0ELi512ELi4ELb1EfPKPKDF16_fEviT5_lT_lS4_lS5_liPT6_PT4_,"axG",@progbits,_ZL18rocblas_dot_kernelIiLb0ELi512ELi4ELb1EfPKPKDF16_fEviT5_lT_lS4_lS5_liPT6_PT4_,comdat
.Lfunc_end488:
	.size	_ZL18rocblas_dot_kernelIiLb0ELi512ELi4ELb1EfPKPKDF16_fEviT5_lT_lS4_lS5_liPT6_PT4_, .Lfunc_end488-_ZL18rocblas_dot_kernelIiLb0ELi512ELi4ELb1EfPKPKDF16_fEviT5_lT_lS4_lS5_liPT6_PT4_
                                        ; -- End function
	.section	.AMDGPU.csdata,"",@progbits
; Kernel info:
; codeLenInByte = 964
; NumSgprs: 32
; NumVgprs: 11
; NumAgprs: 0
; TotalNumVgprs: 11
; ScratchSize: 0
; MemoryBound: 0
; FloatMode: 240
; IeeeMode: 1
; LDSByteSize: 256 bytes/workgroup (compile time only)
; SGPRBlocks: 3
; VGPRBlocks: 1
; NumSGPRsForWavesPerEU: 32
; NumVGPRsForWavesPerEU: 11
; AccumOffset: 12
; Occupancy: 8
; WaveLimiterHint : 0
; COMPUTE_PGM_RSRC2:SCRATCH_EN: 0
; COMPUTE_PGM_RSRC2:USER_SGPR: 6
; COMPUTE_PGM_RSRC2:TRAP_HANDLER: 0
; COMPUTE_PGM_RSRC2:TGID_X_EN: 1
; COMPUTE_PGM_RSRC2:TGID_Y_EN: 0
; COMPUTE_PGM_RSRC2:TGID_Z_EN: 1
; COMPUTE_PGM_RSRC2:TIDIG_COMP_CNT: 0
; COMPUTE_PGM_RSRC3_GFX90A:ACCUM_OFFSET: 2
; COMPUTE_PGM_RSRC3_GFX90A:TG_SPLIT: 0
	.section	.text._ZL24rocblas_dot_kernel_magsqIiLb0ELi512ELi4ELb1EfPKPKDF16_fEviT5_lT_liPT6_PT4_,"axG",@progbits,_ZL24rocblas_dot_kernel_magsqIiLb0ELi512ELi4ELb1EfPKPKDF16_fEviT5_lT_liPT6_PT4_,comdat
	.globl	_ZL24rocblas_dot_kernel_magsqIiLb0ELi512ELi4ELb1EfPKPKDF16_fEviT5_lT_liPT6_PT4_ ; -- Begin function _ZL24rocblas_dot_kernel_magsqIiLb0ELi512ELi4ELb1EfPKPKDF16_fEviT5_lT_liPT6_PT4_
	.p2align	8
	.type	_ZL24rocblas_dot_kernel_magsqIiLb0ELi512ELi4ELb1EfPKPKDF16_fEviT5_lT_liPT6_PT4_,@function
_ZL24rocblas_dot_kernel_magsqIiLb0ELi512ELi4ELb1EfPKPKDF16_fEviT5_lT_liPT6_PT4_: ; @_ZL24rocblas_dot_kernel_magsqIiLb0ELi512ELi4ELb1EfPKPKDF16_fEviT5_lT_liPT6_PT4_
; %bb.0:
	s_mov_b32 s2, s7
	s_load_dword s7, s[4:5], 0x0
	s_load_dwordx4 s[8:11], s[4:5], 0x30
	s_load_dword s16, s[4:5], 0x40
	v_lshl_or_b32 v2, s6, 9, v0
	s_mov_b32 s3, 0
	s_waitcnt lgkmcnt(0)
	v_cmp_gt_i32_e32 vcc, s7, v2
	v_mov_b32_e32 v1, 0
	s_and_saveexec_b64 s[12:13], vcc
	s_cbranch_execz .LBB489_4
; %bb.1:
	s_load_dwordx4 s[20:23], s[4:5], 0x8
	s_load_dword s14, s[4:5], 0x18
	s_lshl_b64 s[0:1], s[2:3], 3
	s_waitcnt lgkmcnt(0)
	s_add_u32 s0, s20, s0
	s_addc_u32 s1, s21, s1
	s_load_dwordx2 s[0:1], s[0:1], 0x0
	v_mad_i64_i32 v[4:5], s[4:5], s14, v2, 0
	s_lshl_b32 s17, s16, 9
	s_lshl_b64 s[4:5], s[22:23], 1
	s_waitcnt lgkmcnt(0)
	s_add_u32 s0, s0, s4
	v_lshlrev_b64 v[6:7], 1, v[4:5]
	s_addc_u32 s1, s1, s5
	v_add_u32_e32 v4, s17, v2
	v_mov_b32_e32 v1, s1
	v_add_co_u32_e32 v2, vcc, s0, v6
	s_mul_hi_i32 s1, s14, s17
	s_mul_i32 s0, s14, s17
	s_lshl_b64 s[14:15], s[0:1], 1
	v_addc_co_u32_e32 v3, vcc, v1, v7, vcc
	s_mov_b64 s[4:5], 0
	v_mov_b32_e32 v1, 0
	v_mov_b32_e32 v5, s15
	s_mov_b32 s15, s3
.LBB489_2:                              ; =>This Inner Loop Header: Depth=1
	global_load_ushort v6, v[2:3], off
	s_add_i32 s18, s15, 1
	v_add_co_u32_e64 v2, s[0:1], s14, v2
	v_addc_co_u32_e64 v3, s[0:1], v3, v5, s[0:1]
	s_cmp_gt_u32 s15, 2
	v_cmp_le_i32_e32 vcc, s7, v4
	s_cselect_b64 s[0:1], -1, 0
	s_or_b64 s[0:1], s[0:1], vcc
	s_and_b64 s[0:1], exec, s[0:1]
	v_add_u32_e32 v4, s17, v4
	s_mov_b32 s15, s18
	s_or_b64 s[4:5], s[0:1], s[4:5]
	s_waitcnt vmcnt(0)
	v_fma_mix_f32 v1, v6, v6, v1 op_sel_hi:[1,1,0]
	s_andn2_b64 exec, exec, s[4:5]
	s_cbranch_execnz .LBB489_2
; %bb.3:
	s_or_b64 exec, exec, s[4:5]
.LBB489_4:
	s_or_b64 exec, exec, s[12:13]
	v_and_b32_e32 v3, 63, v0
	v_cmp_gt_u32_e32 vcc, 64, v0
	v_lshlrev_b32_e32 v2, 2, v3
	s_and_saveexec_b64 s[0:1], vcc
	s_cbranch_execz .LBB489_6
; %bb.5:
	v_mov_b32_e32 v4, 0
	ds_write_b32 v2, v4
.LBB489_6:
	s_or_b64 exec, exec, s[0:1]
	v_mbcnt_lo_u32_b32 v4, -1, 0
	v_mbcnt_hi_u32_b32 v6, -1, v4
	v_and_b32_e32 v7, 63, v6
	v_cmp_gt_u32_e64 s[0:1], 32, v7
	v_cndmask_b32_e64 v4, 0, 1, s[0:1]
	v_lshlrev_b32_e32 v4, 5, v4
	v_add_lshl_u32 v4, v4, v6, 2
	ds_bpermute_b32 v4, v4, v1
	v_cmp_gt_u32_e64 s[0:1], 48, v7
	v_cndmask_b32_e64 v5, 0, 1, s[0:1]
	v_lshlrev_b32_e32 v5, 4, v5
	v_cmp_gt_u32_e64 s[0:1], 56, v7
	s_waitcnt lgkmcnt(0)
	v_add_f32_e32 v1, v1, v4
	v_add_lshl_u32 v4, v5, v6, 2
	ds_bpermute_b32 v4, v4, v1
	v_cndmask_b32_e64 v5, 0, 1, s[0:1]
	v_lshlrev_b32_e32 v5, 3, v5
	v_cmp_gt_u32_e64 s[0:1], 60, v7
	s_waitcnt lgkmcnt(0)
	v_add_f32_e32 v1, v1, v4
	v_add_lshl_u32 v4, v5, v6, 2
	ds_bpermute_b32 v4, v4, v1
	v_cndmask_b32_e64 v5, 0, 1, s[0:1]
	v_lshlrev_b32_e32 v5, 2, v5
	v_cmp_gt_u32_e64 s[0:1], 62, v7
	v_cndmask_b32_e64 v8, 0, 1, s[0:1]
	s_waitcnt lgkmcnt(0)
	v_add_f32_e32 v1, v1, v4
	v_add_lshl_u32 v4, v5, v6, 2
	ds_bpermute_b32 v5, v4, v1
	v_lshlrev_b32_e32 v8, 1, v8
	v_cmp_ne_u32_e64 s[0:1], 63, v7
	s_barrier
	s_waitcnt lgkmcnt(0)
	v_add_f32_e32 v1, v1, v5
	v_add_lshl_u32 v5, v8, v6, 2
	ds_bpermute_b32 v8, v5, v1
	v_addc_co_u32_e64 v6, s[0:1], 0, v6, s[0:1]
	v_lshlrev_b32_e32 v6, 2, v6
	v_cmp_eq_u32_e64 s[0:1], 0, v3
	s_waitcnt lgkmcnt(0)
	v_add_f32_e32 v1, v1, v8
	ds_bpermute_b32 v7, v6, v1
	s_and_saveexec_b64 s[4:5], s[0:1]
	s_cbranch_execz .LBB489_8
; %bb.7:
	v_lshrrev_b32_e32 v3, 4, v0
	s_waitcnt lgkmcnt(0)
	v_add_f32_e32 v1, v1, v7
	v_and_b32_e32 v3, 28, v3
	ds_write_b32 v3, v1
.LBB489_8:
	s_or_b64 exec, exec, s[4:5]
	v_cmp_gt_u32_e64 s[0:1], 8, v0
	v_mov_b32_e32 v1, 0
	s_waitcnt lgkmcnt(0)
	s_barrier
	s_and_saveexec_b64 s[4:5], s[0:1]
	s_cbranch_execnz .LBB489_12
; %bb.9:
	s_or_b64 exec, exec, s[4:5]
	s_and_saveexec_b64 s[0:1], vcc
	s_cbranch_execnz .LBB489_13
.LBB489_10:
	s_or_b64 exec, exec, s[0:1]
	v_cmp_eq_u32_e32 vcc, 0, v0
	s_and_saveexec_b64 s[0:1], vcc
	s_cbranch_execnz .LBB489_14
.LBB489_11:
	s_endpgm
.LBB489_12:
	ds_read_b32 v1, v2
	s_or_b64 exec, exec, s[4:5]
	s_and_saveexec_b64 s[0:1], vcc
	s_cbranch_execz .LBB489_10
.LBB489_13:
	s_waitcnt lgkmcnt(0)
	ds_bpermute_b32 v2, v4, v1
	s_waitcnt lgkmcnt(0)
	v_add_f32_e32 v1, v1, v2
	ds_bpermute_b32 v2, v5, v1
	s_waitcnt lgkmcnt(0)
	v_add_f32_e32 v1, v1, v2
	;; [unrolled: 3-line block ×3, first 2 shown]
	s_or_b64 exec, exec, s[0:1]
	v_cmp_eq_u32_e32 vcc, 0, v0
	s_and_saveexec_b64 s[0:1], vcc
	s_cbranch_execz .LBB489_11
.LBB489_14:
	s_cmp_lg_u32 s16, 1
	s_cbranch_scc0 .LBB489_16
; %bb.15:
	s_mul_hi_u32 s1, s16, s2
	s_mul_i32 s0, s16, s2
	s_lshl_b64 s[0:1], s[0:1], 2
	s_mov_b32 s7, 0
	s_add_u32 s4, s8, s0
	s_addc_u32 s5, s9, s1
	s_lshl_b64 s[0:1], s[6:7], 2
	s_add_u32 s0, s4, s0
	s_addc_u32 s1, s5, s1
	s_cbranch_execz .LBB489_17
	s_branch .LBB489_18
.LBB489_16:
                                        ; implicit-def: $sgpr0_sgpr1
.LBB489_17:
	s_lshl_b64 s[0:1], s[2:3], 2
	s_add_u32 s0, s10, s0
	s_addc_u32 s1, s11, s1
.LBB489_18:
	v_mov_b32_e32 v0, 0
	s_waitcnt lgkmcnt(0)
	global_store_dword v0, v1, s[0:1]
	s_endpgm
	.section	.rodata,"a",@progbits
	.p2align	6, 0x0
	.amdhsa_kernel _ZL24rocblas_dot_kernel_magsqIiLb0ELi512ELi4ELb1EfPKPKDF16_fEviT5_lT_liPT6_PT4_
		.amdhsa_group_segment_fixed_size 256
		.amdhsa_private_segment_fixed_size 0
		.amdhsa_kernarg_size 320
		.amdhsa_user_sgpr_count 6
		.amdhsa_user_sgpr_private_segment_buffer 1
		.amdhsa_user_sgpr_dispatch_ptr 0
		.amdhsa_user_sgpr_queue_ptr 0
		.amdhsa_user_sgpr_kernarg_segment_ptr 1
		.amdhsa_user_sgpr_dispatch_id 0
		.amdhsa_user_sgpr_flat_scratch_init 0
		.amdhsa_user_sgpr_kernarg_preload_length 0
		.amdhsa_user_sgpr_kernarg_preload_offset 0
		.amdhsa_user_sgpr_private_segment_size 0
		.amdhsa_uses_dynamic_stack 0
		.amdhsa_system_sgpr_private_segment_wavefront_offset 0
		.amdhsa_system_sgpr_workgroup_id_x 1
		.amdhsa_system_sgpr_workgroup_id_y 0
		.amdhsa_system_sgpr_workgroup_id_z 1
		.amdhsa_system_sgpr_workgroup_info 0
		.amdhsa_system_vgpr_workitem_id 0
		.amdhsa_next_free_vgpr 9
		.amdhsa_next_free_sgpr 24
		.amdhsa_accum_offset 12
		.amdhsa_reserve_vcc 1
		.amdhsa_reserve_flat_scratch 0
		.amdhsa_float_round_mode_32 0
		.amdhsa_float_round_mode_16_64 0
		.amdhsa_float_denorm_mode_32 3
		.amdhsa_float_denorm_mode_16_64 3
		.amdhsa_dx10_clamp 1
		.amdhsa_ieee_mode 1
		.amdhsa_fp16_overflow 0
		.amdhsa_tg_split 0
		.amdhsa_exception_fp_ieee_invalid_op 0
		.amdhsa_exception_fp_denorm_src 0
		.amdhsa_exception_fp_ieee_div_zero 0
		.amdhsa_exception_fp_ieee_overflow 0
		.amdhsa_exception_fp_ieee_underflow 0
		.amdhsa_exception_fp_ieee_inexact 0
		.amdhsa_exception_int_div_zero 0
	.end_amdhsa_kernel
	.section	.text._ZL24rocblas_dot_kernel_magsqIiLb0ELi512ELi4ELb1EfPKPKDF16_fEviT5_lT_liPT6_PT4_,"axG",@progbits,_ZL24rocblas_dot_kernel_magsqIiLb0ELi512ELi4ELb1EfPKPKDF16_fEviT5_lT_liPT6_PT4_,comdat
.Lfunc_end489:
	.size	_ZL24rocblas_dot_kernel_magsqIiLb0ELi512ELi4ELb1EfPKPKDF16_fEviT5_lT_liPT6_PT4_, .Lfunc_end489-_ZL24rocblas_dot_kernel_magsqIiLb0ELi512ELi4ELb1EfPKPKDF16_fEviT5_lT_liPT6_PT4_
                                        ; -- End function
	.section	.AMDGPU.csdata,"",@progbits
; Kernel info:
; codeLenInByte = 852
; NumSgprs: 28
; NumVgprs: 9
; NumAgprs: 0
; TotalNumVgprs: 9
; ScratchSize: 0
; MemoryBound: 0
; FloatMode: 240
; IeeeMode: 1
; LDSByteSize: 256 bytes/workgroup (compile time only)
; SGPRBlocks: 3
; VGPRBlocks: 1
; NumSGPRsForWavesPerEU: 28
; NumVGPRsForWavesPerEU: 9
; AccumOffset: 12
; Occupancy: 8
; WaveLimiterHint : 0
; COMPUTE_PGM_RSRC2:SCRATCH_EN: 0
; COMPUTE_PGM_RSRC2:USER_SGPR: 6
; COMPUTE_PGM_RSRC2:TRAP_HANDLER: 0
; COMPUTE_PGM_RSRC2:TGID_X_EN: 1
; COMPUTE_PGM_RSRC2:TGID_Y_EN: 0
; COMPUTE_PGM_RSRC2:TGID_Z_EN: 1
; COMPUTE_PGM_RSRC2:TIDIG_COMP_CNT: 0
; COMPUTE_PGM_RSRC3_GFX90A:ACCUM_OFFSET: 2
; COMPUTE_PGM_RSRC3_GFX90A:TG_SPLIT: 0
	.section	.text._ZL28rocblas_dot_batched_4_kernelIlLi32ELi4ELb1EfDF16_PKPKDF16_EviT5_lT_lS4_lS5_liPT4_,"axG",@progbits,_ZL28rocblas_dot_batched_4_kernelIlLi32ELi4ELb1EfDF16_PKPKDF16_EviT5_lT_lS4_lS5_liPT4_,comdat
	.globl	_ZL28rocblas_dot_batched_4_kernelIlLi32ELi4ELb1EfDF16_PKPKDF16_EviT5_lT_lS4_lS5_liPT4_ ; -- Begin function _ZL28rocblas_dot_batched_4_kernelIlLi32ELi4ELb1EfDF16_PKPKDF16_EviT5_lT_lS4_lS5_liPT4_
	.p2align	8
	.type	_ZL28rocblas_dot_batched_4_kernelIlLi32ELi4ELb1EfDF16_PKPKDF16_EviT5_lT_lS4_lS5_liPT4_,@function
_ZL28rocblas_dot_batched_4_kernelIlLi32ELi4ELb1EfDF16_PKPKDF16_EviT5_lT_lS4_lS5_liPT4_: ; @_ZL28rocblas_dot_batched_4_kernelIlLi32ELi4ELb1EfDF16_PKPKDF16_EviT5_lT_lS4_lS5_liPT4_
; %bb.0:
	s_load_dword s0, s[4:5], 0x48
	v_bfe_u32 v1, v0, 10, 10
	v_lshl_add_u32 v2, s6, 2, v1
	s_waitcnt lgkmcnt(0)
	v_cmp_gt_u32_e32 vcc, s0, v2
	s_and_saveexec_b64 s[0:1], vcc
	s_cbranch_execz .LBB490_7
; %bb.1:
	s_load_dword s14, s[4:5], 0x0
	s_load_dwordx2 s[8:9], s[4:5], 0x50
	v_mov_b32_e32 v3, 0
	v_and_b32_e32 v6, 0x3ff, v0
	v_mov_b32_e32 v7, v3
	s_waitcnt lgkmcnt(0)
	v_cmp_gt_i32_e32 vcc, s14, v6
	s_and_saveexec_b64 s[10:11], vcc
	s_cbranch_execz .LBB490_5
; %bb.2:
	s_load_dwordx2 s[6:7], s[4:5], 0x8
	s_load_dwordx2 s[12:13], s[4:5], 0x28
	v_lshlrev_b64 v[0:1], 3, v[2:3]
	s_load_dwordx4 s[0:3], s[4:5], 0x10
	s_waitcnt lgkmcnt(0)
	v_mov_b32_e32 v5, s7
	v_add_co_u32_e32 v4, vcc, s6, v0
	v_addc_co_u32_e32 v5, vcc, v5, v1, vcc
	global_load_dwordx2 v[4:5], v[4:5], off
	v_mov_b32_e32 v7, s13
	v_add_co_u32_e32 v0, vcc, s12, v0
	v_addc_co_u32_e32 v1, vcc, v7, v1, vcc
	global_load_dwordx2 v[10:11], v[0:1], off
	s_load_dwordx4 s[4:7], s[4:5], 0x30
	v_mad_u64_u32 v[0:1], s[16:17], s2, v6, 0
	v_mov_b32_e32 v14, v1
	s_lshl_b64 s[16:17], s[0:1], 1
	s_lshl_b64 s[0:1], s[2:3], 6
	s_waitcnt lgkmcnt(0)
	v_mad_u64_u32 v[12:13], s[18:19], s6, v6, 0
	v_mad_u64_u32 v[14:15], s[2:3], s3, v6, v[14:15]
	v_mov_b32_e32 v16, v13
	v_mov_b32_e32 v1, v14
	v_mad_u64_u32 v[16:17], s[2:3], s7, v6, v[16:17]
	v_lshlrev_b64 v[0:1], 1, v[0:1]
	v_mov_b32_e32 v18, s17
	v_mov_b32_e32 v13, v16
	v_add_co_u32_e32 v0, vcc, s16, v0
	s_lshl_b64 s[18:19], s[4:5], 1
	v_lshlrev_b64 v[12:13], 1, v[12:13]
	v_addc_co_u32_e32 v1, vcc, v1, v18, vcc
	v_mov_b32_e32 v19, s19
	v_add_co_u32_e32 v12, vcc, s18, v12
	v_addc_co_u32_e32 v13, vcc, v13, v19, vcc
	s_lshl_b64 s[4:5], s[6:7], 6
	s_mov_b64 s[12:13], 0
	v_mov_b32_e32 v7, 0
	v_mov_b32_e32 v8, s1
	v_mov_b32_e32 v9, s5
	s_waitcnt vmcnt(1)
	v_add_co_u32_e32 v0, vcc, v4, v0
	v_addc_co_u32_e32 v1, vcc, v5, v1, vcc
	s_waitcnt vmcnt(0)
	v_add_co_u32_e32 v4, vcc, v10, v12
	v_addc_co_u32_e32 v5, vcc, v11, v13, vcc
	v_mov_b32_e32 v10, v6
.LBB490_3:                              ; =>This Inner Loop Header: Depth=1
	global_load_ushort v11, v[0:1], off
	global_load_ushort v12, v[4:5], off
	v_add_co_u32_e32 v0, vcc, s0, v0
	v_addc_co_u32_e32 v1, vcc, v1, v8, vcc
	v_add_co_u32_e32 v4, vcc, s4, v4
	v_add_u32_e32 v10, 32, v10
	v_addc_co_u32_e32 v5, vcc, v5, v9, vcc
	v_cmp_le_i32_e32 vcc, s14, v10
	s_or_b64 s[12:13], vcc, s[12:13]
	s_waitcnt vmcnt(0)
	v_fma_mix_f32 v7, v11, v12, v7 op_sel_hi:[1,1,0]
	s_andn2_b64 exec, exec, s[12:13]
	s_cbranch_execnz .LBB490_3
; %bb.4:
	s_or_b64 exec, exec, s[12:13]
.LBB490_5:
	s_or_b64 exec, exec, s[10:11]
	v_mbcnt_lo_u32_b32 v0, -1, 0
	v_mbcnt_hi_u32_b32 v0, -1, v0
	v_and_b32_e32 v1, 63, v0
	v_cmp_gt_u32_e32 vcc, 48, v1
	v_cndmask_b32_e64 v4, 0, 1, vcc
	v_lshlrev_b32_e32 v4, 4, v4
	v_add_lshl_u32 v4, v4, v0, 2
	ds_bpermute_b32 v4, v4, v7
	v_cmp_gt_u32_e32 vcc, 56, v1
	v_cndmask_b32_e64 v5, 0, 1, vcc
	v_lshlrev_b32_e32 v5, 3, v5
	v_add_lshl_u32 v5, v5, v0, 2
	s_waitcnt lgkmcnt(0)
	v_add_f32_e32 v4, v7, v4
	ds_bpermute_b32 v5, v5, v4
	v_cmp_gt_u32_e32 vcc, 60, v1
	v_cndmask_b32_e64 v7, 0, 1, vcc
	v_lshlrev_b32_e32 v7, 2, v7
	v_cmp_gt_u32_e32 vcc, 62, v1
	s_waitcnt lgkmcnt(0)
	v_add_f32_e32 v4, v4, v5
	v_add_lshl_u32 v5, v7, v0, 2
	ds_bpermute_b32 v5, v5, v4
	v_cndmask_b32_e64 v7, 0, 1, vcc
	v_lshlrev_b32_e32 v7, 1, v7
	v_cmp_ne_u32_e32 vcc, 63, v1
	v_addc_co_u32_e32 v1, vcc, 0, v0, vcc
	s_waitcnt lgkmcnt(0)
	v_add_f32_e32 v4, v4, v5
	v_add_lshl_u32 v5, v7, v0, 2
	ds_bpermute_b32 v5, v5, v4
	v_lshlrev_b32_e32 v1, 2, v1
	v_cmp_eq_u32_e32 vcc, 0, v6
	s_waitcnt lgkmcnt(0)
	s_barrier
	v_add_f32_e32 v0, v4, v5
	ds_bpermute_b32 v1, v1, v0
	s_waitcnt lgkmcnt(0)
	s_and_b64 exec, exec, vcc
	s_cbranch_execz .LBB490_7
; %bb.6:
	v_add_f32_e32 v0, v0, v1
	v_cvt_f16_f32_e32 v5, v0
	v_lshlrev_b64 v[2:3], 1, v[2:3]
	v_mov_b32_e32 v4, s9
	v_add_co_u32_e32 v0, vcc, s8, v2
	v_addc_co_u32_e32 v1, vcc, v4, v3, vcc
	global_store_short v[0:1], v5, off
.LBB490_7:
	s_endpgm
	.section	.rodata,"a",@progbits
	.p2align	6, 0x0
	.amdhsa_kernel _ZL28rocblas_dot_batched_4_kernelIlLi32ELi4ELb1EfDF16_PKPKDF16_EviT5_lT_lS4_lS5_liPT4_
		.amdhsa_group_segment_fixed_size 0
		.amdhsa_private_segment_fixed_size 0
		.amdhsa_kernarg_size 88
		.amdhsa_user_sgpr_count 6
		.amdhsa_user_sgpr_private_segment_buffer 1
		.amdhsa_user_sgpr_dispatch_ptr 0
		.amdhsa_user_sgpr_queue_ptr 0
		.amdhsa_user_sgpr_kernarg_segment_ptr 1
		.amdhsa_user_sgpr_dispatch_id 0
		.amdhsa_user_sgpr_flat_scratch_init 0
		.amdhsa_user_sgpr_kernarg_preload_length 0
		.amdhsa_user_sgpr_kernarg_preload_offset 0
		.amdhsa_user_sgpr_private_segment_size 0
		.amdhsa_uses_dynamic_stack 0
		.amdhsa_system_sgpr_private_segment_wavefront_offset 0
		.amdhsa_system_sgpr_workgroup_id_x 1
		.amdhsa_system_sgpr_workgroup_id_y 0
		.amdhsa_system_sgpr_workgroup_id_z 0
		.amdhsa_system_sgpr_workgroup_info 0
		.amdhsa_system_vgpr_workitem_id 1
		.amdhsa_next_free_vgpr 20
		.amdhsa_next_free_sgpr 20
		.amdhsa_accum_offset 20
		.amdhsa_reserve_vcc 1
		.amdhsa_reserve_flat_scratch 0
		.amdhsa_float_round_mode_32 0
		.amdhsa_float_round_mode_16_64 0
		.amdhsa_float_denorm_mode_32 3
		.amdhsa_float_denorm_mode_16_64 3
		.amdhsa_dx10_clamp 1
		.amdhsa_ieee_mode 1
		.amdhsa_fp16_overflow 0
		.amdhsa_tg_split 0
		.amdhsa_exception_fp_ieee_invalid_op 0
		.amdhsa_exception_fp_denorm_src 0
		.amdhsa_exception_fp_ieee_div_zero 0
		.amdhsa_exception_fp_ieee_overflow 0
		.amdhsa_exception_fp_ieee_underflow 0
		.amdhsa_exception_fp_ieee_inexact 0
		.amdhsa_exception_int_div_zero 0
	.end_amdhsa_kernel
	.section	.text._ZL28rocblas_dot_batched_4_kernelIlLi32ELi4ELb1EfDF16_PKPKDF16_EviT5_lT_lS4_lS5_liPT4_,"axG",@progbits,_ZL28rocblas_dot_batched_4_kernelIlLi32ELi4ELb1EfDF16_PKPKDF16_EviT5_lT_lS4_lS5_liPT4_,comdat
.Lfunc_end490:
	.size	_ZL28rocblas_dot_batched_4_kernelIlLi32ELi4ELb1EfDF16_PKPKDF16_EviT5_lT_lS4_lS5_liPT4_, .Lfunc_end490-_ZL28rocblas_dot_batched_4_kernelIlLi32ELi4ELb1EfDF16_PKPKDF16_EviT5_lT_lS4_lS5_liPT4_
                                        ; -- End function
	.section	.AMDGPU.csdata,"",@progbits
; Kernel info:
; codeLenInByte = 656
; NumSgprs: 24
; NumVgprs: 20
; NumAgprs: 0
; TotalNumVgprs: 20
; ScratchSize: 0
; MemoryBound: 0
; FloatMode: 240
; IeeeMode: 1
; LDSByteSize: 0 bytes/workgroup (compile time only)
; SGPRBlocks: 2
; VGPRBlocks: 2
; NumSGPRsForWavesPerEU: 24
; NumVGPRsForWavesPerEU: 20
; AccumOffset: 20
; Occupancy: 8
; WaveLimiterHint : 0
; COMPUTE_PGM_RSRC2:SCRATCH_EN: 0
; COMPUTE_PGM_RSRC2:USER_SGPR: 6
; COMPUTE_PGM_RSRC2:TRAP_HANDLER: 0
; COMPUTE_PGM_RSRC2:TGID_X_EN: 1
; COMPUTE_PGM_RSRC2:TGID_Y_EN: 0
; COMPUTE_PGM_RSRC2:TGID_Z_EN: 0
; COMPUTE_PGM_RSRC2:TIDIG_COMP_CNT: 1
; COMPUTE_PGM_RSRC3_GFX90A:ACCUM_OFFSET: 4
; COMPUTE_PGM_RSRC3_GFX90A:TG_SPLIT: 0
	.section	.text._ZL28rocblas_dot_batched_4_kernelIlLi64ELi4ELb1EfDF16_PKPKDF16_EviT5_lT_lS4_lS5_liPT4_,"axG",@progbits,_ZL28rocblas_dot_batched_4_kernelIlLi64ELi4ELb1EfDF16_PKPKDF16_EviT5_lT_lS4_lS5_liPT4_,comdat
	.globl	_ZL28rocblas_dot_batched_4_kernelIlLi64ELi4ELb1EfDF16_PKPKDF16_EviT5_lT_lS4_lS5_liPT4_ ; -- Begin function _ZL28rocblas_dot_batched_4_kernelIlLi64ELi4ELb1EfDF16_PKPKDF16_EviT5_lT_lS4_lS5_liPT4_
	.p2align	8
	.type	_ZL28rocblas_dot_batched_4_kernelIlLi64ELi4ELb1EfDF16_PKPKDF16_EviT5_lT_lS4_lS5_liPT4_,@function
_ZL28rocblas_dot_batched_4_kernelIlLi64ELi4ELb1EfDF16_PKPKDF16_EviT5_lT_lS4_lS5_liPT4_: ; @_ZL28rocblas_dot_batched_4_kernelIlLi64ELi4ELb1EfDF16_PKPKDF16_EviT5_lT_lS4_lS5_liPT4_
; %bb.0:
	s_load_dword s0, s[4:5], 0x48
	v_bfe_u32 v1, v0, 10, 10
	v_lshl_add_u32 v2, s6, 2, v1
	s_waitcnt lgkmcnt(0)
	v_cmp_gt_u32_e32 vcc, s0, v2
	s_and_saveexec_b64 s[0:1], vcc
	s_cbranch_execz .LBB491_7
; %bb.1:
	s_load_dword s14, s[4:5], 0x0
	s_load_dwordx2 s[8:9], s[4:5], 0x50
	v_mov_b32_e32 v3, 0
	v_and_b32_e32 v6, 0x3ff, v0
	v_mov_b32_e32 v7, v3
	s_waitcnt lgkmcnt(0)
	v_cmp_gt_i32_e32 vcc, s14, v6
	s_and_saveexec_b64 s[10:11], vcc
	s_cbranch_execz .LBB491_5
; %bb.2:
	s_load_dwordx2 s[6:7], s[4:5], 0x8
	s_load_dwordx2 s[12:13], s[4:5], 0x28
	v_lshlrev_b64 v[0:1], 3, v[2:3]
	s_load_dwordx4 s[0:3], s[4:5], 0x10
	s_waitcnt lgkmcnt(0)
	v_mov_b32_e32 v5, s7
	v_add_co_u32_e32 v4, vcc, s6, v0
	v_addc_co_u32_e32 v5, vcc, v5, v1, vcc
	global_load_dwordx2 v[4:5], v[4:5], off
	v_mov_b32_e32 v7, s13
	v_add_co_u32_e32 v0, vcc, s12, v0
	v_addc_co_u32_e32 v1, vcc, v7, v1, vcc
	global_load_dwordx2 v[10:11], v[0:1], off
	s_load_dwordx4 s[4:7], s[4:5], 0x30
	v_mad_u64_u32 v[0:1], s[16:17], s2, v6, 0
	v_mov_b32_e32 v14, v1
	s_lshl_b64 s[16:17], s[0:1], 1
	s_lshl_b64 s[0:1], s[2:3], 7
	s_waitcnt lgkmcnt(0)
	v_mad_u64_u32 v[12:13], s[18:19], s6, v6, 0
	v_mad_u64_u32 v[14:15], s[2:3], s3, v6, v[14:15]
	v_mov_b32_e32 v16, v13
	v_mov_b32_e32 v1, v14
	v_mad_u64_u32 v[16:17], s[2:3], s7, v6, v[16:17]
	v_lshlrev_b64 v[0:1], 1, v[0:1]
	v_mov_b32_e32 v18, s17
	v_mov_b32_e32 v13, v16
	v_add_co_u32_e32 v0, vcc, s16, v0
	s_lshl_b64 s[18:19], s[4:5], 1
	v_lshlrev_b64 v[12:13], 1, v[12:13]
	v_addc_co_u32_e32 v1, vcc, v1, v18, vcc
	v_mov_b32_e32 v19, s19
	v_add_co_u32_e32 v12, vcc, s18, v12
	v_addc_co_u32_e32 v13, vcc, v13, v19, vcc
	s_lshl_b64 s[4:5], s[6:7], 7
	s_mov_b64 s[12:13], 0
	v_mov_b32_e32 v7, 0
	v_mov_b32_e32 v8, s1
	;; [unrolled: 1-line block ×3, first 2 shown]
	s_waitcnt vmcnt(1)
	v_add_co_u32_e32 v0, vcc, v4, v0
	v_addc_co_u32_e32 v1, vcc, v5, v1, vcc
	s_waitcnt vmcnt(0)
	v_add_co_u32_e32 v4, vcc, v10, v12
	v_addc_co_u32_e32 v5, vcc, v11, v13, vcc
	v_mov_b32_e32 v10, v6
.LBB491_3:                              ; =>This Inner Loop Header: Depth=1
	global_load_ushort v11, v[0:1], off
	global_load_ushort v12, v[4:5], off
	v_add_co_u32_e32 v0, vcc, s0, v0
	v_addc_co_u32_e32 v1, vcc, v1, v8, vcc
	v_add_co_u32_e32 v4, vcc, s4, v4
	v_add_u32_e32 v10, 64, v10
	v_addc_co_u32_e32 v5, vcc, v5, v9, vcc
	v_cmp_le_i32_e32 vcc, s14, v10
	s_or_b64 s[12:13], vcc, s[12:13]
	s_waitcnt vmcnt(0)
	v_fma_mix_f32 v7, v11, v12, v7 op_sel_hi:[1,1,0]
	s_andn2_b64 exec, exec, s[12:13]
	s_cbranch_execnz .LBB491_3
; %bb.4:
	s_or_b64 exec, exec, s[12:13]
.LBB491_5:
	s_or_b64 exec, exec, s[10:11]
	v_mbcnt_lo_u32_b32 v0, -1, 0
	v_mbcnt_hi_u32_b32 v0, -1, v0
	v_and_b32_e32 v1, 63, v0
	v_cmp_gt_u32_e32 vcc, 32, v1
	v_cndmask_b32_e64 v4, 0, 1, vcc
	v_lshlrev_b32_e32 v4, 5, v4
	v_add_lshl_u32 v4, v4, v0, 2
	ds_bpermute_b32 v4, v4, v7
	v_cmp_gt_u32_e32 vcc, 48, v1
	v_cndmask_b32_e64 v5, 0, 1, vcc
	v_lshlrev_b32_e32 v5, 4, v5
	v_add_lshl_u32 v5, v5, v0, 2
	s_waitcnt lgkmcnt(0)
	v_add_f32_e32 v4, v7, v4
	ds_bpermute_b32 v5, v5, v4
	v_cmp_gt_u32_e32 vcc, 56, v1
	v_cndmask_b32_e64 v7, 0, 1, vcc
	v_lshlrev_b32_e32 v7, 3, v7
	v_cmp_gt_u32_e32 vcc, 60, v1
	s_waitcnt lgkmcnt(0)
	v_add_f32_e32 v4, v4, v5
	v_add_lshl_u32 v5, v7, v0, 2
	ds_bpermute_b32 v5, v5, v4
	v_cndmask_b32_e64 v7, 0, 1, vcc
	v_lshlrev_b32_e32 v7, 2, v7
	v_cmp_gt_u32_e32 vcc, 62, v1
	s_waitcnt lgkmcnt(0)
	v_add_f32_e32 v4, v4, v5
	v_add_lshl_u32 v5, v7, v0, 2
	ds_bpermute_b32 v5, v5, v4
	v_cndmask_b32_e64 v7, 0, 1, vcc
	v_lshlrev_b32_e32 v7, 1, v7
	v_cmp_ne_u32_e32 vcc, 63, v1
	v_addc_co_u32_e32 v1, vcc, 0, v0, vcc
	s_waitcnt lgkmcnt(0)
	v_add_f32_e32 v4, v4, v5
	v_add_lshl_u32 v5, v7, v0, 2
	ds_bpermute_b32 v5, v5, v4
	v_lshlrev_b32_e32 v1, 2, v1
	v_cmp_eq_u32_e32 vcc, 0, v6
	s_barrier
	s_waitcnt lgkmcnt(0)
	v_add_f32_e32 v0, v4, v5
	ds_bpermute_b32 v1, v1, v0
	s_and_b64 exec, exec, vcc
	s_cbranch_execz .LBB491_7
; %bb.6:
	s_waitcnt lgkmcnt(0)
	v_add_f32_e32 v0, v0, v1
	v_cvt_f16_f32_e32 v5, v0
	v_lshlrev_b64 v[2:3], 1, v[2:3]
	v_mov_b32_e32 v4, s9
	v_add_co_u32_e32 v0, vcc, s8, v2
	v_addc_co_u32_e32 v1, vcc, v4, v3, vcc
	global_store_short v[0:1], v5, off
.LBB491_7:
	s_endpgm
	.section	.rodata,"a",@progbits
	.p2align	6, 0x0
	.amdhsa_kernel _ZL28rocblas_dot_batched_4_kernelIlLi64ELi4ELb1EfDF16_PKPKDF16_EviT5_lT_lS4_lS5_liPT4_
		.amdhsa_group_segment_fixed_size 0
		.amdhsa_private_segment_fixed_size 0
		.amdhsa_kernarg_size 88
		.amdhsa_user_sgpr_count 6
		.amdhsa_user_sgpr_private_segment_buffer 1
		.amdhsa_user_sgpr_dispatch_ptr 0
		.amdhsa_user_sgpr_queue_ptr 0
		.amdhsa_user_sgpr_kernarg_segment_ptr 1
		.amdhsa_user_sgpr_dispatch_id 0
		.amdhsa_user_sgpr_flat_scratch_init 0
		.amdhsa_user_sgpr_kernarg_preload_length 0
		.amdhsa_user_sgpr_kernarg_preload_offset 0
		.amdhsa_user_sgpr_private_segment_size 0
		.amdhsa_uses_dynamic_stack 0
		.amdhsa_system_sgpr_private_segment_wavefront_offset 0
		.amdhsa_system_sgpr_workgroup_id_x 1
		.amdhsa_system_sgpr_workgroup_id_y 0
		.amdhsa_system_sgpr_workgroup_id_z 0
		.amdhsa_system_sgpr_workgroup_info 0
		.amdhsa_system_vgpr_workitem_id 1
		.amdhsa_next_free_vgpr 20
		.amdhsa_next_free_sgpr 20
		.amdhsa_accum_offset 20
		.amdhsa_reserve_vcc 1
		.amdhsa_reserve_flat_scratch 0
		.amdhsa_float_round_mode_32 0
		.amdhsa_float_round_mode_16_64 0
		.amdhsa_float_denorm_mode_32 3
		.amdhsa_float_denorm_mode_16_64 3
		.amdhsa_dx10_clamp 1
		.amdhsa_ieee_mode 1
		.amdhsa_fp16_overflow 0
		.amdhsa_tg_split 0
		.amdhsa_exception_fp_ieee_invalid_op 0
		.amdhsa_exception_fp_denorm_src 0
		.amdhsa_exception_fp_ieee_div_zero 0
		.amdhsa_exception_fp_ieee_overflow 0
		.amdhsa_exception_fp_ieee_underflow 0
		.amdhsa_exception_fp_ieee_inexact 0
		.amdhsa_exception_int_div_zero 0
	.end_amdhsa_kernel
	.section	.text._ZL28rocblas_dot_batched_4_kernelIlLi64ELi4ELb1EfDF16_PKPKDF16_EviT5_lT_lS4_lS5_liPT4_,"axG",@progbits,_ZL28rocblas_dot_batched_4_kernelIlLi64ELi4ELb1EfDF16_PKPKDF16_EviT5_lT_lS4_lS5_liPT4_,comdat
.Lfunc_end491:
	.size	_ZL28rocblas_dot_batched_4_kernelIlLi64ELi4ELb1EfDF16_PKPKDF16_EviT5_lT_lS4_lS5_liPT4_, .Lfunc_end491-_ZL28rocblas_dot_batched_4_kernelIlLi64ELi4ELb1EfDF16_PKPKDF16_EviT5_lT_lS4_lS5_liPT4_
                                        ; -- End function
	.section	.AMDGPU.csdata,"",@progbits
; Kernel info:
; codeLenInByte = 696
; NumSgprs: 24
; NumVgprs: 20
; NumAgprs: 0
; TotalNumVgprs: 20
; ScratchSize: 0
; MemoryBound: 0
; FloatMode: 240
; IeeeMode: 1
; LDSByteSize: 0 bytes/workgroup (compile time only)
; SGPRBlocks: 2
; VGPRBlocks: 2
; NumSGPRsForWavesPerEU: 24
; NumVGPRsForWavesPerEU: 20
; AccumOffset: 20
; Occupancy: 8
; WaveLimiterHint : 0
; COMPUTE_PGM_RSRC2:SCRATCH_EN: 0
; COMPUTE_PGM_RSRC2:USER_SGPR: 6
; COMPUTE_PGM_RSRC2:TRAP_HANDLER: 0
; COMPUTE_PGM_RSRC2:TGID_X_EN: 1
; COMPUTE_PGM_RSRC2:TGID_Y_EN: 0
; COMPUTE_PGM_RSRC2:TGID_Z_EN: 0
; COMPUTE_PGM_RSRC2:TIDIG_COMP_CNT: 1
; COMPUTE_PGM_RSRC3_GFX90A:ACCUM_OFFSET: 4
; COMPUTE_PGM_RSRC3_GFX90A:TG_SPLIT: 0
	.section	.text._ZL18rocblas_dot_kernelIlLb1ELi1024ELi32ELb1EDF16_PKPKDF16_fEviT5_lT_lS4_lS5_liPT6_PT4_,"axG",@progbits,_ZL18rocblas_dot_kernelIlLb1ELi1024ELi32ELb1EDF16_PKPKDF16_fEviT5_lT_lS4_lS5_liPT6_PT4_,comdat
	.globl	_ZL18rocblas_dot_kernelIlLb1ELi1024ELi32ELb1EDF16_PKPKDF16_fEviT5_lT_lS4_lS5_liPT6_PT4_ ; -- Begin function _ZL18rocblas_dot_kernelIlLb1ELi1024ELi32ELb1EDF16_PKPKDF16_fEviT5_lT_lS4_lS5_liPT6_PT4_
	.p2align	8
	.type	_ZL18rocblas_dot_kernelIlLb1ELi1024ELi32ELb1EDF16_PKPKDF16_fEviT5_lT_lS4_lS5_liPT6_PT4_,@function
_ZL18rocblas_dot_kernelIlLb1ELi1024ELi32ELb1EDF16_PKPKDF16_fEviT5_lT_lS4_lS5_liPT6_PT4_: ; @_ZL18rocblas_dot_kernelIlLb1ELi1024ELi32ELb1EDF16_PKPKDF16_fEviT5_lT_lS4_lS5_liPT6_PT4_
; %bb.0:
	s_load_dword s16, s[4:5], 0x0
	s_load_dwordx2 s[12:13], s[4:5], 0x58
	s_mov_b32 s6, s7
	s_mov_b32 s7, 0
	v_mov_b32_e32 v6, 0
	s_waitcnt lgkmcnt(0)
	v_cmp_gt_i32_e32 vcc, s16, v0
	s_and_saveexec_b64 s[14:15], vcc
	s_cbranch_execz .LBB492_4
; %bb.1:
	s_load_dwordx2 s[18:19], s[4:5], 0x8
	s_load_dwordx4 s[8:11], s[4:5], 0x10
	s_load_dwordx2 s[20:21], s[4:5], 0x28
	s_load_dwordx4 s[0:3], s[4:5], 0x30
	s_lshl_b64 s[22:23], s[6:7], 3
	s_waitcnt lgkmcnt(0)
	s_add_u32 s18, s18, s22
	s_addc_u32 s19, s19, s23
	s_load_dword s17, s[4:5], 0x60
	s_load_dwordx2 s[24:25], s[18:19], 0x0
	s_add_u32 s4, s20, s22
	s_addc_u32 s5, s21, s23
	s_load_dwordx2 s[18:19], s[4:5], 0x0
	v_mad_u64_u32 v[2:3], s[4:5], s10, v0, 0
	v_mov_b32_e32 v4, v3
	v_mad_u64_u32 v[4:5], s[4:5], s11, v0, v[4:5]
	s_waitcnt lgkmcnt(0)
	s_lshl_b32 s17, s17, 10
	s_lshl_b64 s[4:5], s[8:9], 1
	v_mov_b32_e32 v3, v4
	s_add_u32 s4, s24, s4
	v_lshlrev_b64 v[2:3], 1, v[2:3]
	s_addc_u32 s5, s25, s5
	s_ashr_i32 s20, s17, 31
	v_mov_b32_e32 v4, s5
	v_add_co_u32_e32 v2, vcc, s4, v2
	s_mul_i32 s4, s10, s20
	s_mul_hi_u32 s5, s10, s17
	v_addc_co_u32_e32 v3, vcc, v4, v3, vcc
	s_add_i32 s4, s5, s4
	s_mul_i32 s5, s11, s17
	v_mad_u64_u32 v[4:5], s[8:9], s2, v0, 0
	s_add_i32 s5, s4, s5
	s_mul_i32 s4, s10, s17
	v_mov_b32_e32 v6, v5
	s_lshl_b64 s[4:5], s[4:5], 1
	v_mad_u64_u32 v[6:7], s[8:9], s3, v0, v[6:7]
	s_lshl_b64 s[0:1], s[0:1], 1
	v_mov_b32_e32 v5, v6
	s_add_u32 s0, s18, s0
	v_lshlrev_b64 v[4:5], 1, v[4:5]
	s_addc_u32 s1, s19, s1
	v_mov_b32_e32 v6, s1
	v_add_co_u32_e32 v4, vcc, s0, v4
	s_mul_i32 s0, s2, s20
	s_mul_hi_u32 s1, s2, s17
	s_add_i32 s0, s1, s0
	s_mul_i32 s1, s3, s17
	s_add_i32 s1, s0, s1
	s_mul_i32 s0, s2, s17
	s_lshl_b64 s[8:9], s[0:1], 1
	v_or_b32_e32 v1, s17, v0
	v_addc_co_u32_e32 v5, vcc, v6, v5, vcc
	s_mov_b64 s[2:3], 0
	v_mov_b32_e32 v6, 0
	v_mov_b32_e32 v7, s5
	;; [unrolled: 1-line block ×3, first 2 shown]
	s_mov_b32 s5, s7
.LBB492_2:                              ; =>This Inner Loop Header: Depth=1
	global_load_ushort v9, v[4:5], off
	global_load_ushort v10, v[2:3], off
	v_add_co_u32_e64 v2, s[0:1], s4, v2
	v_addc_co_u32_e64 v3, s[0:1], v3, v7, s[0:1]
	s_add_i32 s9, s5, 1
	v_add_co_u32_e64 v4, s[0:1], s8, v4
	v_addc_co_u32_e64 v5, s[0:1], v5, v8, s[0:1]
	s_cmp_gt_u32 s5, 30
	v_cmp_le_i32_e32 vcc, s16, v1
	s_cselect_b64 s[0:1], -1, 0
	s_or_b64 s[0:1], s[0:1], vcc
	s_and_b64 s[0:1], exec, s[0:1]
	v_add_u32_e32 v1, s17, v1
	s_mov_b32 s5, s9
	s_or_b64 s[2:3], s[0:1], s[2:3]
	s_waitcnt vmcnt(0)
	v_fma_mix_f32 v6, v9, v10, v6 op_sel_hi:[1,1,0]
	s_andn2_b64 exec, exec, s[2:3]
	s_cbranch_execnz .LBB492_2
; %bb.3:
	s_or_b64 exec, exec, s[2:3]
.LBB492_4:
	s_or_b64 exec, exec, s[14:15]
	v_and_b32_e32 v2, 63, v0
	v_cmp_gt_u32_e32 vcc, 64, v0
	v_lshlrev_b32_e32 v1, 2, v2
	s_and_saveexec_b64 s[0:1], vcc
	s_cbranch_execz .LBB492_6
; %bb.5:
	v_mov_b32_e32 v3, 0
	ds_write_b32 v1, v3
.LBB492_6:
	s_or_b64 exec, exec, s[0:1]
	v_mbcnt_lo_u32_b32 v3, -1, 0
	v_mbcnt_hi_u32_b32 v7, -1, v3
	v_and_b32_e32 v8, 63, v7
	v_cmp_gt_u32_e64 s[0:1], 32, v8
	v_cndmask_b32_e64 v3, 0, 1, s[0:1]
	v_lshlrev_b32_e32 v3, 5, v3
	v_add_lshl_u32 v3, v3, v7, 2
	ds_bpermute_b32 v3, v3, v6
	v_cmp_gt_u32_e64 s[0:1], 48, v8
	v_cndmask_b32_e64 v4, 0, 1, s[0:1]
	v_lshlrev_b32_e32 v4, 4, v4
	v_add_lshl_u32 v4, v4, v7, 2
	s_waitcnt lgkmcnt(0)
	v_add_f32_e32 v3, v6, v3
	ds_bpermute_b32 v4, v4, v3
	v_cmp_gt_u32_e64 s[0:1], 56, v8
	v_cndmask_b32_e64 v5, 0, 1, s[0:1]
	v_lshlrev_b32_e32 v5, 3, v5
	v_cmp_gt_u32_e64 s[0:1], 60, v8
	s_waitcnt lgkmcnt(0)
	v_add_f32_e32 v4, v3, v4
	v_add_lshl_u32 v3, v5, v7, 2
	ds_bpermute_b32 v5, v3, v4
	v_cndmask_b32_e64 v6, 0, 1, s[0:1]
	v_lshlrev_b32_e32 v6, 2, v6
	v_cmp_gt_u32_e64 s[0:1], 62, v8
	v_cndmask_b32_e64 v9, 0, 1, s[0:1]
	s_waitcnt lgkmcnt(0)
	v_add_f32_e32 v5, v4, v5
	v_add_lshl_u32 v4, v6, v7, 2
	ds_bpermute_b32 v6, v4, v5
	v_lshlrev_b32_e32 v9, 1, v9
	v_cmp_ne_u32_e64 s[0:1], 63, v8
	v_addc_co_u32_e64 v8, s[0:1], 0, v7, s[0:1]
	s_waitcnt lgkmcnt(0)
	v_add_f32_e32 v6, v5, v6
	v_add_lshl_u32 v5, v9, v7, 2
	ds_bpermute_b32 v9, v5, v6
	v_cmp_eq_u32_e64 s[0:1], 0, v2
	s_waitcnt lgkmcnt(0)
	s_barrier
	v_add_f32_e32 v7, v6, v9
	v_lshlrev_b32_e32 v6, 2, v8
	ds_bpermute_b32 v8, v6, v7
	s_and_saveexec_b64 s[2:3], s[0:1]
	s_cbranch_execz .LBB492_8
; %bb.7:
	s_waitcnt lgkmcnt(0)
	v_add_f32_e32 v2, v7, v8
	v_lshrrev_b32_e32 v7, 4, v0
	v_and_b32_e32 v7, 60, v7
	ds_write_b32 v7, v2
.LBB492_8:
	s_or_b64 exec, exec, s[2:3]
	v_cmp_gt_u32_e64 s[0:1], 16, v0
	v_mov_b32_e32 v2, 0
	s_waitcnt lgkmcnt(0)
	s_barrier
	s_and_saveexec_b64 s[2:3], s[0:1]
	s_cbranch_execnz .LBB492_12
; %bb.9:
	s_or_b64 exec, exec, s[2:3]
	s_and_saveexec_b64 s[0:1], vcc
	s_cbranch_execnz .LBB492_13
.LBB492_10:
	s_or_b64 exec, exec, s[0:1]
	v_cmp_eq_u32_e32 vcc, 0, v0
	s_and_saveexec_b64 s[0:1], vcc
	s_cbranch_execnz .LBB492_14
.LBB492_11:
	s_endpgm
.LBB492_12:
	ds_read_b32 v2, v1
	s_or_b64 exec, exec, s[2:3]
	s_and_saveexec_b64 s[0:1], vcc
	s_cbranch_execz .LBB492_10
.LBB492_13:
	s_waitcnt lgkmcnt(0)
	ds_bpermute_b32 v1, v3, v2
	s_waitcnt lgkmcnt(0)
	v_add_f32_e32 v1, v2, v1
	ds_bpermute_b32 v2, v4, v1
	s_waitcnt lgkmcnt(0)
	v_add_f32_e32 v1, v1, v2
	ds_bpermute_b32 v2, v5, v1
	s_waitcnt lgkmcnt(0)
	v_add_f32_e32 v1, v1, v2
	ds_bpermute_b32 v2, v6, v1
	s_waitcnt lgkmcnt(0)
	v_add_f32_e32 v2, v1, v2
	s_or_b64 exec, exec, s[0:1]
	v_cmp_eq_u32_e32 vcc, 0, v0
	s_and_saveexec_b64 s[0:1], vcc
	s_cbranch_execz .LBB492_11
.LBB492_14:
	s_waitcnt lgkmcnt(0)
	v_cvt_f16_f32_e32 v0, v2
	s_lshl_b64 s[0:1], s[6:7], 1
	s_add_u32 s0, s12, s0
	s_addc_u32 s1, s13, s1
	v_mov_b32_e32 v1, 0
	global_store_short v1, v0, s[0:1]
	s_endpgm
	.section	.rodata,"a",@progbits
	.p2align	6, 0x0
	.amdhsa_kernel _ZL18rocblas_dot_kernelIlLb1ELi1024ELi32ELb1EDF16_PKPKDF16_fEviT5_lT_lS4_lS5_liPT6_PT4_
		.amdhsa_group_segment_fixed_size 256
		.amdhsa_private_segment_fixed_size 0
		.amdhsa_kernarg_size 352
		.amdhsa_user_sgpr_count 6
		.amdhsa_user_sgpr_private_segment_buffer 1
		.amdhsa_user_sgpr_dispatch_ptr 0
		.amdhsa_user_sgpr_queue_ptr 0
		.amdhsa_user_sgpr_kernarg_segment_ptr 1
		.amdhsa_user_sgpr_dispatch_id 0
		.amdhsa_user_sgpr_flat_scratch_init 0
		.amdhsa_user_sgpr_kernarg_preload_length 0
		.amdhsa_user_sgpr_kernarg_preload_offset 0
		.amdhsa_user_sgpr_private_segment_size 0
		.amdhsa_uses_dynamic_stack 0
		.amdhsa_system_sgpr_private_segment_wavefront_offset 0
		.amdhsa_system_sgpr_workgroup_id_x 1
		.amdhsa_system_sgpr_workgroup_id_y 0
		.amdhsa_system_sgpr_workgroup_id_z 1
		.amdhsa_system_sgpr_workgroup_info 0
		.amdhsa_system_vgpr_workitem_id 0
		.amdhsa_next_free_vgpr 11
		.amdhsa_next_free_sgpr 26
		.amdhsa_accum_offset 12
		.amdhsa_reserve_vcc 1
		.amdhsa_reserve_flat_scratch 0
		.amdhsa_float_round_mode_32 0
		.amdhsa_float_round_mode_16_64 0
		.amdhsa_float_denorm_mode_32 3
		.amdhsa_float_denorm_mode_16_64 3
		.amdhsa_dx10_clamp 1
		.amdhsa_ieee_mode 1
		.amdhsa_fp16_overflow 0
		.amdhsa_tg_split 0
		.amdhsa_exception_fp_ieee_invalid_op 0
		.amdhsa_exception_fp_denorm_src 0
		.amdhsa_exception_fp_ieee_div_zero 0
		.amdhsa_exception_fp_ieee_overflow 0
		.amdhsa_exception_fp_ieee_underflow 0
		.amdhsa_exception_fp_ieee_inexact 0
		.amdhsa_exception_int_div_zero 0
	.end_amdhsa_kernel
	.section	.text._ZL18rocblas_dot_kernelIlLb1ELi1024ELi32ELb1EDF16_PKPKDF16_fEviT5_lT_lS4_lS5_liPT6_PT4_,"axG",@progbits,_ZL18rocblas_dot_kernelIlLb1ELi1024ELi32ELb1EDF16_PKPKDF16_fEviT5_lT_lS4_lS5_liPT6_PT4_,comdat
.Lfunc_end492:
	.size	_ZL18rocblas_dot_kernelIlLb1ELi1024ELi32ELb1EDF16_PKPKDF16_fEviT5_lT_lS4_lS5_liPT6_PT4_, .Lfunc_end492-_ZL18rocblas_dot_kernelIlLb1ELi1024ELi32ELb1EDF16_PKPKDF16_fEviT5_lT_lS4_lS5_liPT6_PT4_
                                        ; -- End function
	.section	.AMDGPU.csdata,"",@progbits
; Kernel info:
; codeLenInByte = 992
; NumSgprs: 30
; NumVgprs: 11
; NumAgprs: 0
; TotalNumVgprs: 11
; ScratchSize: 0
; MemoryBound: 0
; FloatMode: 240
; IeeeMode: 1
; LDSByteSize: 256 bytes/workgroup (compile time only)
; SGPRBlocks: 3
; VGPRBlocks: 1
; NumSGPRsForWavesPerEU: 30
; NumVGPRsForWavesPerEU: 11
; AccumOffset: 12
; Occupancy: 8
; WaveLimiterHint : 0
; COMPUTE_PGM_RSRC2:SCRATCH_EN: 0
; COMPUTE_PGM_RSRC2:USER_SGPR: 6
; COMPUTE_PGM_RSRC2:TRAP_HANDLER: 0
; COMPUTE_PGM_RSRC2:TGID_X_EN: 1
; COMPUTE_PGM_RSRC2:TGID_Y_EN: 0
; COMPUTE_PGM_RSRC2:TGID_Z_EN: 1
; COMPUTE_PGM_RSRC2:TIDIG_COMP_CNT: 0
; COMPUTE_PGM_RSRC3_GFX90A:ACCUM_OFFSET: 2
; COMPUTE_PGM_RSRC3_GFX90A:TG_SPLIT: 0
	.section	.text._ZL24rocblas_dot_kernel_magsqIlLb1ELi1024ELi32ELb1EDF16_PKPKDF16_fEviT5_lT_liPT6_PT4_,"axG",@progbits,_ZL24rocblas_dot_kernel_magsqIlLb1ELi1024ELi32ELb1EDF16_PKPKDF16_fEviT5_lT_liPT6_PT4_,comdat
	.globl	_ZL24rocblas_dot_kernel_magsqIlLb1ELi1024ELi32ELb1EDF16_PKPKDF16_fEviT5_lT_liPT6_PT4_ ; -- Begin function _ZL24rocblas_dot_kernel_magsqIlLb1ELi1024ELi32ELb1EDF16_PKPKDF16_fEviT5_lT_liPT6_PT4_
	.p2align	8
	.type	_ZL24rocblas_dot_kernel_magsqIlLb1ELi1024ELi32ELb1EDF16_PKPKDF16_fEviT5_lT_liPT6_PT4_,@function
_ZL24rocblas_dot_kernel_magsqIlLb1ELi1024ELi32ELb1EDF16_PKPKDF16_fEviT5_lT_liPT6_PT4_: ; @_ZL24rocblas_dot_kernel_magsqIlLb1ELi1024ELi32ELb1EDF16_PKPKDF16_fEviT5_lT_liPT6_PT4_
; %bb.0:
	s_mov_b32 s2, s7
	s_load_dword s12, s[4:5], 0x0
	s_load_dwordx2 s[6:7], s[4:5], 0x38
	s_mov_b32 s3, 0
	v_mov_b32_e32 v1, 0
	s_waitcnt lgkmcnt(0)
	v_cmp_gt_i32_e32 vcc, s12, v0
	s_and_saveexec_b64 s[8:9], vcc
	s_cbranch_execz .LBB493_4
; %bb.1:
	s_load_dwordx2 s[0:1], s[4:5], 0x8
	s_load_dword s10, s[4:5], 0x40
	s_load_dwordx4 s[16:19], s[4:5], 0x10
	s_lshl_b64 s[4:5], s[2:3], 3
	s_waitcnt lgkmcnt(0)
	s_add_u32 s0, s0, s4
	s_addc_u32 s1, s1, s5
	s_load_dwordx2 s[0:1], s[0:1], 0x0
	v_mad_u64_u32 v[2:3], s[4:5], s18, v0, 0
	v_mov_b32_e32 v6, v3
	v_mad_u64_u32 v[6:7], s[4:5], s19, v0, v[6:7]
	s_lshl_b32 s13, s10, 10
	v_mov_b32_e32 v3, v6
	s_lshl_b64 s[4:5], s[16:17], 1
	v_lshlrev_b64 v[2:3], 1, v[2:3]
	s_waitcnt lgkmcnt(0)
	s_add_u32 s0, s0, s4
	s_addc_u32 s1, s1, s5
	v_add_co_u32_e32 v2, vcc, s0, v2
	s_ashr_i32 s0, s13, 31
	v_mov_b32_e32 v1, s1
	s_mul_i32 s0, s18, s0
	s_mul_hi_u32 s1, s18, s13
	s_add_i32 s0, s1, s0
	s_mul_i32 s1, s19, s13
	s_add_i32 s1, s0, s1
	s_mul_i32 s0, s18, s13
	s_lshl_b64 s[10:11], s[0:1], 1
	v_or_b32_e32 v4, s13, v0
	v_addc_co_u32_e32 v3, vcc, v1, v3, vcc
	s_mov_b64 s[4:5], 0
	v_mov_b32_e32 v1, 0
	v_mov_b32_e32 v5, s11
	s_mov_b32 s11, s3
.LBB493_2:                              ; =>This Inner Loop Header: Depth=1
	global_load_ushort v6, v[2:3], off
	s_add_i32 s14, s11, 1
	v_add_co_u32_e64 v2, s[0:1], s10, v2
	v_addc_co_u32_e64 v3, s[0:1], v3, v5, s[0:1]
	s_cmp_gt_u32 s11, 30
	v_cmp_le_i32_e32 vcc, s12, v4
	s_cselect_b64 s[0:1], -1, 0
	s_or_b64 s[0:1], s[0:1], vcc
	s_and_b64 s[0:1], exec, s[0:1]
	v_add_u32_e32 v4, s13, v4
	s_mov_b32 s11, s14
	s_or_b64 s[4:5], s[0:1], s[4:5]
	s_waitcnt vmcnt(0)
	v_fma_mix_f32 v1, v6, v6, v1 op_sel_hi:[1,1,0]
	s_andn2_b64 exec, exec, s[4:5]
	s_cbranch_execnz .LBB493_2
; %bb.3:
	s_or_b64 exec, exec, s[4:5]
.LBB493_4:
	s_or_b64 exec, exec, s[8:9]
	v_and_b32_e32 v3, 63, v0
	v_cmp_gt_u32_e32 vcc, 64, v0
	v_lshlrev_b32_e32 v2, 2, v3
	s_and_saveexec_b64 s[0:1], vcc
	s_cbranch_execz .LBB493_6
; %bb.5:
	v_mov_b32_e32 v4, 0
	ds_write_b32 v2, v4
.LBB493_6:
	s_or_b64 exec, exec, s[0:1]
	v_mbcnt_lo_u32_b32 v4, -1, 0
	v_mbcnt_hi_u32_b32 v6, -1, v4
	v_and_b32_e32 v7, 63, v6
	v_cmp_gt_u32_e64 s[0:1], 32, v7
	v_cndmask_b32_e64 v4, 0, 1, s[0:1]
	v_lshlrev_b32_e32 v4, 5, v4
	v_add_lshl_u32 v4, v4, v6, 2
	ds_bpermute_b32 v4, v4, v1
	v_cmp_gt_u32_e64 s[0:1], 48, v7
	v_cndmask_b32_e64 v5, 0, 1, s[0:1]
	v_lshlrev_b32_e32 v5, 4, v5
	v_cmp_gt_u32_e64 s[0:1], 56, v7
	s_waitcnt lgkmcnt(0)
	v_add_f32_e32 v1, v1, v4
	v_add_lshl_u32 v4, v5, v6, 2
	ds_bpermute_b32 v4, v4, v1
	v_cndmask_b32_e64 v5, 0, 1, s[0:1]
	v_lshlrev_b32_e32 v5, 3, v5
	v_cmp_gt_u32_e64 s[0:1], 60, v7
	v_cndmask_b32_e64 v8, 0, 1, s[0:1]
	s_waitcnt lgkmcnt(0)
	v_add_f32_e32 v4, v1, v4
	v_add_lshl_u32 v1, v5, v6, 2
	ds_bpermute_b32 v5, v1, v4
	v_lshlrev_b32_e32 v8, 2, v8
	v_cmp_gt_u32_e64 s[0:1], 62, v7
	v_cndmask_b32_e64 v9, 0, 1, s[0:1]
	v_lshlrev_b32_e32 v9, 1, v9
	s_waitcnt lgkmcnt(0)
	v_add_f32_e32 v5, v4, v5
	v_add_lshl_u32 v4, v8, v6, 2
	ds_bpermute_b32 v8, v4, v5
	v_cmp_ne_u32_e64 s[0:1], 63, v7
	s_waitcnt lgkmcnt(0)
	s_barrier
	v_add_f32_e32 v8, v5, v8
	v_add_lshl_u32 v5, v9, v6, 2
	ds_bpermute_b32 v9, v5, v8
	v_addc_co_u32_e64 v6, s[0:1], 0, v6, s[0:1]
	v_lshlrev_b32_e32 v6, 2, v6
	v_cmp_eq_u32_e64 s[0:1], 0, v3
	s_waitcnt lgkmcnt(0)
	v_add_f32_e32 v7, v8, v9
	ds_bpermute_b32 v8, v6, v7
	s_and_saveexec_b64 s[4:5], s[0:1]
	s_cbranch_execz .LBB493_8
; %bb.7:
	s_waitcnt lgkmcnt(0)
	v_add_f32_e32 v3, v7, v8
	v_lshrrev_b32_e32 v7, 4, v0
	v_and_b32_e32 v7, 60, v7
	ds_write_b32 v7, v3
.LBB493_8:
	s_or_b64 exec, exec, s[4:5]
	v_cmp_gt_u32_e64 s[0:1], 16, v0
	v_mov_b32_e32 v3, 0
	s_waitcnt lgkmcnt(0)
	s_barrier
	s_and_saveexec_b64 s[4:5], s[0:1]
	s_cbranch_execnz .LBB493_12
; %bb.9:
	s_or_b64 exec, exec, s[4:5]
	s_and_saveexec_b64 s[0:1], vcc
	s_cbranch_execnz .LBB493_13
.LBB493_10:
	s_or_b64 exec, exec, s[0:1]
	v_cmp_eq_u32_e32 vcc, 0, v0
	s_and_saveexec_b64 s[0:1], vcc
	s_cbranch_execnz .LBB493_14
.LBB493_11:
	s_endpgm
.LBB493_12:
	ds_read_b32 v3, v2
	s_or_b64 exec, exec, s[4:5]
	s_and_saveexec_b64 s[0:1], vcc
	s_cbranch_execz .LBB493_10
.LBB493_13:
	s_waitcnt lgkmcnt(0)
	ds_bpermute_b32 v1, v1, v3
	s_waitcnt lgkmcnt(0)
	v_add_f32_e32 v1, v3, v1
	ds_bpermute_b32 v2, v4, v1
	s_waitcnt lgkmcnt(0)
	v_add_f32_e32 v1, v1, v2
	;; [unrolled: 3-line block ×4, first 2 shown]
	s_or_b64 exec, exec, s[0:1]
	v_cmp_eq_u32_e32 vcc, 0, v0
	s_and_saveexec_b64 s[0:1], vcc
	s_cbranch_execz .LBB493_11
.LBB493_14:
	s_waitcnt lgkmcnt(0)
	v_cvt_f16_f32_e32 v0, v3
	s_lshl_b64 s[0:1], s[2:3], 1
	s_add_u32 s0, s6, s0
	s_addc_u32 s1, s7, s1
	v_mov_b32_e32 v1, 0
	global_store_short v1, v0, s[0:1]
	s_endpgm
	.section	.rodata,"a",@progbits
	.p2align	6, 0x0
	.amdhsa_kernel _ZL24rocblas_dot_kernel_magsqIlLb1ELi1024ELi32ELb1EDF16_PKPKDF16_fEviT5_lT_liPT6_PT4_
		.amdhsa_group_segment_fixed_size 256
		.amdhsa_private_segment_fixed_size 0
		.amdhsa_kernarg_size 320
		.amdhsa_user_sgpr_count 6
		.amdhsa_user_sgpr_private_segment_buffer 1
		.amdhsa_user_sgpr_dispatch_ptr 0
		.amdhsa_user_sgpr_queue_ptr 0
		.amdhsa_user_sgpr_kernarg_segment_ptr 1
		.amdhsa_user_sgpr_dispatch_id 0
		.amdhsa_user_sgpr_flat_scratch_init 0
		.amdhsa_user_sgpr_kernarg_preload_length 0
		.amdhsa_user_sgpr_kernarg_preload_offset 0
		.amdhsa_user_sgpr_private_segment_size 0
		.amdhsa_uses_dynamic_stack 0
		.amdhsa_system_sgpr_private_segment_wavefront_offset 0
		.amdhsa_system_sgpr_workgroup_id_x 1
		.amdhsa_system_sgpr_workgroup_id_y 0
		.amdhsa_system_sgpr_workgroup_id_z 1
		.amdhsa_system_sgpr_workgroup_info 0
		.amdhsa_system_vgpr_workitem_id 0
		.amdhsa_next_free_vgpr 10
		.amdhsa_next_free_sgpr 20
		.amdhsa_accum_offset 12
		.amdhsa_reserve_vcc 1
		.amdhsa_reserve_flat_scratch 0
		.amdhsa_float_round_mode_32 0
		.amdhsa_float_round_mode_16_64 0
		.amdhsa_float_denorm_mode_32 3
		.amdhsa_float_denorm_mode_16_64 3
		.amdhsa_dx10_clamp 1
		.amdhsa_ieee_mode 1
		.amdhsa_fp16_overflow 0
		.amdhsa_tg_split 0
		.amdhsa_exception_fp_ieee_invalid_op 0
		.amdhsa_exception_fp_denorm_src 0
		.amdhsa_exception_fp_ieee_div_zero 0
		.amdhsa_exception_fp_ieee_overflow 0
		.amdhsa_exception_fp_ieee_underflow 0
		.amdhsa_exception_fp_ieee_inexact 0
		.amdhsa_exception_int_div_zero 0
	.end_amdhsa_kernel
	.section	.text._ZL24rocblas_dot_kernel_magsqIlLb1ELi1024ELi32ELb1EDF16_PKPKDF16_fEviT5_lT_liPT6_PT4_,"axG",@progbits,_ZL24rocblas_dot_kernel_magsqIlLb1ELi1024ELi32ELb1EDF16_PKPKDF16_fEviT5_lT_liPT6_PT4_,comdat
.Lfunc_end493:
	.size	_ZL24rocblas_dot_kernel_magsqIlLb1ELi1024ELi32ELb1EDF16_PKPKDF16_fEviT5_lT_liPT6_PT4_, .Lfunc_end493-_ZL24rocblas_dot_kernel_magsqIlLb1ELi1024ELi32ELb1EDF16_PKPKDF16_fEviT5_lT_liPT6_PT4_
                                        ; -- End function
	.section	.AMDGPU.csdata,"",@progbits
; Kernel info:
; codeLenInByte = 848
; NumSgprs: 24
; NumVgprs: 10
; NumAgprs: 0
; TotalNumVgprs: 10
; ScratchSize: 0
; MemoryBound: 0
; FloatMode: 240
; IeeeMode: 1
; LDSByteSize: 256 bytes/workgroup (compile time only)
; SGPRBlocks: 2
; VGPRBlocks: 1
; NumSGPRsForWavesPerEU: 24
; NumVGPRsForWavesPerEU: 10
; AccumOffset: 12
; Occupancy: 8
; WaveLimiterHint : 0
; COMPUTE_PGM_RSRC2:SCRATCH_EN: 0
; COMPUTE_PGM_RSRC2:USER_SGPR: 6
; COMPUTE_PGM_RSRC2:TRAP_HANDLER: 0
; COMPUTE_PGM_RSRC2:TGID_X_EN: 1
; COMPUTE_PGM_RSRC2:TGID_Y_EN: 0
; COMPUTE_PGM_RSRC2:TGID_Z_EN: 1
; COMPUTE_PGM_RSRC2:TIDIG_COMP_CNT: 0
; COMPUTE_PGM_RSRC3_GFX90A:ACCUM_OFFSET: 2
; COMPUTE_PGM_RSRC3_GFX90A:TG_SPLIT: 0
	.section	.text._ZL18rocblas_dot_kernelIlLb0ELi512ELi8ELb1EDF16_PKPKDF16_fEviT5_lT_lS4_lS5_liPT6_PT4_,"axG",@progbits,_ZL18rocblas_dot_kernelIlLb0ELi512ELi8ELb1EDF16_PKPKDF16_fEviT5_lT_lS4_lS5_liPT6_PT4_,comdat
	.globl	_ZL18rocblas_dot_kernelIlLb0ELi512ELi8ELb1EDF16_PKPKDF16_fEviT5_lT_lS4_lS5_liPT6_PT4_ ; -- Begin function _ZL18rocblas_dot_kernelIlLb0ELi512ELi8ELb1EDF16_PKPKDF16_fEviT5_lT_lS4_lS5_liPT6_PT4_
	.p2align	8
	.type	_ZL18rocblas_dot_kernelIlLb0ELi512ELi8ELb1EDF16_PKPKDF16_fEviT5_lT_lS4_lS5_liPT6_PT4_,@function
_ZL18rocblas_dot_kernelIlLb0ELi512ELi8ELb1EDF16_PKPKDF16_fEviT5_lT_lS4_lS5_liPT6_PT4_: ; @_ZL18rocblas_dot_kernelIlLb0ELi512ELi8ELb1EDF16_PKPKDF16_fEviT5_lT_lS4_lS5_liPT6_PT4_
; %bb.0:
	s_mov_b32 s16, s7
	s_load_dword s20, s[4:5], 0x60
	s_load_dword s7, s[4:5], 0x0
	s_load_dwordx4 s[8:11], s[4:5], 0x50
	v_lshl_or_b32 v4, s6, 9, v0
	s_mov_b32 s17, 0
	v_mov_b32_e32 v6, 0
	s_waitcnt lgkmcnt(0)
	v_cmp_gt_i32_e32 vcc, s7, v4
	s_and_saveexec_b64 s[18:19], vcc
	s_cbranch_execz .LBB494_4
; %bb.1:
	s_load_dwordx2 s[22:23], s[4:5], 0x8
	s_load_dwordx4 s[12:15], s[4:5], 0x10
	s_load_dwordx2 s[24:25], s[4:5], 0x28
	s_load_dwordx4 s[0:3], s[4:5], 0x30
	s_lshl_b64 s[4:5], s[16:17], 3
	s_waitcnt lgkmcnt(0)
	s_add_u32 s22, s22, s4
	s_addc_u32 s23, s23, s5
	s_load_dwordx2 s[22:23], s[22:23], 0x0
	s_add_u32 s4, s24, s4
	s_addc_u32 s5, s25, s5
	s_load_dwordx2 s[24:25], s[4:5], 0x0
	v_ashrrev_i32_e32 v5, 31, v4
	v_mad_u64_u32 v[2:3], s[4:5], s14, v4, 0
	s_lshl_b32 s21, s20, 9
	v_mul_lo_u32 v6, s15, v4
	v_mul_lo_u32 v7, s14, v5
	s_lshl_b64 s[4:5], s[12:13], 1
	v_add3_u32 v3, v3, v7, v6
	s_waitcnt lgkmcnt(0)
	s_add_u32 s4, s22, s4
	v_lshlrev_b64 v[2:3], 1, v[2:3]
	s_addc_u32 s5, s23, s5
	s_ashr_i32 s22, s21, 31
	v_mov_b32_e32 v6, s5
	v_add_co_u32_e32 v2, vcc, s4, v2
	s_mul_i32 s4, s14, s22
	s_mul_hi_u32 s5, s14, s21
	s_add_i32 s4, s5, s4
	s_mul_i32 s5, s15, s21
	s_add_i32 s5, s4, s5
	s_mul_i32 s4, s14, s21
	v_add_u32_e32 v1, s21, v4
	v_addc_co_u32_e32 v3, vcc, v6, v3, vcc
	s_lshl_b64 s[4:5], s[4:5], 1
	v_mul_lo_u32 v6, s3, v4
	v_mul_lo_u32 v7, s2, v5
	v_mad_u64_u32 v[4:5], s[12:13], s2, v4, 0
	s_lshl_b64 s[0:1], s[0:1], 1
	v_add3_u32 v5, v5, v7, v6
	s_add_u32 s0, s24, s0
	v_lshlrev_b64 v[4:5], 1, v[4:5]
	s_addc_u32 s1, s25, s1
	v_mov_b32_e32 v6, s1
	v_add_co_u32_e32 v4, vcc, s0, v4
	s_mul_i32 s0, s2, s22
	s_mul_hi_u32 s1, s2, s21
	s_add_i32 s0, s1, s0
	s_mul_i32 s1, s3, s21
	s_add_i32 s1, s0, s1
	s_mul_i32 s0, s2, s21
	s_lshl_b64 s[12:13], s[0:1], 1
	v_addc_co_u32_e32 v5, vcc, v6, v5, vcc
	s_mov_b64 s[2:3], 0
	v_mov_b32_e32 v6, 0
	v_mov_b32_e32 v7, s5
	;; [unrolled: 1-line block ×3, first 2 shown]
	s_mov_b32 s5, s17
.LBB494_2:                              ; =>This Inner Loop Header: Depth=1
	global_load_ushort v9, v[4:5], off
	global_load_ushort v10, v[2:3], off
	v_add_co_u32_e64 v2, s[0:1], s4, v2
	v_addc_co_u32_e64 v3, s[0:1], v3, v7, s[0:1]
	s_add_i32 s13, s5, 1
	v_add_co_u32_e64 v4, s[0:1], s12, v4
	v_addc_co_u32_e64 v5, s[0:1], v5, v8, s[0:1]
	s_cmp_gt_u32 s5, 6
	v_cmp_le_i32_e32 vcc, s7, v1
	s_cselect_b64 s[0:1], -1, 0
	s_or_b64 s[0:1], s[0:1], vcc
	s_and_b64 s[0:1], exec, s[0:1]
	v_add_u32_e32 v1, s21, v1
	s_mov_b32 s5, s13
	s_or_b64 s[2:3], s[0:1], s[2:3]
	s_waitcnt vmcnt(0)
	v_fma_mix_f32 v6, v9, v10, v6 op_sel_hi:[1,1,0]
	s_andn2_b64 exec, exec, s[2:3]
	s_cbranch_execnz .LBB494_2
; %bb.3:
	s_or_b64 exec, exec, s[2:3]
.LBB494_4:
	s_or_b64 exec, exec, s[18:19]
	v_and_b32_e32 v2, 63, v0
	v_cmp_gt_u32_e32 vcc, 64, v0
	v_lshlrev_b32_e32 v1, 2, v2
	s_and_saveexec_b64 s[0:1], vcc
	s_cbranch_execz .LBB494_6
; %bb.5:
	v_mov_b32_e32 v3, 0
	ds_write_b32 v1, v3
.LBB494_6:
	s_or_b64 exec, exec, s[0:1]
	v_mbcnt_lo_u32_b32 v3, -1, 0
	v_mbcnt_hi_u32_b32 v5, -1, v3
	v_and_b32_e32 v7, 63, v5
	v_cmp_gt_u32_e64 s[0:1], 32, v7
	v_cndmask_b32_e64 v3, 0, 1, s[0:1]
	v_lshlrev_b32_e32 v3, 5, v3
	v_add_lshl_u32 v3, v3, v5, 2
	ds_bpermute_b32 v3, v3, v6
	v_cmp_gt_u32_e64 s[0:1], 48, v7
	v_cndmask_b32_e64 v4, 0, 1, s[0:1]
	v_lshlrev_b32_e32 v4, 4, v4
	v_add_lshl_u32 v4, v4, v5, 2
	s_waitcnt lgkmcnt(0)
	v_add_f32_e32 v3, v6, v3
	ds_bpermute_b32 v4, v4, v3
	v_cmp_gt_u32_e64 s[0:1], 56, v7
	v_cndmask_b32_e64 v6, 0, 1, s[0:1]
	v_lshlrev_b32_e32 v6, 3, v6
	v_cmp_gt_u32_e64 s[0:1], 60, v7
	s_waitcnt lgkmcnt(0)
	v_add_f32_e32 v3, v3, v4
	v_add_lshl_u32 v4, v6, v5, 2
	ds_bpermute_b32 v4, v4, v3
	v_cndmask_b32_e64 v6, 0, 1, s[0:1]
	v_lshlrev_b32_e32 v6, 2, v6
	v_cmp_gt_u32_e64 s[0:1], 62, v7
	v_cndmask_b32_e64 v8, 0, 1, s[0:1]
	s_waitcnt lgkmcnt(0)
	v_add_f32_e32 v4, v3, v4
	v_add_lshl_u32 v3, v6, v5, 2
	ds_bpermute_b32 v6, v3, v4
	v_lshlrev_b32_e32 v8, 1, v8
	v_cmp_ne_u32_e64 s[0:1], 63, v7
	s_waitcnt lgkmcnt(0)
	s_barrier
	v_add_f32_e32 v6, v4, v6
	v_add_lshl_u32 v4, v8, v5, 2
	ds_bpermute_b32 v8, v4, v6
	v_addc_co_u32_e64 v5, s[0:1], 0, v5, s[0:1]
	v_lshlrev_b32_e32 v5, 2, v5
	v_cmp_eq_u32_e64 s[0:1], 0, v2
	s_waitcnt lgkmcnt(0)
	v_add_f32_e32 v6, v6, v8
	ds_bpermute_b32 v7, v5, v6
	s_waitcnt lgkmcnt(0)
	s_and_saveexec_b64 s[2:3], s[0:1]
	s_cbranch_execz .LBB494_8
; %bb.7:
	v_add_f32_e32 v2, v6, v7
	v_lshrrev_b32_e32 v6, 4, v0
	v_and_b32_e32 v6, 28, v6
	ds_write_b32 v6, v2
.LBB494_8:
	s_or_b64 exec, exec, s[2:3]
	v_cmp_gt_u32_e64 s[0:1], 8, v0
	v_mov_b32_e32 v2, 0
	s_waitcnt lgkmcnt(0)
	s_barrier
	s_and_saveexec_b64 s[2:3], s[0:1]
	s_cbranch_execnz .LBB494_12
; %bb.9:
	s_or_b64 exec, exec, s[2:3]
	s_and_saveexec_b64 s[0:1], vcc
	s_cbranch_execnz .LBB494_13
.LBB494_10:
	s_or_b64 exec, exec, s[0:1]
	v_cmp_eq_u32_e32 vcc, 0, v0
	s_and_saveexec_b64 s[0:1], vcc
	s_cbranch_execnz .LBB494_14
.LBB494_11:
	s_endpgm
.LBB494_12:
	ds_read_b32 v2, v1
	s_or_b64 exec, exec, s[2:3]
	s_and_saveexec_b64 s[0:1], vcc
	s_cbranch_execz .LBB494_10
.LBB494_13:
	s_waitcnt lgkmcnt(0)
	ds_bpermute_b32 v1, v3, v2
	s_waitcnt lgkmcnt(0)
	v_add_f32_e32 v1, v2, v1
	ds_bpermute_b32 v2, v4, v1
	s_waitcnt lgkmcnt(0)
	v_add_f32_e32 v1, v1, v2
	;; [unrolled: 3-line block ×3, first 2 shown]
	s_or_b64 exec, exec, s[0:1]
	v_cmp_eq_u32_e32 vcc, 0, v0
	s_and_saveexec_b64 s[0:1], vcc
	s_cbranch_execz .LBB494_11
.LBB494_14:
	s_cmp_lg_u32 s20, 1
	s_mov_b64 s[0:1], -1
	s_cbranch_scc0 .LBB494_16
; %bb.15:
	s_mul_hi_u32 s1, s20, s16
	s_mul_i32 s0, s20, s16
	s_lshl_b64 s[0:1], s[0:1], 2
	s_mov_b32 s7, 0
	s_add_u32 s2, s8, s0
	s_addc_u32 s3, s9, s1
	s_lshl_b64 s[0:1], s[6:7], 2
	s_add_u32 s0, s2, s0
	s_addc_u32 s1, s3, s1
	v_mov_b32_e32 v0, 0
	s_waitcnt lgkmcnt(0)
	global_store_dword v0, v2, s[0:1]
	s_mov_b64 s[0:1], 0
.LBB494_16:
	s_andn2_b64 vcc, exec, s[0:1]
	s_cbranch_vccnz .LBB494_11
; %bb.17:
	s_waitcnt lgkmcnt(0)
	v_cvt_f16_f32_e32 v0, v2
	s_lshl_b64 s[0:1], s[16:17], 1
	s_add_u32 s0, s10, s0
	s_addc_u32 s1, s11, s1
	v_mov_b32_e32 v1, 0
	global_store_short v1, v0, s[0:1]
	s_endpgm
	.section	.rodata,"a",@progbits
	.p2align	6, 0x0
	.amdhsa_kernel _ZL18rocblas_dot_kernelIlLb0ELi512ELi8ELb1EDF16_PKPKDF16_fEviT5_lT_lS4_lS5_liPT6_PT4_
		.amdhsa_group_segment_fixed_size 256
		.amdhsa_private_segment_fixed_size 0
		.amdhsa_kernarg_size 352
		.amdhsa_user_sgpr_count 6
		.amdhsa_user_sgpr_private_segment_buffer 1
		.amdhsa_user_sgpr_dispatch_ptr 0
		.amdhsa_user_sgpr_queue_ptr 0
		.amdhsa_user_sgpr_kernarg_segment_ptr 1
		.amdhsa_user_sgpr_dispatch_id 0
		.amdhsa_user_sgpr_flat_scratch_init 0
		.amdhsa_user_sgpr_kernarg_preload_length 0
		.amdhsa_user_sgpr_kernarg_preload_offset 0
		.amdhsa_user_sgpr_private_segment_size 0
		.amdhsa_uses_dynamic_stack 0
		.amdhsa_system_sgpr_private_segment_wavefront_offset 0
		.amdhsa_system_sgpr_workgroup_id_x 1
		.amdhsa_system_sgpr_workgroup_id_y 0
		.amdhsa_system_sgpr_workgroup_id_z 1
		.amdhsa_system_sgpr_workgroup_info 0
		.amdhsa_system_vgpr_workitem_id 0
		.amdhsa_next_free_vgpr 11
		.amdhsa_next_free_sgpr 26
		.amdhsa_accum_offset 12
		.amdhsa_reserve_vcc 1
		.amdhsa_reserve_flat_scratch 0
		.amdhsa_float_round_mode_32 0
		.amdhsa_float_round_mode_16_64 0
		.amdhsa_float_denorm_mode_32 3
		.amdhsa_float_denorm_mode_16_64 3
		.amdhsa_dx10_clamp 1
		.amdhsa_ieee_mode 1
		.amdhsa_fp16_overflow 0
		.amdhsa_tg_split 0
		.amdhsa_exception_fp_ieee_invalid_op 0
		.amdhsa_exception_fp_denorm_src 0
		.amdhsa_exception_fp_ieee_div_zero 0
		.amdhsa_exception_fp_ieee_overflow 0
		.amdhsa_exception_fp_ieee_underflow 0
		.amdhsa_exception_fp_ieee_inexact 0
		.amdhsa_exception_int_div_zero 0
	.end_amdhsa_kernel
	.section	.text._ZL18rocblas_dot_kernelIlLb0ELi512ELi8ELb1EDF16_PKPKDF16_fEviT5_lT_lS4_lS5_liPT6_PT4_,"axG",@progbits,_ZL18rocblas_dot_kernelIlLb0ELi512ELi8ELb1EDF16_PKPKDF16_fEviT5_lT_lS4_lS5_liPT6_PT4_,comdat
.Lfunc_end494:
	.size	_ZL18rocblas_dot_kernelIlLb0ELi512ELi8ELb1EDF16_PKPKDF16_fEviT5_lT_lS4_lS5_liPT6_PT4_, .Lfunc_end494-_ZL18rocblas_dot_kernelIlLb0ELi512ELi8ELb1EDF16_PKPKDF16_fEviT5_lT_lS4_lS5_liPT6_PT4_
                                        ; -- End function
	.section	.AMDGPU.csdata,"",@progbits
; Kernel info:
; codeLenInByte = 1080
; NumSgprs: 30
; NumVgprs: 11
; NumAgprs: 0
; TotalNumVgprs: 11
; ScratchSize: 0
; MemoryBound: 0
; FloatMode: 240
; IeeeMode: 1
; LDSByteSize: 256 bytes/workgroup (compile time only)
; SGPRBlocks: 3
; VGPRBlocks: 1
; NumSGPRsForWavesPerEU: 30
; NumVGPRsForWavesPerEU: 11
; AccumOffset: 12
; Occupancy: 8
; WaveLimiterHint : 0
; COMPUTE_PGM_RSRC2:SCRATCH_EN: 0
; COMPUTE_PGM_RSRC2:USER_SGPR: 6
; COMPUTE_PGM_RSRC2:TRAP_HANDLER: 0
; COMPUTE_PGM_RSRC2:TGID_X_EN: 1
; COMPUTE_PGM_RSRC2:TGID_Y_EN: 0
; COMPUTE_PGM_RSRC2:TGID_Z_EN: 1
; COMPUTE_PGM_RSRC2:TIDIG_COMP_CNT: 0
; COMPUTE_PGM_RSRC3_GFX90A:ACCUM_OFFSET: 2
; COMPUTE_PGM_RSRC3_GFX90A:TG_SPLIT: 0
	.section	.text._ZL24rocblas_dot_kernel_magsqIlLb0ELi512ELi8ELb1EDF16_PKPKDF16_fEviT5_lT_liPT6_PT4_,"axG",@progbits,_ZL24rocblas_dot_kernel_magsqIlLb0ELi512ELi8ELb1EDF16_PKPKDF16_fEviT5_lT_liPT6_PT4_,comdat
	.globl	_ZL24rocblas_dot_kernel_magsqIlLb0ELi512ELi8ELb1EDF16_PKPKDF16_fEviT5_lT_liPT6_PT4_ ; -- Begin function _ZL24rocblas_dot_kernel_magsqIlLb0ELi512ELi8ELb1EDF16_PKPKDF16_fEviT5_lT_liPT6_PT4_
	.p2align	8
	.type	_ZL24rocblas_dot_kernel_magsqIlLb0ELi512ELi8ELb1EDF16_PKPKDF16_fEviT5_lT_liPT6_PT4_,@function
_ZL24rocblas_dot_kernel_magsqIlLb0ELi512ELi8ELb1EDF16_PKPKDF16_fEviT5_lT_liPT6_PT4_: ; @_ZL24rocblas_dot_kernel_magsqIlLb0ELi512ELi8ELb1EDF16_PKPKDF16_fEviT5_lT_liPT6_PT4_
; %bb.0:
	s_mov_b32 s2, s7
	s_load_dword s7, s[4:5], 0x0
	s_load_dwordx4 s[8:11], s[4:5], 0x30
	s_load_dword s16, s[4:5], 0x40
	v_lshl_or_b32 v2, s6, 9, v0
	s_mov_b32 s3, 0
	s_waitcnt lgkmcnt(0)
	v_cmp_gt_i32_e32 vcc, s7, v2
	v_mov_b32_e32 v1, 0
	s_and_saveexec_b64 s[12:13], vcc
	s_cbranch_execz .LBB495_4
; %bb.1:
	s_load_dwordx2 s[0:1], s[4:5], 0x8
	s_load_dwordx4 s[20:23], s[4:5], 0x10
	s_lshl_b64 s[4:5], s[2:3], 3
	v_ashrrev_i32_e32 v1, 31, v2
	s_waitcnt lgkmcnt(0)
	s_add_u32 s0, s0, s4
	s_addc_u32 s1, s1, s5
	s_load_dwordx2 s[0:1], s[0:1], 0x0
	s_lshl_b32 s17, s16, 9
	v_add_u32_e32 v4, s17, v2
	v_mul_lo_u32 v5, s23, v2
	v_mul_lo_u32 v1, s22, v1
	v_mad_u64_u32 v[2:3], s[4:5], s22, v2, 0
	v_add3_u32 v3, v3, v1, v5
	s_lshl_b64 s[4:5], s[20:21], 1
	v_lshlrev_b64 v[2:3], 1, v[2:3]
	s_waitcnt lgkmcnt(0)
	s_add_u32 s0, s0, s4
	s_addc_u32 s1, s1, s5
	v_add_co_u32_e32 v2, vcc, s0, v2
	s_ashr_i32 s0, s17, 31
	v_mov_b32_e32 v1, s1
	s_mul_i32 s0, s22, s0
	s_mul_hi_u32 s1, s22, s17
	s_add_i32 s0, s1, s0
	s_mul_i32 s1, s23, s17
	s_add_i32 s1, s0, s1
	s_mul_i32 s0, s22, s17
	s_lshl_b64 s[14:15], s[0:1], 1
	v_addc_co_u32_e32 v3, vcc, v1, v3, vcc
	s_mov_b64 s[4:5], 0
	v_mov_b32_e32 v1, 0
	v_mov_b32_e32 v5, s15
	s_mov_b32 s15, s3
.LBB495_2:                              ; =>This Inner Loop Header: Depth=1
	global_load_ushort v6, v[2:3], off
	s_add_i32 s18, s15, 1
	v_add_co_u32_e64 v2, s[0:1], s14, v2
	v_addc_co_u32_e64 v3, s[0:1], v3, v5, s[0:1]
	s_cmp_gt_u32 s15, 6
	v_cmp_le_i32_e32 vcc, s7, v4
	s_cselect_b64 s[0:1], -1, 0
	s_or_b64 s[0:1], s[0:1], vcc
	s_and_b64 s[0:1], exec, s[0:1]
	v_add_u32_e32 v4, s17, v4
	s_mov_b32 s15, s18
	s_or_b64 s[4:5], s[0:1], s[4:5]
	s_waitcnt vmcnt(0)
	v_fma_mix_f32 v1, v6, v6, v1 op_sel_hi:[1,1,0]
	s_andn2_b64 exec, exec, s[4:5]
	s_cbranch_execnz .LBB495_2
; %bb.3:
	s_or_b64 exec, exec, s[4:5]
.LBB495_4:
	s_or_b64 exec, exec, s[12:13]
	v_and_b32_e32 v3, 63, v0
	v_cmp_gt_u32_e32 vcc, 64, v0
	v_lshlrev_b32_e32 v2, 2, v3
	s_and_saveexec_b64 s[0:1], vcc
	s_cbranch_execz .LBB495_6
; %bb.5:
	v_mov_b32_e32 v4, 0
	ds_write_b32 v2, v4
.LBB495_6:
	s_or_b64 exec, exec, s[0:1]
	v_mbcnt_lo_u32_b32 v4, -1, 0
	v_mbcnt_hi_u32_b32 v6, -1, v4
	v_and_b32_e32 v7, 63, v6
	v_cmp_gt_u32_e64 s[0:1], 32, v7
	v_cndmask_b32_e64 v4, 0, 1, s[0:1]
	v_lshlrev_b32_e32 v4, 5, v4
	v_add_lshl_u32 v4, v4, v6, 2
	ds_bpermute_b32 v4, v4, v1
	v_cmp_gt_u32_e64 s[0:1], 48, v7
	v_cndmask_b32_e64 v5, 0, 1, s[0:1]
	v_lshlrev_b32_e32 v5, 4, v5
	v_cmp_gt_u32_e64 s[0:1], 56, v7
	s_waitcnt lgkmcnt(0)
	v_add_f32_e32 v1, v1, v4
	v_add_lshl_u32 v4, v5, v6, 2
	ds_bpermute_b32 v4, v4, v1
	v_cndmask_b32_e64 v5, 0, 1, s[0:1]
	v_lshlrev_b32_e32 v5, 3, v5
	v_cmp_gt_u32_e64 s[0:1], 60, v7
	s_waitcnt lgkmcnt(0)
	v_add_f32_e32 v1, v1, v4
	v_add_lshl_u32 v4, v5, v6, 2
	ds_bpermute_b32 v4, v4, v1
	v_cndmask_b32_e64 v5, 0, 1, s[0:1]
	v_lshlrev_b32_e32 v5, 2, v5
	v_cmp_gt_u32_e64 s[0:1], 62, v7
	v_cndmask_b32_e64 v8, 0, 1, s[0:1]
	s_waitcnt lgkmcnt(0)
	v_add_f32_e32 v1, v1, v4
	v_add_lshl_u32 v4, v5, v6, 2
	ds_bpermute_b32 v5, v4, v1
	v_lshlrev_b32_e32 v8, 1, v8
	v_cmp_ne_u32_e64 s[0:1], 63, v7
	s_barrier
	s_waitcnt lgkmcnt(0)
	v_add_f32_e32 v1, v1, v5
	v_add_lshl_u32 v5, v8, v6, 2
	ds_bpermute_b32 v8, v5, v1
	v_addc_co_u32_e64 v6, s[0:1], 0, v6, s[0:1]
	v_lshlrev_b32_e32 v6, 2, v6
	v_cmp_eq_u32_e64 s[0:1], 0, v3
	s_waitcnt lgkmcnt(0)
	v_add_f32_e32 v1, v1, v8
	ds_bpermute_b32 v7, v6, v1
	s_and_saveexec_b64 s[4:5], s[0:1]
	s_cbranch_execz .LBB495_8
; %bb.7:
	v_lshrrev_b32_e32 v3, 4, v0
	s_waitcnt lgkmcnt(0)
	v_add_f32_e32 v1, v1, v7
	v_and_b32_e32 v3, 28, v3
	ds_write_b32 v3, v1
.LBB495_8:
	s_or_b64 exec, exec, s[4:5]
	v_cmp_gt_u32_e64 s[0:1], 8, v0
	v_mov_b32_e32 v1, 0
	s_waitcnt lgkmcnt(0)
	s_barrier
	s_and_saveexec_b64 s[4:5], s[0:1]
	s_cbranch_execnz .LBB495_12
; %bb.9:
	s_or_b64 exec, exec, s[4:5]
	s_and_saveexec_b64 s[0:1], vcc
	s_cbranch_execnz .LBB495_13
.LBB495_10:
	s_or_b64 exec, exec, s[0:1]
	v_cmp_eq_u32_e32 vcc, 0, v0
	s_and_saveexec_b64 s[0:1], vcc
	s_cbranch_execnz .LBB495_14
.LBB495_11:
	s_endpgm
.LBB495_12:
	ds_read_b32 v1, v2
	s_or_b64 exec, exec, s[4:5]
	s_and_saveexec_b64 s[0:1], vcc
	s_cbranch_execz .LBB495_10
.LBB495_13:
	s_waitcnt lgkmcnt(0)
	ds_bpermute_b32 v2, v4, v1
	s_waitcnt lgkmcnt(0)
	v_add_f32_e32 v1, v1, v2
	ds_bpermute_b32 v2, v5, v1
	s_waitcnt lgkmcnt(0)
	v_add_f32_e32 v1, v1, v2
	;; [unrolled: 3-line block ×3, first 2 shown]
	s_or_b64 exec, exec, s[0:1]
	v_cmp_eq_u32_e32 vcc, 0, v0
	s_and_saveexec_b64 s[0:1], vcc
	s_cbranch_execz .LBB495_11
.LBB495_14:
	s_cmp_lg_u32 s16, 1
	s_mov_b64 s[0:1], -1
	s_cbranch_scc0 .LBB495_16
; %bb.15:
	s_mul_hi_u32 s1, s16, s2
	s_mul_i32 s0, s16, s2
	s_lshl_b64 s[0:1], s[0:1], 2
	s_mov_b32 s7, 0
	s_add_u32 s4, s8, s0
	s_addc_u32 s5, s9, s1
	s_lshl_b64 s[0:1], s[6:7], 2
	s_add_u32 s0, s4, s0
	s_addc_u32 s1, s5, s1
	v_mov_b32_e32 v0, 0
	s_waitcnt lgkmcnt(0)
	global_store_dword v0, v1, s[0:1]
	s_mov_b64 s[0:1], 0
.LBB495_16:
	s_andn2_b64 vcc, exec, s[0:1]
	s_cbranch_vccnz .LBB495_11
; %bb.17:
	s_waitcnt lgkmcnt(0)
	v_cvt_f16_f32_e32 v0, v1
	s_lshl_b64 s[0:1], s[2:3], 1
	s_add_u32 s0, s10, s0
	s_addc_u32 s1, s11, s1
	v_mov_b32_e32 v1, 0
	global_store_short v1, v0, s[0:1]
	s_endpgm
	.section	.rodata,"a",@progbits
	.p2align	6, 0x0
	.amdhsa_kernel _ZL24rocblas_dot_kernel_magsqIlLb0ELi512ELi8ELb1EDF16_PKPKDF16_fEviT5_lT_liPT6_PT4_
		.amdhsa_group_segment_fixed_size 256
		.amdhsa_private_segment_fixed_size 0
		.amdhsa_kernarg_size 320
		.amdhsa_user_sgpr_count 6
		.amdhsa_user_sgpr_private_segment_buffer 1
		.amdhsa_user_sgpr_dispatch_ptr 0
		.amdhsa_user_sgpr_queue_ptr 0
		.amdhsa_user_sgpr_kernarg_segment_ptr 1
		.amdhsa_user_sgpr_dispatch_id 0
		.amdhsa_user_sgpr_flat_scratch_init 0
		.amdhsa_user_sgpr_kernarg_preload_length 0
		.amdhsa_user_sgpr_kernarg_preload_offset 0
		.amdhsa_user_sgpr_private_segment_size 0
		.amdhsa_uses_dynamic_stack 0
		.amdhsa_system_sgpr_private_segment_wavefront_offset 0
		.amdhsa_system_sgpr_workgroup_id_x 1
		.amdhsa_system_sgpr_workgroup_id_y 0
		.amdhsa_system_sgpr_workgroup_id_z 1
		.amdhsa_system_sgpr_workgroup_info 0
		.amdhsa_system_vgpr_workitem_id 0
		.amdhsa_next_free_vgpr 9
		.amdhsa_next_free_sgpr 24
		.amdhsa_accum_offset 12
		.amdhsa_reserve_vcc 1
		.amdhsa_reserve_flat_scratch 0
		.amdhsa_float_round_mode_32 0
		.amdhsa_float_round_mode_16_64 0
		.amdhsa_float_denorm_mode_32 3
		.amdhsa_float_denorm_mode_16_64 3
		.amdhsa_dx10_clamp 1
		.amdhsa_ieee_mode 1
		.amdhsa_fp16_overflow 0
		.amdhsa_tg_split 0
		.amdhsa_exception_fp_ieee_invalid_op 0
		.amdhsa_exception_fp_denorm_src 0
		.amdhsa_exception_fp_ieee_div_zero 0
		.amdhsa_exception_fp_ieee_overflow 0
		.amdhsa_exception_fp_ieee_underflow 0
		.amdhsa_exception_fp_ieee_inexact 0
		.amdhsa_exception_int_div_zero 0
	.end_amdhsa_kernel
	.section	.text._ZL24rocblas_dot_kernel_magsqIlLb0ELi512ELi8ELb1EDF16_PKPKDF16_fEviT5_lT_liPT6_PT4_,"axG",@progbits,_ZL24rocblas_dot_kernel_magsqIlLb0ELi512ELi8ELb1EDF16_PKPKDF16_fEviT5_lT_liPT6_PT4_,comdat
.Lfunc_end495:
	.size	_ZL24rocblas_dot_kernel_magsqIlLb0ELi512ELi8ELb1EDF16_PKPKDF16_fEviT5_lT_liPT6_PT4_, .Lfunc_end495-_ZL24rocblas_dot_kernel_magsqIlLb0ELi512ELi8ELb1EDF16_PKPKDF16_fEviT5_lT_liPT6_PT4_
                                        ; -- End function
	.section	.AMDGPU.csdata,"",@progbits
; Kernel info:
; codeLenInByte = 928
; NumSgprs: 28
; NumVgprs: 9
; NumAgprs: 0
; TotalNumVgprs: 9
; ScratchSize: 0
; MemoryBound: 0
; FloatMode: 240
; IeeeMode: 1
; LDSByteSize: 256 bytes/workgroup (compile time only)
; SGPRBlocks: 3
; VGPRBlocks: 1
; NumSGPRsForWavesPerEU: 28
; NumVGPRsForWavesPerEU: 9
; AccumOffset: 12
; Occupancy: 8
; WaveLimiterHint : 0
; COMPUTE_PGM_RSRC2:SCRATCH_EN: 0
; COMPUTE_PGM_RSRC2:USER_SGPR: 6
; COMPUTE_PGM_RSRC2:TRAP_HANDLER: 0
; COMPUTE_PGM_RSRC2:TGID_X_EN: 1
; COMPUTE_PGM_RSRC2:TGID_Y_EN: 0
; COMPUTE_PGM_RSRC2:TGID_Z_EN: 1
; COMPUTE_PGM_RSRC2:TIDIG_COMP_CNT: 0
; COMPUTE_PGM_RSRC3_GFX90A:ACCUM_OFFSET: 2
; COMPUTE_PGM_RSRC3_GFX90A:TG_SPLIT: 0
	.section	.text._ZL28rocblas_dot_batched_4_kernelIiLi32ELi4ELb1EDF16_DF16_PKDF16_EviT5_lT_lS2_lS3_liPT4_,"axG",@progbits,_ZL28rocblas_dot_batched_4_kernelIiLi32ELi4ELb1EDF16_DF16_PKDF16_EviT5_lT_lS2_lS3_liPT4_,comdat
	.globl	_ZL28rocblas_dot_batched_4_kernelIiLi32ELi4ELb1EDF16_DF16_PKDF16_EviT5_lT_lS2_lS3_liPT4_ ; -- Begin function _ZL28rocblas_dot_batched_4_kernelIiLi32ELi4ELb1EDF16_DF16_PKDF16_EviT5_lT_lS2_lS3_liPT4_
	.p2align	8
	.type	_ZL28rocblas_dot_batched_4_kernelIiLi32ELi4ELb1EDF16_DF16_PKDF16_EviT5_lT_lS2_lS3_liPT4_,@function
_ZL28rocblas_dot_batched_4_kernelIiLi32ELi4ELb1EDF16_DF16_PKDF16_EviT5_lT_lS2_lS3_liPT4_: ; @_ZL28rocblas_dot_batched_4_kernelIiLi32ELi4ELb1EDF16_DF16_PKDF16_EviT5_lT_lS2_lS3_liPT4_
; %bb.0:
	s_load_dword s0, s[4:5], 0x48
	v_bfe_u32 v1, v0, 10, 10
	v_lshl_add_u32 v2, s6, 2, v1
	s_waitcnt lgkmcnt(0)
	v_cmp_gt_u32_e32 vcc, s0, v2
	s_and_saveexec_b64 s[0:1], vcc
	s_cbranch_execz .LBB496_7
; %bb.1:
	s_load_dword s10, s[4:5], 0x0
	s_load_dwordx2 s[0:1], s[4:5], 0x50
	v_mov_b32_e32 v3, 0
	v_and_b32_e32 v6, 0x3ff, v0
	v_mov_b32_e32 v7, v3
	s_waitcnt lgkmcnt(0)
	v_cmp_gt_i32_e32 vcc, s10, v6
	s_and_saveexec_b64 s[2:3], vcc
	s_cbranch_execz .LBB496_5
; %bb.2:
	s_load_dwordx4 s[12:15], s[4:5], 0x8
	s_load_dword s6, s[4:5], 0x18
	s_load_dword s8, s[4:5], 0x38
	s_load_dwordx4 s[16:19], s[4:5], 0x20
	s_load_dwordx2 s[20:21], s[4:5], 0x30
	s_load_dwordx2 s[22:23], s[4:5], 0x40
	s_waitcnt lgkmcnt(0)
	v_mad_i64_i32 v[0:1], s[4:5], s6, v6, 0
	v_mad_u64_u32 v[4:5], s[4:5], s16, v2, 0
	v_mov_b32_e32 v8, v5
	v_mad_u64_u32 v[8:9], s[4:5], s17, v2, v[8:9]
	v_mov_b32_e32 v5, v8
	s_ashr_i32 s7, s6, 31
	s_ashr_i32 s9, s8, 31
	v_lshlrev_b64 v[0:1], 1, v[0:1]
	v_lshlrev_b64 v[4:5], 1, v[4:5]
	s_lshl_b64 s[4:5], s[14:15], 1
	v_add_co_u32_e32 v0, vcc, v0, v4
	s_add_u32 s4, s12, s4
	v_addc_co_u32_e32 v1, vcc, v1, v5, vcc
	s_addc_u32 s5, s13, s5
	v_mov_b32_e32 v4, s5
	v_add_co_u32_e32 v0, vcc, s4, v0
	s_lshl_b64 s[4:5], s[6:7], 6
	v_mad_u64_u32 v[8:9], s[6:7], s22, v2, 0
	v_mov_b32_e32 v10, v9
	v_mad_u64_u32 v[10:11], s[6:7], s23, v2, v[10:11]
	v_addc_co_u32_e32 v1, vcc, v4, v1, vcc
	v_mad_i64_i32 v[4:5], s[6:7], s8, v6, 0
	v_mov_b32_e32 v9, v10
	v_lshlrev_b64 v[4:5], 1, v[4:5]
	v_lshlrev_b64 v[8:9], 1, v[8:9]
	s_lshl_b64 s[6:7], s[20:21], 1
	v_add_co_u32_e32 v4, vcc, v4, v8
	s_add_u32 s6, s18, s6
	v_addc_co_u32_e32 v5, vcc, v5, v9, vcc
	s_addc_u32 s7, s19, s7
	v_mov_b32_e32 v7, s7
	v_add_co_u32_e32 v4, vcc, s6, v4
	s_lshl_b64 s[8:9], s[8:9], 6
	v_addc_co_u32_e32 v5, vcc, v7, v5, vcc
	s_mov_b64 s[6:7], 0
	v_mov_b32_e32 v7, 0
	v_mov_b32_e32 v8, s5
	;; [unrolled: 1-line block ×4, first 2 shown]
.LBB496_3:                              ; =>This Inner Loop Header: Depth=1
	global_load_ushort v11, v[0:1], off
	global_load_ushort v12, v[4:5], off
	v_add_co_u32_e32 v0, vcc, s4, v0
	v_addc_co_u32_e32 v1, vcc, v1, v8, vcc
	v_add_co_u32_e32 v4, vcc, s8, v4
	v_add_u32_e32 v10, 32, v10
	v_addc_co_u32_e32 v5, vcc, v5, v9, vcc
	v_cmp_le_i32_e32 vcc, s10, v10
	s_or_b64 s[6:7], vcc, s[6:7]
	s_waitcnt vmcnt(0)
	v_fma_f16 v7, v11, v12, v7
	s_andn2_b64 exec, exec, s[6:7]
	s_cbranch_execnz .LBB496_3
; %bb.4:
	s_or_b64 exec, exec, s[6:7]
.LBB496_5:
	s_or_b64 exec, exec, s[2:3]
	v_mbcnt_lo_u32_b32 v0, -1, 0
	v_mbcnt_hi_u32_b32 v1, -1, v0
	v_and_b32_e32 v4, 63, v1
	v_cmp_gt_u32_e32 vcc, 48, v4
	v_cndmask_b32_e64 v5, 0, 1, vcc
	v_lshlrev_b32_e32 v5, 4, v5
	v_and_b32_e32 v0, 0xffff, v7
	v_add_lshl_u32 v5, v5, v1, 2
	ds_bpermute_b32 v0, v5, v0
	v_cmp_gt_u32_e32 vcc, 56, v4
	s_mov_b32 s2, 0xffff0000
	s_waitcnt lgkmcnt(0)
	s_barrier
	v_add_f16_e32 v5, v7, v0
	v_cndmask_b32_e64 v7, 0, 1, vcc
	v_lshlrev_b32_e32 v7, 3, v7
	v_and_or_b32 v0, v0, s2, v5
	v_add_lshl_u32 v7, v7, v1, 2
	ds_bpermute_b32 v0, v7, v0
	v_cmp_gt_u32_e32 vcc, 60, v4
	v_cndmask_b32_e64 v7, 0, 1, vcc
	v_lshlrev_b32_e32 v7, 2, v7
	v_add_lshl_u32 v7, v7, v1, 2
	s_waitcnt lgkmcnt(0)
	v_add_f16_e32 v5, v5, v0
	v_and_or_b32 v0, v0, s2, v5
	ds_bpermute_b32 v0, v7, v0
	v_cmp_gt_u32_e32 vcc, 62, v4
	v_cndmask_b32_e64 v7, 0, 1, vcc
	v_lshlrev_b32_e32 v7, 1, v7
	v_add_lshl_u32 v7, v7, v1, 2
	s_waitcnt lgkmcnt(0)
	v_add_f16_e32 v5, v5, v0
	v_and_or_b32 v0, v0, s2, v5
	ds_bpermute_b32 v7, v7, v0
	v_cmp_ne_u32_e32 vcc, 63, v4
	v_addc_co_u32_e32 v1, vcc, 0, v1, vcc
	v_lshlrev_b32_e32 v1, 2, v1
	s_waitcnt lgkmcnt(0)
	v_add_f16_e32 v0, v5, v7
	v_and_or_b32 v5, v7, s2, v0
	ds_bpermute_b32 v1, v1, v5
	v_cmp_eq_u32_e32 vcc, 0, v6
	s_waitcnt lgkmcnt(0)
	s_and_b64 exec, exec, vcc
	s_cbranch_execz .LBB496_7
; %bb.6:
	v_lshlrev_b64 v[2:3], 1, v[2:3]
	v_mov_b32_e32 v4, s1
	v_add_co_u32_e32 v2, vcc, s0, v2
	v_addc_co_u32_e32 v3, vcc, v4, v3, vcc
	v_add_f16_e32 v0, v0, v1
	global_store_short v[2:3], v0, off
.LBB496_7:
	s_endpgm
	.section	.rodata,"a",@progbits
	.p2align	6, 0x0
	.amdhsa_kernel _ZL28rocblas_dot_batched_4_kernelIiLi32ELi4ELb1EDF16_DF16_PKDF16_EviT5_lT_lS2_lS3_liPT4_
		.amdhsa_group_segment_fixed_size 0
		.amdhsa_private_segment_fixed_size 0
		.amdhsa_kernarg_size 88
		.amdhsa_user_sgpr_count 6
		.amdhsa_user_sgpr_private_segment_buffer 1
		.amdhsa_user_sgpr_dispatch_ptr 0
		.amdhsa_user_sgpr_queue_ptr 0
		.amdhsa_user_sgpr_kernarg_segment_ptr 1
		.amdhsa_user_sgpr_dispatch_id 0
		.amdhsa_user_sgpr_flat_scratch_init 0
		.amdhsa_user_sgpr_kernarg_preload_length 0
		.amdhsa_user_sgpr_kernarg_preload_offset 0
		.amdhsa_user_sgpr_private_segment_size 0
		.amdhsa_uses_dynamic_stack 0
		.amdhsa_system_sgpr_private_segment_wavefront_offset 0
		.amdhsa_system_sgpr_workgroup_id_x 1
		.amdhsa_system_sgpr_workgroup_id_y 0
		.amdhsa_system_sgpr_workgroup_id_z 0
		.amdhsa_system_sgpr_workgroup_info 0
		.amdhsa_system_vgpr_workitem_id 1
		.amdhsa_next_free_vgpr 13
		.amdhsa_next_free_sgpr 24
		.amdhsa_accum_offset 16
		.amdhsa_reserve_vcc 1
		.amdhsa_reserve_flat_scratch 0
		.amdhsa_float_round_mode_32 0
		.amdhsa_float_round_mode_16_64 0
		.amdhsa_float_denorm_mode_32 3
		.amdhsa_float_denorm_mode_16_64 3
		.amdhsa_dx10_clamp 1
		.amdhsa_ieee_mode 1
		.amdhsa_fp16_overflow 0
		.amdhsa_tg_split 0
		.amdhsa_exception_fp_ieee_invalid_op 0
		.amdhsa_exception_fp_denorm_src 0
		.amdhsa_exception_fp_ieee_div_zero 0
		.amdhsa_exception_fp_ieee_overflow 0
		.amdhsa_exception_fp_ieee_underflow 0
		.amdhsa_exception_fp_ieee_inexact 0
		.amdhsa_exception_int_div_zero 0
	.end_amdhsa_kernel
	.section	.text._ZL28rocblas_dot_batched_4_kernelIiLi32ELi4ELb1EDF16_DF16_PKDF16_EviT5_lT_lS2_lS3_liPT4_,"axG",@progbits,_ZL28rocblas_dot_batched_4_kernelIiLi32ELi4ELb1EDF16_DF16_PKDF16_EviT5_lT_lS2_lS3_liPT4_,comdat
.Lfunc_end496:
	.size	_ZL28rocblas_dot_batched_4_kernelIiLi32ELi4ELb1EDF16_DF16_PKDF16_EviT5_lT_lS2_lS3_liPT4_, .Lfunc_end496-_ZL28rocblas_dot_batched_4_kernelIiLi32ELi4ELb1EDF16_DF16_PKDF16_EviT5_lT_lS2_lS3_liPT4_
                                        ; -- End function
	.section	.AMDGPU.csdata,"",@progbits
; Kernel info:
; codeLenInByte = 712
; NumSgprs: 28
; NumVgprs: 13
; NumAgprs: 0
; TotalNumVgprs: 13
; ScratchSize: 0
; MemoryBound: 0
; FloatMode: 240
; IeeeMode: 1
; LDSByteSize: 0 bytes/workgroup (compile time only)
; SGPRBlocks: 3
; VGPRBlocks: 1
; NumSGPRsForWavesPerEU: 28
; NumVGPRsForWavesPerEU: 13
; AccumOffset: 16
; Occupancy: 8
; WaveLimiterHint : 0
; COMPUTE_PGM_RSRC2:SCRATCH_EN: 0
; COMPUTE_PGM_RSRC2:USER_SGPR: 6
; COMPUTE_PGM_RSRC2:TRAP_HANDLER: 0
; COMPUTE_PGM_RSRC2:TGID_X_EN: 1
; COMPUTE_PGM_RSRC2:TGID_Y_EN: 0
; COMPUTE_PGM_RSRC2:TGID_Z_EN: 0
; COMPUTE_PGM_RSRC2:TIDIG_COMP_CNT: 1
; COMPUTE_PGM_RSRC3_GFX90A:ACCUM_OFFSET: 3
; COMPUTE_PGM_RSRC3_GFX90A:TG_SPLIT: 0
	.section	.text._ZL28rocblas_dot_batched_4_kernelIiLi64ELi4ELb1EDF16_DF16_PKDF16_EviT5_lT_lS2_lS3_liPT4_,"axG",@progbits,_ZL28rocblas_dot_batched_4_kernelIiLi64ELi4ELb1EDF16_DF16_PKDF16_EviT5_lT_lS2_lS3_liPT4_,comdat
	.globl	_ZL28rocblas_dot_batched_4_kernelIiLi64ELi4ELb1EDF16_DF16_PKDF16_EviT5_lT_lS2_lS3_liPT4_ ; -- Begin function _ZL28rocblas_dot_batched_4_kernelIiLi64ELi4ELb1EDF16_DF16_PKDF16_EviT5_lT_lS2_lS3_liPT4_
	.p2align	8
	.type	_ZL28rocblas_dot_batched_4_kernelIiLi64ELi4ELb1EDF16_DF16_PKDF16_EviT5_lT_lS2_lS3_liPT4_,@function
_ZL28rocblas_dot_batched_4_kernelIiLi64ELi4ELb1EDF16_DF16_PKDF16_EviT5_lT_lS2_lS3_liPT4_: ; @_ZL28rocblas_dot_batched_4_kernelIiLi64ELi4ELb1EDF16_DF16_PKDF16_EviT5_lT_lS2_lS3_liPT4_
; %bb.0:
	s_load_dword s0, s[4:5], 0x48
	v_bfe_u32 v1, v0, 10, 10
	v_lshl_add_u32 v2, s6, 2, v1
	s_waitcnt lgkmcnt(0)
	v_cmp_gt_u32_e32 vcc, s0, v2
	s_and_saveexec_b64 s[0:1], vcc
	s_cbranch_execz .LBB497_7
; %bb.1:
	s_load_dword s10, s[4:5], 0x0
	s_load_dwordx2 s[0:1], s[4:5], 0x50
	v_mov_b32_e32 v3, 0
	v_and_b32_e32 v6, 0x3ff, v0
	v_mov_b32_e32 v7, v3
	s_waitcnt lgkmcnt(0)
	v_cmp_gt_i32_e32 vcc, s10, v6
	s_and_saveexec_b64 s[2:3], vcc
	s_cbranch_execz .LBB497_5
; %bb.2:
	s_load_dwordx4 s[12:15], s[4:5], 0x8
	s_load_dword s6, s[4:5], 0x18
	s_load_dword s8, s[4:5], 0x38
	s_load_dwordx4 s[16:19], s[4:5], 0x20
	s_load_dwordx2 s[20:21], s[4:5], 0x30
	s_load_dwordx2 s[22:23], s[4:5], 0x40
	s_waitcnt lgkmcnt(0)
	v_mad_i64_i32 v[0:1], s[4:5], s6, v6, 0
	v_mad_u64_u32 v[4:5], s[4:5], s16, v2, 0
	v_mov_b32_e32 v8, v5
	v_mad_u64_u32 v[8:9], s[4:5], s17, v2, v[8:9]
	v_mov_b32_e32 v5, v8
	s_ashr_i32 s7, s6, 31
	s_ashr_i32 s9, s8, 31
	v_lshlrev_b64 v[0:1], 1, v[0:1]
	v_lshlrev_b64 v[4:5], 1, v[4:5]
	s_lshl_b64 s[4:5], s[14:15], 1
	v_add_co_u32_e32 v0, vcc, v0, v4
	s_add_u32 s4, s12, s4
	v_addc_co_u32_e32 v1, vcc, v1, v5, vcc
	s_addc_u32 s5, s13, s5
	v_mov_b32_e32 v4, s5
	v_add_co_u32_e32 v0, vcc, s4, v0
	s_lshl_b64 s[4:5], s[6:7], 7
	v_mad_u64_u32 v[8:9], s[6:7], s22, v2, 0
	v_mov_b32_e32 v10, v9
	v_mad_u64_u32 v[10:11], s[6:7], s23, v2, v[10:11]
	v_addc_co_u32_e32 v1, vcc, v4, v1, vcc
	v_mad_i64_i32 v[4:5], s[6:7], s8, v6, 0
	v_mov_b32_e32 v9, v10
	v_lshlrev_b64 v[4:5], 1, v[4:5]
	v_lshlrev_b64 v[8:9], 1, v[8:9]
	s_lshl_b64 s[6:7], s[20:21], 1
	v_add_co_u32_e32 v4, vcc, v4, v8
	s_add_u32 s6, s18, s6
	v_addc_co_u32_e32 v5, vcc, v5, v9, vcc
	s_addc_u32 s7, s19, s7
	v_mov_b32_e32 v7, s7
	v_add_co_u32_e32 v4, vcc, s6, v4
	s_lshl_b64 s[8:9], s[8:9], 7
	v_addc_co_u32_e32 v5, vcc, v7, v5, vcc
	s_mov_b64 s[6:7], 0
	v_mov_b32_e32 v7, 0
	v_mov_b32_e32 v8, s5
	;; [unrolled: 1-line block ×4, first 2 shown]
.LBB497_3:                              ; =>This Inner Loop Header: Depth=1
	global_load_ushort v11, v[0:1], off
	global_load_ushort v12, v[4:5], off
	v_add_co_u32_e32 v0, vcc, s4, v0
	v_addc_co_u32_e32 v1, vcc, v1, v8, vcc
	v_add_co_u32_e32 v4, vcc, s8, v4
	v_add_u32_e32 v10, 64, v10
	v_addc_co_u32_e32 v5, vcc, v5, v9, vcc
	v_cmp_le_i32_e32 vcc, s10, v10
	s_or_b64 s[6:7], vcc, s[6:7]
	s_waitcnt vmcnt(0)
	v_fma_f16 v7, v11, v12, v7
	s_andn2_b64 exec, exec, s[6:7]
	s_cbranch_execnz .LBB497_3
; %bb.4:
	s_or_b64 exec, exec, s[6:7]
.LBB497_5:
	s_or_b64 exec, exec, s[2:3]
	v_mbcnt_lo_u32_b32 v0, -1, 0
	v_mbcnt_hi_u32_b32 v1, -1, v0
	v_and_b32_e32 v4, 63, v1
	v_cmp_gt_u32_e32 vcc, 32, v4
	v_cndmask_b32_e64 v5, 0, 1, vcc
	v_lshlrev_b32_e32 v5, 5, v5
	v_and_b32_e32 v0, 0xffff, v7
	v_add_lshl_u32 v5, v5, v1, 2
	ds_bpermute_b32 v0, v5, v0
	v_cmp_gt_u32_e32 vcc, 48, v4
	s_mov_b32 s2, 0xffff0000
	s_waitcnt lgkmcnt(0)
	s_barrier
	v_add_f16_e32 v5, v7, v0
	v_cndmask_b32_e64 v7, 0, 1, vcc
	v_lshlrev_b32_e32 v7, 4, v7
	v_and_or_b32 v0, v0, s2, v5
	v_add_lshl_u32 v7, v7, v1, 2
	ds_bpermute_b32 v0, v7, v0
	v_cmp_gt_u32_e32 vcc, 56, v4
	v_cndmask_b32_e64 v7, 0, 1, vcc
	v_lshlrev_b32_e32 v7, 3, v7
	v_add_lshl_u32 v7, v7, v1, 2
	s_waitcnt lgkmcnt(0)
	v_add_f16_e32 v5, v5, v0
	v_and_or_b32 v0, v0, s2, v5
	ds_bpermute_b32 v0, v7, v0
	v_cmp_gt_u32_e32 vcc, 60, v4
	v_cndmask_b32_e64 v7, 0, 1, vcc
	v_lshlrev_b32_e32 v7, 2, v7
	v_add_lshl_u32 v7, v7, v1, 2
	s_waitcnt lgkmcnt(0)
	v_add_f16_e32 v5, v5, v0
	v_and_or_b32 v0, v0, s2, v5
	;; [unrolled: 8-line block ×3, first 2 shown]
	ds_bpermute_b32 v7, v7, v0
	v_cmp_ne_u32_e32 vcc, 63, v4
	v_addc_co_u32_e32 v1, vcc, 0, v1, vcc
	v_lshlrev_b32_e32 v1, 2, v1
	s_waitcnt lgkmcnt(0)
	v_add_f16_e32 v0, v5, v7
	v_and_or_b32 v5, v7, s2, v0
	ds_bpermute_b32 v1, v1, v5
	v_cmp_eq_u32_e32 vcc, 0, v6
	s_waitcnt lgkmcnt(0)
	s_and_b64 exec, exec, vcc
	s_cbranch_execz .LBB497_7
; %bb.6:
	v_lshlrev_b64 v[2:3], 1, v[2:3]
	v_mov_b32_e32 v4, s1
	v_add_co_u32_e32 v2, vcc, s0, v2
	v_addc_co_u32_e32 v3, vcc, v4, v3, vcc
	v_add_f16_e32 v0, v0, v1
	global_store_short v[2:3], v0, off
.LBB497_7:
	s_endpgm
	.section	.rodata,"a",@progbits
	.p2align	6, 0x0
	.amdhsa_kernel _ZL28rocblas_dot_batched_4_kernelIiLi64ELi4ELb1EDF16_DF16_PKDF16_EviT5_lT_lS2_lS3_liPT4_
		.amdhsa_group_segment_fixed_size 0
		.amdhsa_private_segment_fixed_size 0
		.amdhsa_kernarg_size 88
		.amdhsa_user_sgpr_count 6
		.amdhsa_user_sgpr_private_segment_buffer 1
		.amdhsa_user_sgpr_dispatch_ptr 0
		.amdhsa_user_sgpr_queue_ptr 0
		.amdhsa_user_sgpr_kernarg_segment_ptr 1
		.amdhsa_user_sgpr_dispatch_id 0
		.amdhsa_user_sgpr_flat_scratch_init 0
		.amdhsa_user_sgpr_kernarg_preload_length 0
		.amdhsa_user_sgpr_kernarg_preload_offset 0
		.amdhsa_user_sgpr_private_segment_size 0
		.amdhsa_uses_dynamic_stack 0
		.amdhsa_system_sgpr_private_segment_wavefront_offset 0
		.amdhsa_system_sgpr_workgroup_id_x 1
		.amdhsa_system_sgpr_workgroup_id_y 0
		.amdhsa_system_sgpr_workgroup_id_z 0
		.amdhsa_system_sgpr_workgroup_info 0
		.amdhsa_system_vgpr_workitem_id 1
		.amdhsa_next_free_vgpr 13
		.amdhsa_next_free_sgpr 24
		.amdhsa_accum_offset 16
		.amdhsa_reserve_vcc 1
		.amdhsa_reserve_flat_scratch 0
		.amdhsa_float_round_mode_32 0
		.amdhsa_float_round_mode_16_64 0
		.amdhsa_float_denorm_mode_32 3
		.amdhsa_float_denorm_mode_16_64 3
		.amdhsa_dx10_clamp 1
		.amdhsa_ieee_mode 1
		.amdhsa_fp16_overflow 0
		.amdhsa_tg_split 0
		.amdhsa_exception_fp_ieee_invalid_op 0
		.amdhsa_exception_fp_denorm_src 0
		.amdhsa_exception_fp_ieee_div_zero 0
		.amdhsa_exception_fp_ieee_overflow 0
		.amdhsa_exception_fp_ieee_underflow 0
		.amdhsa_exception_fp_ieee_inexact 0
		.amdhsa_exception_int_div_zero 0
	.end_amdhsa_kernel
	.section	.text._ZL28rocblas_dot_batched_4_kernelIiLi64ELi4ELb1EDF16_DF16_PKDF16_EviT5_lT_lS2_lS3_liPT4_,"axG",@progbits,_ZL28rocblas_dot_batched_4_kernelIiLi64ELi4ELb1EDF16_DF16_PKDF16_EviT5_lT_lS2_lS3_liPT4_,comdat
.Lfunc_end497:
	.size	_ZL28rocblas_dot_batched_4_kernelIiLi64ELi4ELb1EDF16_DF16_PKDF16_EviT5_lT_lS2_lS3_liPT4_, .Lfunc_end497-_ZL28rocblas_dot_batched_4_kernelIiLi64ELi4ELb1EDF16_DF16_PKDF16_EviT5_lT_lS2_lS3_liPT4_
                                        ; -- End function
	.section	.AMDGPU.csdata,"",@progbits
; Kernel info:
; codeLenInByte = 760
; NumSgprs: 28
; NumVgprs: 13
; NumAgprs: 0
; TotalNumVgprs: 13
; ScratchSize: 0
; MemoryBound: 0
; FloatMode: 240
; IeeeMode: 1
; LDSByteSize: 0 bytes/workgroup (compile time only)
; SGPRBlocks: 3
; VGPRBlocks: 1
; NumSGPRsForWavesPerEU: 28
; NumVGPRsForWavesPerEU: 13
; AccumOffset: 16
; Occupancy: 8
; WaveLimiterHint : 0
; COMPUTE_PGM_RSRC2:SCRATCH_EN: 0
; COMPUTE_PGM_RSRC2:USER_SGPR: 6
; COMPUTE_PGM_RSRC2:TRAP_HANDLER: 0
; COMPUTE_PGM_RSRC2:TGID_X_EN: 1
; COMPUTE_PGM_RSRC2:TGID_Y_EN: 0
; COMPUTE_PGM_RSRC2:TGID_Z_EN: 0
; COMPUTE_PGM_RSRC2:TIDIG_COMP_CNT: 1
; COMPUTE_PGM_RSRC3_GFX90A:ACCUM_OFFSET: 3
; COMPUTE_PGM_RSRC3_GFX90A:TG_SPLIT: 0
	.section	.text._ZL26rocblas_dot_kernel_inc1by2ILb1ELi1024ELi32ELb1EDF16_PKDF16_DF16_EviT4_llS2_lliPT5_PT3_,"axG",@progbits,_ZL26rocblas_dot_kernel_inc1by2ILb1ELi1024ELi32ELb1EDF16_PKDF16_DF16_EviT4_llS2_lliPT5_PT3_,comdat
	.globl	_ZL26rocblas_dot_kernel_inc1by2ILb1ELi1024ELi32ELb1EDF16_PKDF16_DF16_EviT4_llS2_lliPT5_PT3_ ; -- Begin function _ZL26rocblas_dot_kernel_inc1by2ILb1ELi1024ELi32ELb1EDF16_PKDF16_DF16_EviT4_llS2_lliPT5_PT3_
	.p2align	8
	.type	_ZL26rocblas_dot_kernel_inc1by2ILb1ELi1024ELi32ELb1EDF16_PKDF16_DF16_EviT4_llS2_lliPT5_PT3_,@function
_ZL26rocblas_dot_kernel_inc1by2ILb1ELi1024ELi32ELb1EDF16_PKDF16_DF16_EviT4_llS2_lliPT5_PT3_: ; @_ZL26rocblas_dot_kernel_inc1by2ILb1ELi1024ELi32ELb1EDF16_PKDF16_DF16_EviT4_llS2_lliPT5_PT3_
; %bb.0:
	s_mov_b32 s2, s7
	s_load_dword s24, s[4:5], 0x0
	s_load_dwordx2 s[18:19], s[4:5], 0x8
	s_load_dwordx4 s[12:15], s[4:5], 0x10
	s_load_dwordx2 s[16:17], s[4:5], 0x20
	s_load_dwordx2 s[6:7], s[4:5], 0x48
	s_load_dwordx4 s[8:11], s[4:5], 0x28
	v_lshlrev_b32_e32 v6, 1, v0
	s_waitcnt lgkmcnt(0)
	s_mul_i32 s0, s2, s15
	s_mul_hi_u32 s1, s2, s14
	s_add_i32 s15, s1, s0
	s_mul_i32 s0, s2, s11
	s_mul_hi_u32 s1, s2, s10
	s_add_i32 s4, s24, -1
	s_mov_b32 s3, 0
	s_mul_i32 s14, s2, s14
	s_add_i32 s11, s1, s0
	s_mul_i32 s10, s2, s10
	v_cmp_gt_i32_e32 vcc, s4, v6
	v_mov_b32_e32 v1, 0
	s_and_saveexec_b64 s[20:21], vcc
	s_cbranch_execz .LBB498_4
; %bb.1:
	s_lshl_b64 s[0:1], s[10:11], 1
	s_lshl_b64 s[22:23], s[8:9], 1
	s_add_u32 s5, s16, s22
	s_addc_u32 s22, s17, s23
	s_add_u32 s0, s5, s0
	v_lshlrev_b32_e32 v4, 2, v0
	s_addc_u32 s1, s22, s1
	v_mov_b32_e32 v3, s1
	v_add_co_u32_e32 v2, vcc, s0, v4
	s_lshl_b64 s[0:1], s[14:15], 1
	s_lshl_b64 s[22:23], s[12:13], 1
	s_add_u32 s5, s18, s22
	s_addc_u32 s22, s19, s23
	s_add_u32 s0, s5, s0
	v_addc_co_u32_e32 v3, vcc, 0, v3, vcc
	s_addc_u32 s1, s22, s1
	v_mov_b32_e32 v5, s1
	v_add_co_u32_e32 v4, vcc, s0, v4
	v_mov_b32_e32 v1, 0
	v_addc_co_u32_e32 v5, vcc, 0, v5, vcc
	s_mov_b64 s[22:23], 0
	s_mov_b32 s5, s3
.LBB498_2:                              ; =>This Inner Loop Header: Depth=1
	global_load_dword v7, v[2:3], off
	global_load_dword v8, v[4:5], off
	s_add_i32 s25, s5, 1
	v_add_u32_e32 v6, 0x800, v6
	s_cmp_gt_u32 s5, 30
	v_add_co_u32_e32 v2, vcc, 0x1000, v2
	v_cmp_le_i32_e64 s[0:1], s4, v6
	s_cselect_b64 s[26:27], -1, 0
	v_addc_co_u32_e32 v3, vcc, 0, v3, vcc
	s_or_b64 s[0:1], s[26:27], s[0:1]
	v_add_co_u32_e32 v4, vcc, 0x1000, v4
	s_and_b64 s[0:1], exec, s[0:1]
	s_mov_b32 s5, s25
	v_addc_co_u32_e32 v5, vcc, 0, v5, vcc
	s_or_b64 s[22:23], s[0:1], s[22:23]
	s_waitcnt vmcnt(0)
	v_pk_mul_f16 v7, v7, v8
	v_add_f16_e32 v1, v1, v7
	v_add_f16_sdwa v1, v1, v7 dst_sel:DWORD dst_unused:UNUSED_PAD src0_sel:DWORD src1_sel:WORD_1
	s_andn2_b64 exec, exec, s[22:23]
	s_cbranch_execnz .LBB498_2
; %bb.3:
	s_or_b64 exec, exec, s[22:23]
.LBB498_4:
	s_or_b64 exec, exec, s[20:21]
	s_bitcmp1_b32 s24, 0
	s_cselect_b64 s[0:1], -1, 0
	v_cmp_eq_u32_e32 vcc, s4, v6
	s_and_b64 s[20:21], s[0:1], vcc
	s_and_saveexec_b64 s[0:1], s[20:21]
	s_cbranch_execz .LBB498_6
; %bb.5:
	s_lshl_b64 s[14:15], s[14:15], 1
	s_add_u32 s5, s18, s14
	s_addc_u32 s14, s19, s15
	s_lshl_b64 s[12:13], s[12:13], 1
	s_add_u32 s12, s5, s12
	s_addc_u32 s13, s14, s13
	;; [unrolled: 3-line block ×3, first 2 shown]
	s_lshl_b64 s[8:9], s[8:9], 1
	s_add_u32 s11, s5, s8
	s_mov_b32 s5, 0
	s_addc_u32 s10, s10, s9
	s_lshl_b64 s[4:5], s[4:5], 1
	s_add_u32 s8, s12, s4
	s_addc_u32 s9, s13, s5
	s_add_u32 s4, s11, s4
	v_mov_b32_e32 v2, 0
	s_addc_u32 s5, s10, s5
	global_load_ushort v3, v2, s[4:5]
	global_load_ushort v4, v2, s[8:9]
	s_waitcnt vmcnt(0)
	v_fma_f16 v1, v3, v4, v1
.LBB498_6:
	s_or_b64 exec, exec, s[0:1]
	v_and_b32_e32 v3, 63, v0
	v_cmp_gt_u32_e32 vcc, 64, v0
	v_lshlrev_b32_e32 v2, 1, v3
	s_and_saveexec_b64 s[0:1], vcc
	s_cbranch_execz .LBB498_8
; %bb.7:
	v_mov_b32_e32 v4, 0
	ds_write_b16 v2, v4
.LBB498_8:
	s_or_b64 exec, exec, s[0:1]
	v_mbcnt_lo_u32_b32 v4, -1, 0
	v_mbcnt_hi_u32_b32 v6, -1, v4
	v_and_b32_e32 v8, 63, v6
	v_cmp_gt_u32_e64 s[0:1], 32, v8
	v_cndmask_b32_e64 v5, 0, 1, s[0:1]
	v_lshlrev_b32_e32 v5, 5, v5
	v_and_b32_e32 v4, 0xffff, v1
	v_add_lshl_u32 v5, v5, v6, 2
	ds_bpermute_b32 v4, v5, v4
	v_cmp_gt_u32_e64 s[0:1], 48, v8
	v_cndmask_b32_e64 v5, 0, 1, s[0:1]
	s_mov_b32 s4, 0xffff0000
	v_lshlrev_b32_e32 v5, 4, v5
	s_waitcnt lgkmcnt(0)
	v_add_f16_e32 v1, v1, v4
	v_and_or_b32 v4, v4, s4, v1
	v_add_lshl_u32 v5, v5, v6, 2
	ds_bpermute_b32 v4, v5, v4
	v_cmp_gt_u32_e64 s[0:1], 56, v8
	s_waitcnt lgkmcnt(0)
	s_barrier
	v_add_f16_e32 v5, v1, v4
	v_cndmask_b32_e64 v1, 0, 1, s[0:1]
	v_lshlrev_b32_e32 v1, 3, v1
	v_and_or_b32 v4, v4, s4, v5
	v_add_lshl_u32 v1, v1, v6, 2
	ds_bpermute_b32 v4, v1, v4
	v_cmp_gt_u32_e64 s[0:1], 60, v8
	s_waitcnt lgkmcnt(0)
	v_add_f16_e32 v5, v5, v4
	v_and_or_b32 v7, v4, s4, v5
	v_cndmask_b32_e64 v4, 0, 1, s[0:1]
	v_lshlrev_b32_e32 v4, 2, v4
	v_add_lshl_u32 v4, v4, v6, 2
	ds_bpermute_b32 v7, v4, v7
	v_cmp_gt_u32_e64 s[0:1], 62, v8
	s_waitcnt lgkmcnt(0)
	v_add_f16_e32 v9, v5, v7
	v_cndmask_b32_e64 v5, 0, 1, s[0:1]
	v_lshlrev_b32_e32 v5, 1, v5
	v_and_or_b32 v7, v7, s4, v9
	v_add_lshl_u32 v5, v5, v6, 2
	ds_bpermute_b32 v10, v5, v7
	v_cmp_ne_u32_e64 s[0:1], 63, v8
	v_addc_co_u32_e64 v6, s[0:1], 0, v6, s[0:1]
	v_lshlrev_b32_e32 v6, 2, v6
	s_waitcnt lgkmcnt(0)
	v_add_f16_e32 v7, v9, v10
	v_and_or_b32 v9, v10, s4, v7
	ds_bpermute_b32 v8, v6, v9
	v_cmp_eq_u32_e64 s[0:1], 0, v3
	s_and_saveexec_b64 s[4:5], s[0:1]
	s_cbranch_execz .LBB498_10
; %bb.9:
	s_waitcnt lgkmcnt(0)
	v_add_f16_e32 v3, v7, v8
	v_lshrrev_b32_e32 v7, 5, v0
	v_and_b32_e32 v7, 30, v7
	ds_write_b16 v7, v3
.LBB498_10:
	s_or_b64 exec, exec, s[4:5]
	v_cmp_gt_u32_e64 s[0:1], 16, v0
	v_mov_b32_e32 v3, 0
	s_waitcnt lgkmcnt(0)
	s_barrier
	s_and_saveexec_b64 s[4:5], s[0:1]
	s_cbranch_execnz .LBB498_14
; %bb.11:
	s_or_b64 exec, exec, s[4:5]
	s_and_saveexec_b64 s[0:1], vcc
	s_cbranch_execnz .LBB498_15
.LBB498_12:
	s_or_b64 exec, exec, s[0:1]
	v_cmp_eq_u32_e32 vcc, 0, v0
	s_and_saveexec_b64 s[0:1], vcc
	s_cbranch_execnz .LBB498_16
.LBB498_13:
	s_endpgm
.LBB498_14:
	ds_read_u16 v3, v2
	s_or_b64 exec, exec, s[4:5]
	s_and_saveexec_b64 s[0:1], vcc
	s_cbranch_execz .LBB498_12
.LBB498_15:
	s_waitcnt lgkmcnt(0)
	v_and_b32_e32 v2, 0xffff, v3
	ds_bpermute_b32 v1, v1, v2
	s_mov_b32 s4, 0xffff0000
	s_waitcnt lgkmcnt(0)
	v_add_f16_e32 v2, v3, v1
	v_and_or_b32 v1, v1, s4, v2
	ds_bpermute_b32 v1, v4, v1
	s_waitcnt lgkmcnt(0)
	v_add_f16_e32 v2, v2, v1
	v_and_or_b32 v1, v1, s4, v2
	ds_bpermute_b32 v1, v5, v1
	s_waitcnt lgkmcnt(0)
	v_add_f16_e32 v2, v2, v1
	v_and_or_b32 v1, v1, s4, v2
	ds_bpermute_b32 v1, v6, v1
	s_waitcnt lgkmcnt(0)
	v_add_f16_e32 v3, v2, v1
	s_or_b64 exec, exec, s[0:1]
	v_cmp_eq_u32_e32 vcc, 0, v0
	s_and_saveexec_b64 s[0:1], vcc
	s_cbranch_execz .LBB498_13
.LBB498_16:
	s_lshl_b64 s[0:1], s[2:3], 1
	s_add_u32 s0, s6, s0
	s_addc_u32 s1, s7, s1
	v_mov_b32_e32 v0, 0
	s_waitcnt lgkmcnt(0)
	global_store_short v0, v3, s[0:1]
	s_endpgm
	.section	.rodata,"a",@progbits
	.p2align	6, 0x0
	.amdhsa_kernel _ZL26rocblas_dot_kernel_inc1by2ILb1ELi1024ELi32ELb1EDF16_PKDF16_DF16_EviT4_llS2_lliPT5_PT3_
		.amdhsa_group_segment_fixed_size 128
		.amdhsa_private_segment_fixed_size 0
		.amdhsa_kernarg_size 80
		.amdhsa_user_sgpr_count 6
		.amdhsa_user_sgpr_private_segment_buffer 1
		.amdhsa_user_sgpr_dispatch_ptr 0
		.amdhsa_user_sgpr_queue_ptr 0
		.amdhsa_user_sgpr_kernarg_segment_ptr 1
		.amdhsa_user_sgpr_dispatch_id 0
		.amdhsa_user_sgpr_flat_scratch_init 0
		.amdhsa_user_sgpr_kernarg_preload_length 0
		.amdhsa_user_sgpr_kernarg_preload_offset 0
		.amdhsa_user_sgpr_private_segment_size 0
		.amdhsa_uses_dynamic_stack 0
		.amdhsa_system_sgpr_private_segment_wavefront_offset 0
		.amdhsa_system_sgpr_workgroup_id_x 1
		.amdhsa_system_sgpr_workgroup_id_y 0
		.amdhsa_system_sgpr_workgroup_id_z 1
		.amdhsa_system_sgpr_workgroup_info 0
		.amdhsa_system_vgpr_workitem_id 0
		.amdhsa_next_free_vgpr 11
		.amdhsa_next_free_sgpr 28
		.amdhsa_accum_offset 12
		.amdhsa_reserve_vcc 1
		.amdhsa_reserve_flat_scratch 0
		.amdhsa_float_round_mode_32 0
		.amdhsa_float_round_mode_16_64 0
		.amdhsa_float_denorm_mode_32 3
		.amdhsa_float_denorm_mode_16_64 3
		.amdhsa_dx10_clamp 1
		.amdhsa_ieee_mode 1
		.amdhsa_fp16_overflow 0
		.amdhsa_tg_split 0
		.amdhsa_exception_fp_ieee_invalid_op 0
		.amdhsa_exception_fp_denorm_src 0
		.amdhsa_exception_fp_ieee_div_zero 0
		.amdhsa_exception_fp_ieee_overflow 0
		.amdhsa_exception_fp_ieee_underflow 0
		.amdhsa_exception_fp_ieee_inexact 0
		.amdhsa_exception_int_div_zero 0
	.end_amdhsa_kernel
	.section	.text._ZL26rocblas_dot_kernel_inc1by2ILb1ELi1024ELi32ELb1EDF16_PKDF16_DF16_EviT4_llS2_lliPT5_PT3_,"axG",@progbits,_ZL26rocblas_dot_kernel_inc1by2ILb1ELi1024ELi32ELb1EDF16_PKDF16_DF16_EviT4_llS2_lliPT5_PT3_,comdat
.Lfunc_end498:
	.size	_ZL26rocblas_dot_kernel_inc1by2ILb1ELi1024ELi32ELb1EDF16_PKDF16_DF16_EviT4_llS2_lliPT5_PT3_, .Lfunc_end498-_ZL26rocblas_dot_kernel_inc1by2ILb1ELi1024ELi32ELb1EDF16_PKDF16_DF16_EviT4_llS2_lliPT5_PT3_
                                        ; -- End function
	.section	.AMDGPU.csdata,"",@progbits
; Kernel info:
; codeLenInByte = 1104
; NumSgprs: 32
; NumVgprs: 11
; NumAgprs: 0
; TotalNumVgprs: 11
; ScratchSize: 0
; MemoryBound: 0
; FloatMode: 240
; IeeeMode: 1
; LDSByteSize: 128 bytes/workgroup (compile time only)
; SGPRBlocks: 3
; VGPRBlocks: 1
; NumSGPRsForWavesPerEU: 32
; NumVGPRsForWavesPerEU: 11
; AccumOffset: 12
; Occupancy: 8
; WaveLimiterHint : 0
; COMPUTE_PGM_RSRC2:SCRATCH_EN: 0
; COMPUTE_PGM_RSRC2:USER_SGPR: 6
; COMPUTE_PGM_RSRC2:TRAP_HANDLER: 0
; COMPUTE_PGM_RSRC2:TGID_X_EN: 1
; COMPUTE_PGM_RSRC2:TGID_Y_EN: 0
; COMPUTE_PGM_RSRC2:TGID_Z_EN: 1
; COMPUTE_PGM_RSRC2:TIDIG_COMP_CNT: 0
; COMPUTE_PGM_RSRC3_GFX90A:ACCUM_OFFSET: 2
; COMPUTE_PGM_RSRC3_GFX90A:TG_SPLIT: 0
	.section	.text._ZL18rocblas_dot_kernelIiLb1ELi1024ELi32ELb1EDF16_PKDF16_DF16_EviT5_lT_lS2_lS3_liPT6_PT4_,"axG",@progbits,_ZL18rocblas_dot_kernelIiLb1ELi1024ELi32ELb1EDF16_PKDF16_DF16_EviT5_lT_lS2_lS3_liPT6_PT4_,comdat
	.globl	_ZL18rocblas_dot_kernelIiLb1ELi1024ELi32ELb1EDF16_PKDF16_DF16_EviT5_lT_lS2_lS3_liPT6_PT4_ ; -- Begin function _ZL18rocblas_dot_kernelIiLb1ELi1024ELi32ELb1EDF16_PKDF16_DF16_EviT5_lT_lS2_lS3_liPT6_PT4_
	.p2align	8
	.type	_ZL18rocblas_dot_kernelIiLb1ELi1024ELi32ELb1EDF16_PKDF16_DF16_EviT5_lT_lS2_lS3_liPT6_PT4_,@function
_ZL18rocblas_dot_kernelIiLb1ELi1024ELi32ELb1EDF16_PKDF16_DF16_EviT5_lT_lS2_lS3_liPT6_PT4_: ; @_ZL18rocblas_dot_kernelIiLb1ELi1024ELi32ELb1EDF16_PKDF16_DF16_EviT5_lT_lS2_lS3_liPT6_PT4_
; %bb.0:
	s_load_dword s14, s[4:5], 0x0
	s_load_dwordx2 s[8:9], s[4:5], 0x58
	s_mov_b32 s6, s7
	s_mov_b32 s7, 0
	v_mov_b32_e32 v6, 0
	s_waitcnt lgkmcnt(0)
	v_cmp_gt_i32_e32 vcc, s14, v0
	s_and_saveexec_b64 s[10:11], vcc
	s_cbranch_execz .LBB499_4
; %bb.1:
	s_load_dword s22, s[4:5], 0x38
	s_load_dwordx2 s[12:13], s[4:5], 0x40
	s_load_dword s15, s[4:5], 0x60
	s_load_dwordx4 s[0:3], s[4:5], 0x20
	s_load_dwordx4 s[16:19], s[4:5], 0x8
	s_load_dword s23, s[4:5], 0x18
	s_load_dwordx2 s[20:21], s[4:5], 0x30
	s_waitcnt lgkmcnt(0)
	s_lshl_b32 s15, s15, 10
	s_mul_i32 s1, s1, s6
	s_mul_hi_u32 s4, s0, s6
	s_add_i32 s1, s4, s1
	s_mul_i32 s0, s0, s6
	v_mad_i64_i32 v[2:3], s[4:5], s23, v0, 0
	s_lshl_b64 s[0:1], s[0:1], 1
	s_lshl_b64 s[4:5], s[18:19], 1
	s_add_u32 s4, s16, s4
	s_addc_u32 s5, s17, s5
	s_add_u32 s0, s4, s0
	v_lshlrev_b64 v[2:3], 1, v[2:3]
	s_addc_u32 s1, s5, s1
	v_mov_b32_e32 v4, s1
	v_add_co_u32_e32 v2, vcc, s0, v2
	s_mul_hi_i32 s1, s23, s15
	s_mul_i32 s0, s23, s15
	s_lshl_b64 s[4:5], s[0:1], 1
	s_mul_i32 s0, s13, s6
	s_mul_hi_u32 s1, s12, s6
	v_addc_co_u32_e32 v3, vcc, v4, v3, vcc
	s_add_i32 s1, s1, s0
	s_mul_i32 s0, s12, s6
	v_mad_i64_i32 v[4:5], s[12:13], s22, v0, 0
	s_lshl_b64 s[0:1], s[0:1], 1
	s_lshl_b64 s[12:13], s[20:21], 1
	s_add_u32 s2, s2, s12
	s_addc_u32 s3, s3, s13
	s_add_u32 s0, s2, s0
	v_lshlrev_b64 v[4:5], 1, v[4:5]
	s_addc_u32 s1, s3, s1
	v_mov_b32_e32 v6, s1
	v_add_co_u32_e32 v4, vcc, s0, v4
	s_mul_hi_i32 s1, s22, s15
	s_mul_i32 s0, s22, s15
	s_lshl_b64 s[12:13], s[0:1], 1
	v_or_b32_e32 v1, s15, v0
	v_addc_co_u32_e32 v5, vcc, v6, v5, vcc
	s_mov_b64 s[2:3], 0
	v_mov_b32_e32 v6, 0
	v_mov_b32_e32 v7, s5
	;; [unrolled: 1-line block ×3, first 2 shown]
	s_mov_b32 s5, s7
.LBB499_2:                              ; =>This Inner Loop Header: Depth=1
	global_load_ushort v9, v[4:5], off
	global_load_ushort v10, v[2:3], off
	v_add_co_u32_e64 v2, s[0:1], s4, v2
	v_addc_co_u32_e64 v3, s[0:1], v3, v7, s[0:1]
	s_add_i32 s13, s5, 1
	v_add_co_u32_e64 v4, s[0:1], s12, v4
	v_addc_co_u32_e64 v5, s[0:1], v5, v8, s[0:1]
	s_cmp_gt_u32 s5, 30
	v_cmp_le_i32_e32 vcc, s14, v1
	s_cselect_b64 s[0:1], -1, 0
	s_or_b64 s[0:1], s[0:1], vcc
	s_and_b64 s[0:1], exec, s[0:1]
	v_add_u32_e32 v1, s15, v1
	s_mov_b32 s5, s13
	s_or_b64 s[2:3], s[0:1], s[2:3]
	s_waitcnt vmcnt(0)
	v_fma_f16 v6, v9, v10, v6
	s_andn2_b64 exec, exec, s[2:3]
	s_cbranch_execnz .LBB499_2
; %bb.3:
	s_or_b64 exec, exec, s[2:3]
.LBB499_4:
	s_or_b64 exec, exec, s[10:11]
	v_and_b32_e32 v2, 63, v0
	v_cmp_gt_u32_e32 vcc, 64, v0
	v_lshlrev_b32_e32 v1, 1, v2
	s_and_saveexec_b64 s[0:1], vcc
	s_cbranch_execz .LBB499_6
; %bb.5:
	v_mov_b32_e32 v3, 0
	ds_write_b16 v1, v3
.LBB499_6:
	s_or_b64 exec, exec, s[0:1]
	v_mbcnt_lo_u32_b32 v3, -1, 0
	v_mbcnt_hi_u32_b32 v8, -1, v3
	v_and_b32_e32 v9, 63, v8
	v_cmp_gt_u32_e64 s[0:1], 32, v9
	v_cndmask_b32_e64 v4, 0, 1, s[0:1]
	v_lshlrev_b32_e32 v4, 5, v4
	v_and_b32_e32 v3, 0xffff, v6
	v_add_lshl_u32 v4, v4, v8, 2
	ds_bpermute_b32 v3, v4, v3
	v_cmp_gt_u32_e64 s[0:1], 48, v9
	v_cndmask_b32_e64 v5, 0, 1, s[0:1]
	s_mov_b32 s2, 0xffff0000
	v_lshlrev_b32_e32 v5, 4, v5
	s_waitcnt lgkmcnt(0)
	v_add_f16_e32 v4, v6, v3
	v_and_or_b32 v3, v3, s2, v4
	v_add_lshl_u32 v5, v5, v8, 2
	ds_bpermute_b32 v3, v5, v3
	v_cmp_gt_u32_e64 s[0:1], 56, v9
	s_waitcnt lgkmcnt(0)
	s_barrier
	v_add_f16_e32 v4, v4, v3
	v_and_or_b32 v5, v3, s2, v4
	v_cndmask_b32_e64 v3, 0, 1, s[0:1]
	v_lshlrev_b32_e32 v3, 3, v3
	v_add_lshl_u32 v3, v3, v8, 2
	ds_bpermute_b32 v5, v3, v5
	v_cmp_gt_u32_e64 s[0:1], 60, v9
	s_waitcnt lgkmcnt(0)
	v_add_f16_e32 v6, v4, v5
	v_cndmask_b32_e64 v4, 0, 1, s[0:1]
	v_lshlrev_b32_e32 v4, 2, v4
	v_and_or_b32 v5, v5, s2, v6
	v_add_lshl_u32 v4, v4, v8, 2
	ds_bpermute_b32 v5, v4, v5
	v_cmp_gt_u32_e64 s[0:1], 62, v9
	s_waitcnt lgkmcnt(0)
	v_add_f16_e32 v6, v6, v5
	v_and_or_b32 v7, v5, s2, v6
	v_cndmask_b32_e64 v5, 0, 1, s[0:1]
	v_lshlrev_b32_e32 v5, 1, v5
	v_add_lshl_u32 v5, v5, v8, 2
	ds_bpermute_b32 v10, v5, v7
	v_cmp_ne_u32_e64 s[0:1], 63, v9
	s_waitcnt lgkmcnt(0)
	v_add_f16_e32 v7, v6, v10
	v_addc_co_u32_e64 v6, s[0:1], 0, v8, s[0:1]
	v_and_or_b32 v10, v10, s2, v7
	v_lshlrev_b32_e32 v6, 2, v6
	ds_bpermute_b32 v8, v6, v10
	v_cmp_eq_u32_e64 s[0:1], 0, v2
	s_and_saveexec_b64 s[2:3], s[0:1]
	s_cbranch_execz .LBB499_8
; %bb.7:
	s_waitcnt lgkmcnt(0)
	v_add_f16_e32 v2, v7, v8
	v_lshrrev_b32_e32 v7, 5, v0
	v_and_b32_e32 v7, 30, v7
	ds_write_b16 v7, v2
.LBB499_8:
	s_or_b64 exec, exec, s[2:3]
	v_cmp_gt_u32_e64 s[0:1], 16, v0
	v_mov_b32_e32 v2, 0
	s_waitcnt lgkmcnt(0)
	s_barrier
	s_and_saveexec_b64 s[2:3], s[0:1]
	s_cbranch_execnz .LBB499_12
; %bb.9:
	s_or_b64 exec, exec, s[2:3]
	s_and_saveexec_b64 s[0:1], vcc
	s_cbranch_execnz .LBB499_13
.LBB499_10:
	s_or_b64 exec, exec, s[0:1]
	v_cmp_eq_u32_e32 vcc, 0, v0
	s_and_saveexec_b64 s[0:1], vcc
	s_cbranch_execnz .LBB499_14
.LBB499_11:
	s_endpgm
.LBB499_12:
	ds_read_u16 v2, v1
	s_or_b64 exec, exec, s[2:3]
	s_and_saveexec_b64 s[0:1], vcc
	s_cbranch_execz .LBB499_10
.LBB499_13:
	s_waitcnt lgkmcnt(0)
	v_and_b32_e32 v1, 0xffff, v2
	ds_bpermute_b32 v1, v3, v1
	s_mov_b32 s2, 0xffff0000
	s_waitcnt lgkmcnt(0)
	v_add_f16_e32 v2, v2, v1
	v_and_or_b32 v1, v1, s2, v2
	ds_bpermute_b32 v1, v4, v1
	s_waitcnt lgkmcnt(0)
	v_add_f16_e32 v2, v2, v1
	v_and_or_b32 v1, v1, s2, v2
	ds_bpermute_b32 v1, v5, v1
	;; [unrolled: 4-line block ×3, first 2 shown]
	s_waitcnt lgkmcnt(0)
	v_add_f16_e32 v2, v2, v1
	s_or_b64 exec, exec, s[0:1]
	v_cmp_eq_u32_e32 vcc, 0, v0
	s_and_saveexec_b64 s[0:1], vcc
	s_cbranch_execz .LBB499_11
.LBB499_14:
	s_lshl_b64 s[0:1], s[6:7], 1
	s_add_u32 s0, s8, s0
	s_addc_u32 s1, s9, s1
	v_mov_b32_e32 v0, 0
	s_waitcnt lgkmcnt(0)
	global_store_short v0, v2, s[0:1]
	s_endpgm
	.section	.rodata,"a",@progbits
	.p2align	6, 0x0
	.amdhsa_kernel _ZL18rocblas_dot_kernelIiLb1ELi1024ELi32ELb1EDF16_PKDF16_DF16_EviT5_lT_lS2_lS3_liPT6_PT4_
		.amdhsa_group_segment_fixed_size 128
		.amdhsa_private_segment_fixed_size 0
		.amdhsa_kernarg_size 352
		.amdhsa_user_sgpr_count 6
		.amdhsa_user_sgpr_private_segment_buffer 1
		.amdhsa_user_sgpr_dispatch_ptr 0
		.amdhsa_user_sgpr_queue_ptr 0
		.amdhsa_user_sgpr_kernarg_segment_ptr 1
		.amdhsa_user_sgpr_dispatch_id 0
		.amdhsa_user_sgpr_flat_scratch_init 0
		.amdhsa_user_sgpr_kernarg_preload_length 0
		.amdhsa_user_sgpr_kernarg_preload_offset 0
		.amdhsa_user_sgpr_private_segment_size 0
		.amdhsa_uses_dynamic_stack 0
		.amdhsa_system_sgpr_private_segment_wavefront_offset 0
		.amdhsa_system_sgpr_workgroup_id_x 1
		.amdhsa_system_sgpr_workgroup_id_y 0
		.amdhsa_system_sgpr_workgroup_id_z 1
		.amdhsa_system_sgpr_workgroup_info 0
		.amdhsa_system_vgpr_workitem_id 0
		.amdhsa_next_free_vgpr 11
		.amdhsa_next_free_sgpr 24
		.amdhsa_accum_offset 12
		.amdhsa_reserve_vcc 1
		.amdhsa_reserve_flat_scratch 0
		.amdhsa_float_round_mode_32 0
		.amdhsa_float_round_mode_16_64 0
		.amdhsa_float_denorm_mode_32 3
		.amdhsa_float_denorm_mode_16_64 3
		.amdhsa_dx10_clamp 1
		.amdhsa_ieee_mode 1
		.amdhsa_fp16_overflow 0
		.amdhsa_tg_split 0
		.amdhsa_exception_fp_ieee_invalid_op 0
		.amdhsa_exception_fp_denorm_src 0
		.amdhsa_exception_fp_ieee_div_zero 0
		.amdhsa_exception_fp_ieee_overflow 0
		.amdhsa_exception_fp_ieee_underflow 0
		.amdhsa_exception_fp_ieee_inexact 0
		.amdhsa_exception_int_div_zero 0
	.end_amdhsa_kernel
	.section	.text._ZL18rocblas_dot_kernelIiLb1ELi1024ELi32ELb1EDF16_PKDF16_DF16_EviT5_lT_lS2_lS3_liPT6_PT4_,"axG",@progbits,_ZL18rocblas_dot_kernelIiLb1ELi1024ELi32ELb1EDF16_PKDF16_DF16_EviT5_lT_lS2_lS3_liPT6_PT4_,comdat
.Lfunc_end499:
	.size	_ZL18rocblas_dot_kernelIiLb1ELi1024ELi32ELb1EDF16_PKDF16_DF16_EviT5_lT_lS2_lS3_liPT6_PT4_, .Lfunc_end499-_ZL18rocblas_dot_kernelIiLb1ELi1024ELi32ELb1EDF16_PKDF16_DF16_EviT5_lT_lS2_lS3_liPT6_PT4_
                                        ; -- End function
	.section	.AMDGPU.csdata,"",@progbits
; Kernel info:
; codeLenInByte = 1048
; NumSgprs: 28
; NumVgprs: 11
; NumAgprs: 0
; TotalNumVgprs: 11
; ScratchSize: 0
; MemoryBound: 0
; FloatMode: 240
; IeeeMode: 1
; LDSByteSize: 128 bytes/workgroup (compile time only)
; SGPRBlocks: 3
; VGPRBlocks: 1
; NumSGPRsForWavesPerEU: 28
; NumVGPRsForWavesPerEU: 11
; AccumOffset: 12
; Occupancy: 8
; WaveLimiterHint : 0
; COMPUTE_PGM_RSRC2:SCRATCH_EN: 0
; COMPUTE_PGM_RSRC2:USER_SGPR: 6
; COMPUTE_PGM_RSRC2:TRAP_HANDLER: 0
; COMPUTE_PGM_RSRC2:TGID_X_EN: 1
; COMPUTE_PGM_RSRC2:TGID_Y_EN: 0
; COMPUTE_PGM_RSRC2:TGID_Z_EN: 1
; COMPUTE_PGM_RSRC2:TIDIG_COMP_CNT: 0
; COMPUTE_PGM_RSRC3_GFX90A:ACCUM_OFFSET: 2
; COMPUTE_PGM_RSRC3_GFX90A:TG_SPLIT: 0
	.section	.text._ZL24rocblas_dot_kernel_magsqIiLb1ELi1024ELi32ELb1EDF16_PKDF16_DF16_EviT5_lT_liPT6_PT4_,"axG",@progbits,_ZL24rocblas_dot_kernel_magsqIiLb1ELi1024ELi32ELb1EDF16_PKDF16_DF16_EviT5_lT_liPT6_PT4_,comdat
	.globl	_ZL24rocblas_dot_kernel_magsqIiLb1ELi1024ELi32ELb1EDF16_PKDF16_DF16_EviT5_lT_liPT6_PT4_ ; -- Begin function _ZL24rocblas_dot_kernel_magsqIiLb1ELi1024ELi32ELb1EDF16_PKDF16_DF16_EviT5_lT_liPT6_PT4_
	.p2align	8
	.type	_ZL24rocblas_dot_kernel_magsqIiLb1ELi1024ELi32ELb1EDF16_PKDF16_DF16_EviT5_lT_liPT6_PT4_,@function
_ZL24rocblas_dot_kernel_magsqIiLb1ELi1024ELi32ELb1EDF16_PKDF16_DF16_EviT5_lT_liPT6_PT4_: ; @_ZL24rocblas_dot_kernel_magsqIiLb1ELi1024ELi32ELb1EDF16_PKDF16_DF16_EviT5_lT_liPT6_PT4_
; %bb.0:
	s_mov_b32 s2, s7
	s_load_dword s12, s[4:5], 0x0
	s_load_dwordx2 s[6:7], s[4:5], 0x38
	s_mov_b32 s3, 0
	v_mov_b32_e32 v4, 0
	s_waitcnt lgkmcnt(0)
	v_cmp_gt_i32_e32 vcc, s12, v0
	s_and_saveexec_b64 s[8:9], vcc
	s_cbranch_execz .LBB500_4
; %bb.1:
	s_load_dword s10, s[4:5], 0x40
	s_load_dwordx2 s[0:1], s[4:5], 0x20
	s_load_dwordx4 s[16:19], s[4:5], 0x8
	s_load_dword s11, s[4:5], 0x18
	s_waitcnt lgkmcnt(0)
	s_lshl_b32 s13, s10, 10
	s_mul_i32 s1, s1, s2
	s_mul_hi_u32 s4, s0, s2
	s_add_i32 s1, s4, s1
	s_mul_i32 s0, s0, s2
	v_mad_i64_i32 v[2:3], s[4:5], s11, v0, 0
	s_lshl_b64 s[0:1], s[0:1], 1
	s_lshl_b64 s[4:5], s[18:19], 1
	s_add_u32 s4, s16, s4
	s_addc_u32 s5, s17, s5
	s_add_u32 s0, s4, s0
	v_lshlrev_b64 v[2:3], 1, v[2:3]
	s_addc_u32 s1, s5, s1
	v_mov_b32_e32 v4, s1
	v_add_co_u32_e32 v2, vcc, s0, v2
	s_mul_hi_i32 s1, s11, s13
	s_mul_i32 s0, s11, s13
	s_lshl_b64 s[10:11], s[0:1], 1
	v_or_b32_e32 v1, s13, v0
	v_addc_co_u32_e32 v3, vcc, v4, v3, vcc
	s_mov_b64 s[4:5], 0
	v_mov_b32_e32 v4, 0
	v_mov_b32_e32 v5, s11
	s_mov_b32 s11, s3
.LBB500_2:                              ; =>This Inner Loop Header: Depth=1
	global_load_ushort v6, v[2:3], off
	s_add_i32 s14, s11, 1
	v_add_co_u32_e64 v2, s[0:1], s10, v2
	v_addc_co_u32_e64 v3, s[0:1], v3, v5, s[0:1]
	s_cmp_gt_u32 s11, 30
	v_cmp_le_i32_e32 vcc, s12, v1
	s_cselect_b64 s[0:1], -1, 0
	s_or_b64 s[0:1], s[0:1], vcc
	s_and_b64 s[0:1], exec, s[0:1]
	v_add_u32_e32 v1, s13, v1
	s_mov_b32 s11, s14
	s_or_b64 s[4:5], s[0:1], s[4:5]
	s_waitcnt vmcnt(0)
	v_fma_f16 v4, v6, v6, v4
	s_andn2_b64 exec, exec, s[4:5]
	s_cbranch_execnz .LBB500_2
; %bb.3:
	s_or_b64 exec, exec, s[4:5]
.LBB500_4:
	s_or_b64 exec, exec, s[8:9]
	v_and_b32_e32 v2, 63, v0
	v_cmp_gt_u32_e32 vcc, 64, v0
	v_lshlrev_b32_e32 v1, 1, v2
	s_and_saveexec_b64 s[0:1], vcc
	s_cbranch_execz .LBB500_6
; %bb.5:
	v_mov_b32_e32 v3, 0
	ds_write_b16 v1, v3
.LBB500_6:
	s_or_b64 exec, exec, s[0:1]
	v_mbcnt_lo_u32_b32 v3, -1, 0
	v_mbcnt_hi_u32_b32 v6, -1, v3
	v_and_b32_e32 v8, 63, v6
	v_cmp_gt_u32_e64 s[0:1], 32, v8
	v_cndmask_b32_e64 v5, 0, 1, s[0:1]
	v_lshlrev_b32_e32 v5, 5, v5
	v_and_b32_e32 v3, 0xffff, v4
	v_add_lshl_u32 v5, v5, v6, 2
	ds_bpermute_b32 v3, v5, v3
	v_cmp_gt_u32_e64 s[0:1], 48, v8
	v_cndmask_b32_e64 v5, 0, 1, s[0:1]
	s_mov_b32 s4, 0xffff0000
	v_lshlrev_b32_e32 v5, 4, v5
	s_waitcnt lgkmcnt(0)
	v_add_f16_e32 v4, v4, v3
	v_and_or_b32 v3, v3, s4, v4
	v_add_lshl_u32 v5, v5, v6, 2
	ds_bpermute_b32 v3, v5, v3
	v_cmp_gt_u32_e64 s[0:1], 56, v8
	s_waitcnt lgkmcnt(0)
	s_barrier
	v_add_f16_e32 v4, v4, v3
	v_and_or_b32 v5, v3, s4, v4
	v_cndmask_b32_e64 v3, 0, 1, s[0:1]
	v_lshlrev_b32_e32 v3, 3, v3
	v_add_lshl_u32 v3, v3, v6, 2
	ds_bpermute_b32 v5, v3, v5
	v_cmp_gt_u32_e64 s[0:1], 60, v8
	s_waitcnt lgkmcnt(0)
	v_add_f16_e32 v7, v4, v5
	v_cndmask_b32_e64 v4, 0, 1, s[0:1]
	v_lshlrev_b32_e32 v4, 2, v4
	v_and_or_b32 v5, v5, s4, v7
	v_add_lshl_u32 v4, v4, v6, 2
	ds_bpermute_b32 v5, v4, v5
	v_cmp_gt_u32_e64 s[0:1], 62, v8
	s_waitcnt lgkmcnt(0)
	v_add_f16_e32 v7, v7, v5
	v_and_or_b32 v9, v5, s4, v7
	v_cndmask_b32_e64 v5, 0, 1, s[0:1]
	v_lshlrev_b32_e32 v5, 1, v5
	v_add_lshl_u32 v5, v5, v6, 2
	ds_bpermute_b32 v9, v5, v9
	v_cmp_ne_u32_e64 s[0:1], 63, v8
	v_addc_co_u32_e64 v6, s[0:1], 0, v6, s[0:1]
	v_lshlrev_b32_e32 v6, 2, v6
	s_waitcnt lgkmcnt(0)
	v_add_f16_e32 v7, v7, v9
	v_and_or_b32 v9, v9, s4, v7
	ds_bpermute_b32 v8, v6, v9
	v_cmp_eq_u32_e64 s[0:1], 0, v2
	s_and_saveexec_b64 s[4:5], s[0:1]
	s_cbranch_execz .LBB500_8
; %bb.7:
	s_waitcnt lgkmcnt(0)
	v_add_f16_e32 v2, v7, v8
	v_lshrrev_b32_e32 v7, 5, v0
	v_and_b32_e32 v7, 30, v7
	ds_write_b16 v7, v2
.LBB500_8:
	s_or_b64 exec, exec, s[4:5]
	v_cmp_gt_u32_e64 s[0:1], 16, v0
	v_mov_b32_e32 v2, 0
	s_waitcnt lgkmcnt(0)
	s_barrier
	s_and_saveexec_b64 s[4:5], s[0:1]
	s_cbranch_execnz .LBB500_12
; %bb.9:
	s_or_b64 exec, exec, s[4:5]
	s_and_saveexec_b64 s[0:1], vcc
	s_cbranch_execnz .LBB500_13
.LBB500_10:
	s_or_b64 exec, exec, s[0:1]
	v_cmp_eq_u32_e32 vcc, 0, v0
	s_and_saveexec_b64 s[0:1], vcc
	s_cbranch_execnz .LBB500_14
.LBB500_11:
	s_endpgm
.LBB500_12:
	ds_read_u16 v2, v1
	s_or_b64 exec, exec, s[4:5]
	s_and_saveexec_b64 s[0:1], vcc
	s_cbranch_execz .LBB500_10
.LBB500_13:
	s_waitcnt lgkmcnt(0)
	v_and_b32_e32 v1, 0xffff, v2
	ds_bpermute_b32 v1, v3, v1
	s_mov_b32 s4, 0xffff0000
	s_waitcnt lgkmcnt(0)
	v_add_f16_e32 v2, v2, v1
	v_and_or_b32 v1, v1, s4, v2
	ds_bpermute_b32 v1, v4, v1
	s_waitcnt lgkmcnt(0)
	v_add_f16_e32 v2, v2, v1
	v_and_or_b32 v1, v1, s4, v2
	ds_bpermute_b32 v1, v5, v1
	;; [unrolled: 4-line block ×3, first 2 shown]
	s_waitcnt lgkmcnt(0)
	v_add_f16_e32 v2, v2, v1
	s_or_b64 exec, exec, s[0:1]
	v_cmp_eq_u32_e32 vcc, 0, v0
	s_and_saveexec_b64 s[0:1], vcc
	s_cbranch_execz .LBB500_11
.LBB500_14:
	s_lshl_b64 s[0:1], s[2:3], 1
	s_add_u32 s0, s6, s0
	s_addc_u32 s1, s7, s1
	v_mov_b32_e32 v0, 0
	s_waitcnt lgkmcnt(0)
	global_store_short v0, v2, s[0:1]
	s_endpgm
	.section	.rodata,"a",@progbits
	.p2align	6, 0x0
	.amdhsa_kernel _ZL24rocblas_dot_kernel_magsqIiLb1ELi1024ELi32ELb1EDF16_PKDF16_DF16_EviT5_lT_liPT6_PT4_
		.amdhsa_group_segment_fixed_size 128
		.amdhsa_private_segment_fixed_size 0
		.amdhsa_kernarg_size 320
		.amdhsa_user_sgpr_count 6
		.amdhsa_user_sgpr_private_segment_buffer 1
		.amdhsa_user_sgpr_dispatch_ptr 0
		.amdhsa_user_sgpr_queue_ptr 0
		.amdhsa_user_sgpr_kernarg_segment_ptr 1
		.amdhsa_user_sgpr_dispatch_id 0
		.amdhsa_user_sgpr_flat_scratch_init 0
		.amdhsa_user_sgpr_kernarg_preload_length 0
		.amdhsa_user_sgpr_kernarg_preload_offset 0
		.amdhsa_user_sgpr_private_segment_size 0
		.amdhsa_uses_dynamic_stack 0
		.amdhsa_system_sgpr_private_segment_wavefront_offset 0
		.amdhsa_system_sgpr_workgroup_id_x 1
		.amdhsa_system_sgpr_workgroup_id_y 0
		.amdhsa_system_sgpr_workgroup_id_z 1
		.amdhsa_system_sgpr_workgroup_info 0
		.amdhsa_system_vgpr_workitem_id 0
		.amdhsa_next_free_vgpr 10
		.amdhsa_next_free_sgpr 20
		.amdhsa_accum_offset 12
		.amdhsa_reserve_vcc 1
		.amdhsa_reserve_flat_scratch 0
		.amdhsa_float_round_mode_32 0
		.amdhsa_float_round_mode_16_64 0
		.amdhsa_float_denorm_mode_32 3
		.amdhsa_float_denorm_mode_16_64 3
		.amdhsa_dx10_clamp 1
		.amdhsa_ieee_mode 1
		.amdhsa_fp16_overflow 0
		.amdhsa_tg_split 0
		.amdhsa_exception_fp_ieee_invalid_op 0
		.amdhsa_exception_fp_denorm_src 0
		.amdhsa_exception_fp_ieee_div_zero 0
		.amdhsa_exception_fp_ieee_overflow 0
		.amdhsa_exception_fp_ieee_underflow 0
		.amdhsa_exception_fp_ieee_inexact 0
		.amdhsa_exception_int_div_zero 0
	.end_amdhsa_kernel
	.section	.text._ZL24rocblas_dot_kernel_magsqIiLb1ELi1024ELi32ELb1EDF16_PKDF16_DF16_EviT5_lT_liPT6_PT4_,"axG",@progbits,_ZL24rocblas_dot_kernel_magsqIiLb1ELi1024ELi32ELb1EDF16_PKDF16_DF16_EviT5_lT_liPT6_PT4_,comdat
.Lfunc_end500:
	.size	_ZL24rocblas_dot_kernel_magsqIiLb1ELi1024ELi32ELb1EDF16_PKDF16_DF16_EviT5_lT_liPT6_PT4_, .Lfunc_end500-_ZL24rocblas_dot_kernel_magsqIiLb1ELi1024ELi32ELb1EDF16_PKDF16_DF16_EviT5_lT_liPT6_PT4_
                                        ; -- End function
	.section	.AMDGPU.csdata,"",@progbits
; Kernel info:
; codeLenInByte = 916
; NumSgprs: 24
; NumVgprs: 10
; NumAgprs: 0
; TotalNumVgprs: 10
; ScratchSize: 0
; MemoryBound: 0
; FloatMode: 240
; IeeeMode: 1
; LDSByteSize: 128 bytes/workgroup (compile time only)
; SGPRBlocks: 2
; VGPRBlocks: 1
; NumSGPRsForWavesPerEU: 24
; NumVGPRsForWavesPerEU: 10
; AccumOffset: 12
; Occupancy: 8
; WaveLimiterHint : 0
; COMPUTE_PGM_RSRC2:SCRATCH_EN: 0
; COMPUTE_PGM_RSRC2:USER_SGPR: 6
; COMPUTE_PGM_RSRC2:TRAP_HANDLER: 0
; COMPUTE_PGM_RSRC2:TGID_X_EN: 1
; COMPUTE_PGM_RSRC2:TGID_Y_EN: 0
; COMPUTE_PGM_RSRC2:TGID_Z_EN: 1
; COMPUTE_PGM_RSRC2:TIDIG_COMP_CNT: 0
; COMPUTE_PGM_RSRC3_GFX90A:ACCUM_OFFSET: 2
; COMPUTE_PGM_RSRC3_GFX90A:TG_SPLIT: 0
	.section	.text._ZL23rocblas_dot_kernel_inc1ILb0ELi512ELi8ELb1EDF16_PKDF16_DF16_EviT4_llS2_lliPT5_PT3_,"axG",@progbits,_ZL23rocblas_dot_kernel_inc1ILb0ELi512ELi8ELb1EDF16_PKDF16_DF16_EviT4_llS2_lliPT5_PT3_,comdat
	.globl	_ZL23rocblas_dot_kernel_inc1ILb0ELi512ELi8ELb1EDF16_PKDF16_DF16_EviT4_llS2_lliPT5_PT3_ ; -- Begin function _ZL23rocblas_dot_kernel_inc1ILb0ELi512ELi8ELb1EDF16_PKDF16_DF16_EviT4_llS2_lliPT5_PT3_
	.p2align	8
	.type	_ZL23rocblas_dot_kernel_inc1ILb0ELi512ELi8ELb1EDF16_PKDF16_DF16_EviT4_llS2_lliPT5_PT3_,@function
_ZL23rocblas_dot_kernel_inc1ILb0ELi512ELi8ELb1EDF16_PKDF16_DF16_EviT4_llS2_lliPT5_PT3_: ; @_ZL23rocblas_dot_kernel_inc1ILb0ELi512ELi8ELb1EDF16_PKDF16_DF16_EviT4_llS2_lliPT5_PT3_
; %bb.0:
	s_mov_b32 s2, s7
	s_load_dword s18, s[4:5], 0x50
	s_load_dword s7, s[4:5], 0x0
	s_load_dwordx4 s[8:11], s[4:5], 0x40
	v_lshl_or_b32 v2, s6, 9, v0
	s_mov_b32 s3, 0
	v_mov_b32_e32 v1, 0
	s_waitcnt lgkmcnt(0)
	v_cmp_gt_i32_e32 vcc, s7, v2
	s_and_saveexec_b64 s[12:13], vcc
	s_cbranch_execz .LBB501_4
; %bb.1:
	s_load_dwordx4 s[20:23], s[4:5], 0x10
	s_load_dwordx2 s[0:1], s[4:5], 0x8
	s_load_dwordx2 s[14:15], s[4:5], 0x20
	s_load_dwordx4 s[24:27], s[4:5], 0x28
	v_ashrrev_i32_e32 v3, 31, v2
	s_waitcnt lgkmcnt(0)
	s_mul_i32 s4, s2, s23
	s_mul_hi_u32 s5, s2, s22
	s_add_i32 s5, s5, s4
	s_mul_i32 s4, s2, s22
	s_lshl_b64 s[4:5], s[4:5], 1
	s_add_u32 s4, s0, s4
	s_addc_u32 s5, s1, s5
	s_lshl_b64 s[0:1], s[20:21], 1
	s_add_u32 s19, s4, s0
	s_addc_u32 s21, s5, s1
	s_mul_i32 s0, s2, s27
	s_mul_hi_u32 s1, s2, s26
	s_add_i32 s1, s1, s0
	s_mul_i32 s0, s2, s26
	s_lshl_b64 s[0:1], s[0:1], 1
	s_add_u32 s4, s14, s0
	s_addc_u32 s5, s15, s1
	s_lshl_b64 s[0:1], s[24:25], 1
	s_add_u32 s20, s4, s0
	s_addc_u32 s0, s5, s1
	s_lshl_b32 s4, s18, 9
	s_ashr_i32 s5, s4, 31
	s_lshl_b64 s[16:17], s[4:5], 1
	v_add_u32_e32 v4, s4, v2
	v_lshlrev_b64 v[2:3], 1, v[2:3]
	s_mov_b64 s[14:15], 0
	v_mov_b32_e32 v1, 0
	v_mov_b32_e32 v5, s0
	;; [unrolled: 1-line block ×4, first 2 shown]
	s_mov_b32 s5, s3
.LBB501_2:                              ; =>This Inner Loop Header: Depth=1
	v_add_co_u32_e32 v8, vcc, s20, v2
	v_addc_co_u32_e32 v9, vcc, v5, v3, vcc
	v_add_co_u32_e32 v10, vcc, s19, v2
	v_addc_co_u32_e32 v11, vcc, v6, v3, vcc
	global_load_ushort v12, v[8:9], off
	global_load_ushort v13, v[10:11], off
	s_add_i32 s17, s5, 1
	v_add_co_u32_e64 v2, s[0:1], s16, v2
	v_addc_co_u32_e64 v3, s[0:1], v3, v7, s[0:1]
	s_cmp_gt_u32 s5, 6
	v_cmp_le_i32_e32 vcc, s7, v4
	s_cselect_b64 s[0:1], -1, 0
	s_or_b64 s[0:1], s[0:1], vcc
	s_and_b64 s[0:1], exec, s[0:1]
	v_add_u32_e32 v4, s4, v4
	s_mov_b32 s5, s17
	s_or_b64 s[14:15], s[0:1], s[14:15]
	s_waitcnt vmcnt(0)
	v_fma_f16 v1, v12, v13, v1
	s_andn2_b64 exec, exec, s[14:15]
	s_cbranch_execnz .LBB501_2
; %bb.3:
	s_or_b64 exec, exec, s[14:15]
.LBB501_4:
	s_or_b64 exec, exec, s[12:13]
	v_and_b32_e32 v3, 63, v0
	v_cmp_gt_u32_e32 vcc, 64, v0
	v_lshlrev_b32_e32 v2, 1, v3
	s_and_saveexec_b64 s[0:1], vcc
	s_cbranch_execz .LBB501_6
; %bb.5:
	v_mov_b32_e32 v4, 0
	ds_write_b16 v2, v4
.LBB501_6:
	s_or_b64 exec, exec, s[0:1]
	v_mbcnt_lo_u32_b32 v4, -1, 0
	v_mbcnt_hi_u32_b32 v6, -1, v4
	v_and_b32_e32 v7, 63, v6
	v_cmp_gt_u32_e64 s[0:1], 32, v7
	v_cndmask_b32_e64 v5, 0, 1, s[0:1]
	v_lshlrev_b32_e32 v5, 5, v5
	v_and_b32_e32 v4, 0xffff, v1
	v_add_lshl_u32 v5, v5, v6, 2
	ds_bpermute_b32 v4, v5, v4
	v_cmp_gt_u32_e64 s[0:1], 48, v7
	v_cndmask_b32_e64 v5, 0, 1, s[0:1]
	s_mov_b32 s4, 0xffff0000
	v_lshlrev_b32_e32 v5, 4, v5
	s_waitcnt lgkmcnt(0)
	v_add_f16_e32 v1, v1, v4
	v_and_or_b32 v4, v4, s4, v1
	v_add_lshl_u32 v5, v5, v6, 2
	ds_bpermute_b32 v4, v5, v4
	v_cmp_gt_u32_e64 s[0:1], 56, v7
	v_cndmask_b32_e64 v5, 0, 1, s[0:1]
	v_lshlrev_b32_e32 v5, 3, v5
	v_add_lshl_u32 v5, v5, v6, 2
	s_waitcnt lgkmcnt(0)
	v_add_f16_e32 v1, v1, v4
	v_and_or_b32 v4, v4, s4, v1
	ds_bpermute_b32 v4, v5, v4
	v_cmp_gt_u32_e64 s[0:1], 60, v7
	s_waitcnt lgkmcnt(0)
	s_barrier
	v_add_f16_e32 v1, v1, v4
	v_and_or_b32 v5, v4, s4, v1
	v_cndmask_b32_e64 v4, 0, 1, s[0:1]
	v_lshlrev_b32_e32 v4, 2, v4
	v_add_lshl_u32 v4, v4, v6, 2
	ds_bpermute_b32 v5, v4, v5
	v_cmp_gt_u32_e64 s[0:1], 62, v7
	s_waitcnt lgkmcnt(0)
	v_add_f16_e32 v1, v1, v5
	v_and_or_b32 v8, v5, s4, v1
	v_cndmask_b32_e64 v5, 0, 1, s[0:1]
	v_lshlrev_b32_e32 v5, 1, v5
	v_add_lshl_u32 v5, v5, v6, 2
	ds_bpermute_b32 v8, v5, v8
	v_cmp_ne_u32_e64 s[0:1], 63, v7
	v_addc_co_u32_e64 v6, s[0:1], 0, v6, s[0:1]
	v_lshlrev_b32_e32 v6, 2, v6
	s_waitcnt lgkmcnt(0)
	v_add_f16_e32 v1, v1, v8
	v_and_or_b32 v8, v8, s4, v1
	ds_bpermute_b32 v7, v6, v8
	v_cmp_eq_u32_e64 s[0:1], 0, v3
	s_and_saveexec_b64 s[4:5], s[0:1]
	s_cbranch_execz .LBB501_8
; %bb.7:
	v_lshrrev_b32_e32 v3, 5, v0
	s_waitcnt lgkmcnt(0)
	v_add_f16_e32 v1, v1, v7
	v_and_b32_e32 v3, 14, v3
	ds_write_b16 v3, v1
.LBB501_8:
	s_or_b64 exec, exec, s[4:5]
	v_cmp_gt_u32_e64 s[0:1], 8, v0
	v_mov_b32_e32 v1, 0
	s_waitcnt lgkmcnt(0)
	s_barrier
	s_and_saveexec_b64 s[4:5], s[0:1]
	s_cbranch_execnz .LBB501_12
; %bb.9:
	s_or_b64 exec, exec, s[4:5]
	s_and_saveexec_b64 s[0:1], vcc
	s_cbranch_execnz .LBB501_13
.LBB501_10:
	s_or_b64 exec, exec, s[0:1]
	v_cmp_eq_u32_e32 vcc, 0, v0
	s_and_saveexec_b64 s[0:1], vcc
	s_cbranch_execnz .LBB501_14
.LBB501_11:
	s_endpgm
.LBB501_12:
	ds_read_u16 v1, v2
	s_or_b64 exec, exec, s[4:5]
	s_and_saveexec_b64 s[0:1], vcc
	s_cbranch_execz .LBB501_10
.LBB501_13:
	s_waitcnt lgkmcnt(0)
	v_and_b32_e32 v2, 0xffff, v1
	ds_bpermute_b32 v2, v4, v2
	s_mov_b32 s4, 0xffff0000
	s_waitcnt lgkmcnt(0)
	v_add_f16_e32 v1, v1, v2
	v_and_or_b32 v2, v2, s4, v1
	ds_bpermute_b32 v2, v5, v2
	s_waitcnt lgkmcnt(0)
	v_add_f16_e32 v1, v1, v2
	v_and_or_b32 v2, v2, s4, v1
	ds_bpermute_b32 v2, v6, v2
	s_waitcnt lgkmcnt(0)
	v_add_f16_e32 v1, v1, v2
	s_or_b64 exec, exec, s[0:1]
	v_cmp_eq_u32_e32 vcc, 0, v0
	s_and_saveexec_b64 s[0:1], vcc
	s_cbranch_execz .LBB501_11
.LBB501_14:
	s_cmp_lg_u32 s18, 1
	s_cbranch_scc0 .LBB501_16
; %bb.15:
	s_mul_hi_u32 s1, s18, s2
	s_mul_i32 s0, s18, s2
	s_lshl_b64 s[0:1], s[0:1], 1
	s_mov_b32 s7, 0
	s_add_u32 s4, s8, s0
	s_addc_u32 s5, s9, s1
	s_lshl_b64 s[0:1], s[6:7], 1
	s_add_u32 s0, s4, s0
	s_addc_u32 s1, s5, s1
	s_cbranch_execz .LBB501_17
	s_branch .LBB501_18
.LBB501_16:
                                        ; implicit-def: $sgpr0_sgpr1
.LBB501_17:
	s_lshl_b64 s[0:1], s[2:3], 1
	s_add_u32 s0, s10, s0
	s_addc_u32 s1, s11, s1
.LBB501_18:
	v_mov_b32_e32 v0, 0
	s_waitcnt lgkmcnt(0)
	global_store_short v0, v1, s[0:1]
	s_endpgm
	.section	.rodata,"a",@progbits
	.p2align	6, 0x0
	.amdhsa_kernel _ZL23rocblas_dot_kernel_inc1ILb0ELi512ELi8ELb1EDF16_PKDF16_DF16_EviT4_llS2_lliPT5_PT3_
		.amdhsa_group_segment_fixed_size 128
		.amdhsa_private_segment_fixed_size 0
		.amdhsa_kernarg_size 336
		.amdhsa_user_sgpr_count 6
		.amdhsa_user_sgpr_private_segment_buffer 1
		.amdhsa_user_sgpr_dispatch_ptr 0
		.amdhsa_user_sgpr_queue_ptr 0
		.amdhsa_user_sgpr_kernarg_segment_ptr 1
		.amdhsa_user_sgpr_dispatch_id 0
		.amdhsa_user_sgpr_flat_scratch_init 0
		.amdhsa_user_sgpr_kernarg_preload_length 0
		.amdhsa_user_sgpr_kernarg_preload_offset 0
		.amdhsa_user_sgpr_private_segment_size 0
		.amdhsa_uses_dynamic_stack 0
		.amdhsa_system_sgpr_private_segment_wavefront_offset 0
		.amdhsa_system_sgpr_workgroup_id_x 1
		.amdhsa_system_sgpr_workgroup_id_y 0
		.amdhsa_system_sgpr_workgroup_id_z 1
		.amdhsa_system_sgpr_workgroup_info 0
		.amdhsa_system_vgpr_workitem_id 0
		.amdhsa_next_free_vgpr 14
		.amdhsa_next_free_sgpr 28
		.amdhsa_accum_offset 16
		.amdhsa_reserve_vcc 1
		.amdhsa_reserve_flat_scratch 0
		.amdhsa_float_round_mode_32 0
		.amdhsa_float_round_mode_16_64 0
		.amdhsa_float_denorm_mode_32 3
		.amdhsa_float_denorm_mode_16_64 3
		.amdhsa_dx10_clamp 1
		.amdhsa_ieee_mode 1
		.amdhsa_fp16_overflow 0
		.amdhsa_tg_split 0
		.amdhsa_exception_fp_ieee_invalid_op 0
		.amdhsa_exception_fp_denorm_src 0
		.amdhsa_exception_fp_ieee_div_zero 0
		.amdhsa_exception_fp_ieee_overflow 0
		.amdhsa_exception_fp_ieee_underflow 0
		.amdhsa_exception_fp_ieee_inexact 0
		.amdhsa_exception_int_div_zero 0
	.end_amdhsa_kernel
	.section	.text._ZL23rocblas_dot_kernel_inc1ILb0ELi512ELi8ELb1EDF16_PKDF16_DF16_EviT4_llS2_lliPT5_PT3_,"axG",@progbits,_ZL23rocblas_dot_kernel_inc1ILb0ELi512ELi8ELb1EDF16_PKDF16_DF16_EviT4_llS2_lliPT5_PT3_,comdat
.Lfunc_end501:
	.size	_ZL23rocblas_dot_kernel_inc1ILb0ELi512ELi8ELb1EDF16_PKDF16_DF16_EviT4_llS2_lliPT5_PT3_, .Lfunc_end501-_ZL23rocblas_dot_kernel_inc1ILb0ELi512ELi8ELb1EDF16_PKDF16_DF16_EviT4_llS2_lliPT5_PT3_
                                        ; -- End function
	.section	.AMDGPU.csdata,"",@progbits
; Kernel info:
; codeLenInByte = 1012
; NumSgprs: 32
; NumVgprs: 14
; NumAgprs: 0
; TotalNumVgprs: 14
; ScratchSize: 0
; MemoryBound: 0
; FloatMode: 240
; IeeeMode: 1
; LDSByteSize: 128 bytes/workgroup (compile time only)
; SGPRBlocks: 3
; VGPRBlocks: 1
; NumSGPRsForWavesPerEU: 32
; NumVGPRsForWavesPerEU: 14
; AccumOffset: 16
; Occupancy: 8
; WaveLimiterHint : 0
; COMPUTE_PGM_RSRC2:SCRATCH_EN: 0
; COMPUTE_PGM_RSRC2:USER_SGPR: 6
; COMPUTE_PGM_RSRC2:TRAP_HANDLER: 0
; COMPUTE_PGM_RSRC2:TGID_X_EN: 1
; COMPUTE_PGM_RSRC2:TGID_Y_EN: 0
; COMPUTE_PGM_RSRC2:TGID_Z_EN: 1
; COMPUTE_PGM_RSRC2:TIDIG_COMP_CNT: 0
; COMPUTE_PGM_RSRC3_GFX90A:ACCUM_OFFSET: 3
; COMPUTE_PGM_RSRC3_GFX90A:TG_SPLIT: 0
	.section	.text._ZL18rocblas_dot_kernelIiLb0ELi512ELi8ELb1EDF16_PKDF16_DF16_EviT5_lT_lS2_lS3_liPT6_PT4_,"axG",@progbits,_ZL18rocblas_dot_kernelIiLb0ELi512ELi8ELb1EDF16_PKDF16_DF16_EviT5_lT_lS2_lS3_liPT6_PT4_,comdat
	.globl	_ZL18rocblas_dot_kernelIiLb0ELi512ELi8ELb1EDF16_PKDF16_DF16_EviT5_lT_lS2_lS3_liPT6_PT4_ ; -- Begin function _ZL18rocblas_dot_kernelIiLb0ELi512ELi8ELb1EDF16_PKDF16_DF16_EviT5_lT_lS2_lS3_liPT6_PT4_
	.p2align	8
	.type	_ZL18rocblas_dot_kernelIiLb0ELi512ELi8ELb1EDF16_PKDF16_DF16_EviT5_lT_lS2_lS3_liPT6_PT4_,@function
_ZL18rocblas_dot_kernelIiLb0ELi512ELi8ELb1EDF16_PKDF16_DF16_EviT5_lT_lS2_lS3_liPT6_PT4_: ; @_ZL18rocblas_dot_kernelIiLb0ELi512ELi8ELb1EDF16_PKDF16_DF16_EviT5_lT_lS2_lS3_liPT6_PT4_
; %bb.0:
	s_mov_b32 s12, s7
	s_load_dword s18, s[4:5], 0x60
	s_load_dword s7, s[4:5], 0x0
	s_load_dwordx4 s[8:11], s[4:5], 0x50
	v_lshl_or_b32 v4, s6, 9, v0
	s_mov_b32 s13, 0
	v_mov_b32_e32 v6, 0
	s_waitcnt lgkmcnt(0)
	v_cmp_gt_i32_e32 vcc, s7, v4
	s_and_saveexec_b64 s[14:15], vcc
	s_cbranch_execz .LBB502_4
; %bb.1:
	s_load_dwordx4 s[20:23], s[4:5], 0x8
	s_load_dword s26, s[4:5], 0x18
	s_load_dwordx4 s[0:3], s[4:5], 0x20
	s_load_dwordx2 s[16:17], s[4:5], 0x30
	s_load_dword s27, s[4:5], 0x38
	s_load_dwordx2 s[24:25], s[4:5], 0x40
	s_waitcnt lgkmcnt(0)
	v_mad_i64_i32 v[2:3], s[4:5], s26, v4, 0
	s_mul_i32 s1, s1, s12
	s_mul_hi_u32 s4, s0, s12
	s_add_i32 s1, s4, s1
	s_mul_i32 s0, s0, s12
	s_lshl_b32 s19, s18, 9
	s_lshl_b64 s[0:1], s[0:1], 1
	s_lshl_b64 s[4:5], s[22:23], 1
	s_add_u32 s4, s20, s4
	s_addc_u32 s5, s21, s5
	s_add_u32 s0, s4, s0
	v_lshlrev_b64 v[2:3], 1, v[2:3]
	s_addc_u32 s1, s5, s1
	v_mov_b32_e32 v5, s1
	v_add_co_u32_e32 v2, vcc, s0, v2
	s_mul_hi_i32 s1, s26, s19
	s_mul_i32 s0, s26, s19
	v_add_u32_e32 v1, s19, v4
	v_addc_co_u32_e32 v3, vcc, v5, v3, vcc
	s_lshl_b64 s[4:5], s[0:1], 1
	v_mad_i64_i32 v[4:5], s[0:1], s27, v4, 0
	s_mul_i32 s0, s25, s12
	s_mul_hi_u32 s1, s24, s12
	s_add_i32 s1, s1, s0
	s_mul_i32 s0, s24, s12
	s_lshl_b64 s[0:1], s[0:1], 1
	s_lshl_b64 s[16:17], s[16:17], 1
	s_add_u32 s2, s2, s16
	s_addc_u32 s3, s3, s17
	s_add_u32 s0, s2, s0
	v_lshlrev_b64 v[4:5], 1, v[4:5]
	s_addc_u32 s1, s3, s1
	v_mov_b32_e32 v6, s1
	v_add_co_u32_e32 v4, vcc, s0, v4
	s_mul_hi_i32 s1, s27, s19
	s_mul_i32 s0, s27, s19
	s_lshl_b64 s[16:17], s[0:1], 1
	v_addc_co_u32_e32 v5, vcc, v6, v5, vcc
	s_mov_b64 s[2:3], 0
	v_mov_b32_e32 v6, 0
	v_mov_b32_e32 v7, s5
	;; [unrolled: 1-line block ×3, first 2 shown]
	s_mov_b32 s5, s13
.LBB502_2:                              ; =>This Inner Loop Header: Depth=1
	global_load_ushort v9, v[4:5], off
	global_load_ushort v10, v[2:3], off
	v_add_co_u32_e64 v2, s[0:1], s4, v2
	v_addc_co_u32_e64 v3, s[0:1], v3, v7, s[0:1]
	s_add_i32 s17, s5, 1
	v_add_co_u32_e64 v4, s[0:1], s16, v4
	v_addc_co_u32_e64 v5, s[0:1], v5, v8, s[0:1]
	s_cmp_gt_u32 s5, 6
	v_cmp_le_i32_e32 vcc, s7, v1
	s_cselect_b64 s[0:1], -1, 0
	s_or_b64 s[0:1], s[0:1], vcc
	s_and_b64 s[0:1], exec, s[0:1]
	v_add_u32_e32 v1, s19, v1
	s_mov_b32 s5, s17
	s_or_b64 s[2:3], s[0:1], s[2:3]
	s_waitcnt vmcnt(0)
	v_fma_f16 v6, v9, v10, v6
	s_andn2_b64 exec, exec, s[2:3]
	s_cbranch_execnz .LBB502_2
; %bb.3:
	s_or_b64 exec, exec, s[2:3]
.LBB502_4:
	s_or_b64 exec, exec, s[14:15]
	v_and_b32_e32 v2, 63, v0
	v_cmp_gt_u32_e32 vcc, 64, v0
	v_lshlrev_b32_e32 v1, 1, v2
	s_and_saveexec_b64 s[0:1], vcc
	s_cbranch_execz .LBB502_6
; %bb.5:
	v_mov_b32_e32 v3, 0
	ds_write_b16 v1, v3
.LBB502_6:
	s_or_b64 exec, exec, s[0:1]
	v_mbcnt_lo_u32_b32 v3, -1, 0
	v_mbcnt_hi_u32_b32 v5, -1, v3
	v_and_b32_e32 v7, 63, v5
	v_cmp_gt_u32_e64 s[0:1], 32, v7
	v_cndmask_b32_e64 v4, 0, 1, s[0:1]
	v_lshlrev_b32_e32 v4, 5, v4
	v_and_b32_e32 v3, 0xffff, v6
	v_add_lshl_u32 v4, v4, v5, 2
	ds_bpermute_b32 v3, v4, v3
	v_cmp_gt_u32_e64 s[0:1], 48, v7
	s_mov_b32 s2, 0xffff0000
	s_waitcnt lgkmcnt(0)
	s_barrier
	v_add_f16_e32 v4, v6, v3
	v_cndmask_b32_e64 v6, 0, 1, s[0:1]
	v_lshlrev_b32_e32 v6, 4, v6
	v_and_or_b32 v3, v3, s2, v4
	v_add_lshl_u32 v6, v6, v5, 2
	ds_bpermute_b32 v3, v6, v3
	v_cmp_gt_u32_e64 s[0:1], 56, v7
	v_cndmask_b32_e64 v6, 0, 1, s[0:1]
	v_lshlrev_b32_e32 v6, 3, v6
	v_add_lshl_u32 v6, v6, v5, 2
	s_waitcnt lgkmcnt(0)
	v_add_f16_e32 v4, v4, v3
	v_and_or_b32 v3, v3, s2, v4
	ds_bpermute_b32 v3, v6, v3
	v_cmp_gt_u32_e64 s[0:1], 60, v7
	s_waitcnt lgkmcnt(0)
	v_add_f16_e32 v4, v4, v3
	v_and_or_b32 v6, v3, s2, v4
	v_cndmask_b32_e64 v3, 0, 1, s[0:1]
	v_lshlrev_b32_e32 v3, 2, v3
	v_add_lshl_u32 v3, v3, v5, 2
	ds_bpermute_b32 v6, v3, v6
	v_cmp_gt_u32_e64 s[0:1], 62, v7
	s_waitcnt lgkmcnt(0)
	v_add_f16_e32 v8, v4, v6
	v_cndmask_b32_e64 v4, 0, 1, s[0:1]
	v_lshlrev_b32_e32 v4, 1, v4
	v_and_or_b32 v6, v6, s2, v8
	v_add_lshl_u32 v4, v4, v5, 2
	ds_bpermute_b32 v9, v4, v6
	v_cmp_ne_u32_e64 s[0:1], 63, v7
	v_addc_co_u32_e64 v5, s[0:1], 0, v5, s[0:1]
	v_lshlrev_b32_e32 v5, 2, v5
	s_waitcnt lgkmcnt(0)
	v_add_f16_e32 v6, v8, v9
	v_and_or_b32 v8, v9, s2, v6
	ds_bpermute_b32 v7, v5, v8
	v_cmp_eq_u32_e64 s[0:1], 0, v2
	s_and_saveexec_b64 s[2:3], s[0:1]
	s_cbranch_execz .LBB502_8
; %bb.7:
	s_waitcnt lgkmcnt(0)
	v_add_f16_e32 v2, v6, v7
	v_lshrrev_b32_e32 v6, 5, v0
	v_and_b32_e32 v6, 14, v6
	ds_write_b16 v6, v2
.LBB502_8:
	s_or_b64 exec, exec, s[2:3]
	v_cmp_gt_u32_e64 s[0:1], 8, v0
	v_mov_b32_e32 v2, 0
	s_waitcnt lgkmcnt(0)
	s_barrier
	s_and_saveexec_b64 s[2:3], s[0:1]
	s_cbranch_execnz .LBB502_12
; %bb.9:
	s_or_b64 exec, exec, s[2:3]
	s_and_saveexec_b64 s[0:1], vcc
	s_cbranch_execnz .LBB502_13
.LBB502_10:
	s_or_b64 exec, exec, s[0:1]
	v_cmp_eq_u32_e32 vcc, 0, v0
	s_and_saveexec_b64 s[0:1], vcc
	s_cbranch_execnz .LBB502_14
.LBB502_11:
	s_endpgm
.LBB502_12:
	ds_read_u16 v2, v1
	s_or_b64 exec, exec, s[2:3]
	s_and_saveexec_b64 s[0:1], vcc
	s_cbranch_execz .LBB502_10
.LBB502_13:
	s_waitcnt lgkmcnt(0)
	v_and_b32_e32 v1, 0xffff, v2
	ds_bpermute_b32 v1, v3, v1
	s_mov_b32 s2, 0xffff0000
	s_waitcnt lgkmcnt(0)
	v_add_f16_e32 v2, v2, v1
	v_and_or_b32 v1, v1, s2, v2
	ds_bpermute_b32 v1, v4, v1
	s_waitcnt lgkmcnt(0)
	v_add_f16_e32 v2, v2, v1
	v_and_or_b32 v1, v1, s2, v2
	ds_bpermute_b32 v1, v5, v1
	s_waitcnt lgkmcnt(0)
	v_add_f16_e32 v2, v2, v1
	s_or_b64 exec, exec, s[0:1]
	v_cmp_eq_u32_e32 vcc, 0, v0
	s_and_saveexec_b64 s[0:1], vcc
	s_cbranch_execz .LBB502_11
.LBB502_14:
	s_cmp_lg_u32 s18, 1
	s_cbranch_scc0 .LBB502_16
; %bb.15:
	s_mul_hi_u32 s1, s18, s12
	s_mul_i32 s0, s18, s12
	s_lshl_b64 s[0:1], s[0:1], 1
	s_mov_b32 s7, 0
	s_add_u32 s2, s8, s0
	s_addc_u32 s3, s9, s1
	s_lshl_b64 s[0:1], s[6:7], 1
	s_add_u32 s0, s2, s0
	s_addc_u32 s1, s3, s1
	s_cbranch_execz .LBB502_17
	s_branch .LBB502_18
.LBB502_16:
                                        ; implicit-def: $sgpr0_sgpr1
.LBB502_17:
	s_lshl_b64 s[0:1], s[12:13], 1
	s_add_u32 s0, s10, s0
	s_addc_u32 s1, s11, s1
.LBB502_18:
	v_mov_b32_e32 v0, 0
	s_waitcnt lgkmcnt(0)
	global_store_short v0, v2, s[0:1]
	s_endpgm
	.section	.rodata,"a",@progbits
	.p2align	6, 0x0
	.amdhsa_kernel _ZL18rocblas_dot_kernelIiLb0ELi512ELi8ELb1EDF16_PKDF16_DF16_EviT5_lT_lS2_lS3_liPT6_PT4_
		.amdhsa_group_segment_fixed_size 128
		.amdhsa_private_segment_fixed_size 0
		.amdhsa_kernarg_size 352
		.amdhsa_user_sgpr_count 6
		.amdhsa_user_sgpr_private_segment_buffer 1
		.amdhsa_user_sgpr_dispatch_ptr 0
		.amdhsa_user_sgpr_queue_ptr 0
		.amdhsa_user_sgpr_kernarg_segment_ptr 1
		.amdhsa_user_sgpr_dispatch_id 0
		.amdhsa_user_sgpr_flat_scratch_init 0
		.amdhsa_user_sgpr_kernarg_preload_length 0
		.amdhsa_user_sgpr_kernarg_preload_offset 0
		.amdhsa_user_sgpr_private_segment_size 0
		.amdhsa_uses_dynamic_stack 0
		.amdhsa_system_sgpr_private_segment_wavefront_offset 0
		.amdhsa_system_sgpr_workgroup_id_x 1
		.amdhsa_system_sgpr_workgroup_id_y 0
		.amdhsa_system_sgpr_workgroup_id_z 1
		.amdhsa_system_sgpr_workgroup_info 0
		.amdhsa_system_vgpr_workitem_id 0
		.amdhsa_next_free_vgpr 11
		.amdhsa_next_free_sgpr 28
		.amdhsa_accum_offset 12
		.amdhsa_reserve_vcc 1
		.amdhsa_reserve_flat_scratch 0
		.amdhsa_float_round_mode_32 0
		.amdhsa_float_round_mode_16_64 0
		.amdhsa_float_denorm_mode_32 3
		.amdhsa_float_denorm_mode_16_64 3
		.amdhsa_dx10_clamp 1
		.amdhsa_ieee_mode 1
		.amdhsa_fp16_overflow 0
		.amdhsa_tg_split 0
		.amdhsa_exception_fp_ieee_invalid_op 0
		.amdhsa_exception_fp_denorm_src 0
		.amdhsa_exception_fp_ieee_div_zero 0
		.amdhsa_exception_fp_ieee_overflow 0
		.amdhsa_exception_fp_ieee_underflow 0
		.amdhsa_exception_fp_ieee_inexact 0
		.amdhsa_exception_int_div_zero 0
	.end_amdhsa_kernel
	.section	.text._ZL18rocblas_dot_kernelIiLb0ELi512ELi8ELb1EDF16_PKDF16_DF16_EviT5_lT_lS2_lS3_liPT6_PT4_,"axG",@progbits,_ZL18rocblas_dot_kernelIiLb0ELi512ELi8ELb1EDF16_PKDF16_DF16_EviT5_lT_lS2_lS3_liPT6_PT4_,comdat
.Lfunc_end502:
	.size	_ZL18rocblas_dot_kernelIiLb0ELi512ELi8ELb1EDF16_PKDF16_DF16_EviT5_lT_lS2_lS3_liPT6_PT4_, .Lfunc_end502-_ZL18rocblas_dot_kernelIiLb0ELi512ELi8ELb1EDF16_PKDF16_DF16_EviT5_lT_lS2_lS3_liPT6_PT4_
                                        ; -- End function
	.section	.AMDGPU.csdata,"",@progbits
; Kernel info:
; codeLenInByte = 1084
; NumSgprs: 32
; NumVgprs: 11
; NumAgprs: 0
; TotalNumVgprs: 11
; ScratchSize: 0
; MemoryBound: 0
; FloatMode: 240
; IeeeMode: 1
; LDSByteSize: 128 bytes/workgroup (compile time only)
; SGPRBlocks: 3
; VGPRBlocks: 1
; NumSGPRsForWavesPerEU: 32
; NumVGPRsForWavesPerEU: 11
; AccumOffset: 12
; Occupancy: 8
; WaveLimiterHint : 0
; COMPUTE_PGM_RSRC2:SCRATCH_EN: 0
; COMPUTE_PGM_RSRC2:USER_SGPR: 6
; COMPUTE_PGM_RSRC2:TRAP_HANDLER: 0
; COMPUTE_PGM_RSRC2:TGID_X_EN: 1
; COMPUTE_PGM_RSRC2:TGID_Y_EN: 0
; COMPUTE_PGM_RSRC2:TGID_Z_EN: 1
; COMPUTE_PGM_RSRC2:TIDIG_COMP_CNT: 0
; COMPUTE_PGM_RSRC3_GFX90A:ACCUM_OFFSET: 2
; COMPUTE_PGM_RSRC3_GFX90A:TG_SPLIT: 0
	.section	.text._ZL24rocblas_dot_kernel_magsqIiLb0ELi512ELi8ELb1EDF16_PKDF16_DF16_EviT5_lT_liPT6_PT4_,"axG",@progbits,_ZL24rocblas_dot_kernel_magsqIiLb0ELi512ELi8ELb1EDF16_PKDF16_DF16_EviT5_lT_liPT6_PT4_,comdat
	.globl	_ZL24rocblas_dot_kernel_magsqIiLb0ELi512ELi8ELb1EDF16_PKDF16_DF16_EviT5_lT_liPT6_PT4_ ; -- Begin function _ZL24rocblas_dot_kernel_magsqIiLb0ELi512ELi8ELb1EDF16_PKDF16_DF16_EviT5_lT_liPT6_PT4_
	.p2align	8
	.type	_ZL24rocblas_dot_kernel_magsqIiLb0ELi512ELi8ELb1EDF16_PKDF16_DF16_EviT5_lT_liPT6_PT4_,@function
_ZL24rocblas_dot_kernel_magsqIiLb0ELi512ELi8ELb1EDF16_PKDF16_DF16_EviT5_lT_liPT6_PT4_: ; @_ZL24rocblas_dot_kernel_magsqIiLb0ELi512ELi8ELb1EDF16_PKDF16_DF16_EviT5_lT_liPT6_PT4_
; %bb.0:
	s_mov_b32 s2, s7
	s_load_dword s7, s[4:5], 0x0
	s_load_dwordx4 s[8:11], s[4:5], 0x30
	s_load_dword s16, s[4:5], 0x40
	v_lshl_or_b32 v2, s6, 9, v0
	s_mov_b32 s3, 0
	s_waitcnt lgkmcnt(0)
	v_cmp_gt_i32_e32 vcc, s7, v2
	v_mov_b32_e32 v4, 0
	s_and_saveexec_b64 s[12:13], vcc
	s_cbranch_execz .LBB503_4
; %bb.1:
	s_load_dwordx4 s[20:23], s[4:5], 0x8
	s_load_dword s14, s[4:5], 0x18
	s_load_dwordx2 s[0:1], s[4:5], 0x20
	s_lshl_b32 s17, s16, 9
	v_add_u32_e32 v1, s17, v2
	s_waitcnt lgkmcnt(0)
	v_mad_i64_i32 v[2:3], s[4:5], s14, v2, 0
	s_mul_i32 s1, s1, s2
	s_mul_hi_u32 s4, s0, s2
	s_add_i32 s1, s4, s1
	s_mul_i32 s0, s0, s2
	s_lshl_b64 s[0:1], s[0:1], 1
	s_lshl_b64 s[4:5], s[22:23], 1
	s_add_u32 s4, s20, s4
	s_addc_u32 s5, s21, s5
	s_add_u32 s0, s4, s0
	v_lshlrev_b64 v[2:3], 1, v[2:3]
	s_addc_u32 s1, s5, s1
	v_mov_b32_e32 v4, s1
	v_add_co_u32_e32 v2, vcc, s0, v2
	s_mul_hi_i32 s1, s14, s17
	s_mul_i32 s0, s14, s17
	s_lshl_b64 s[14:15], s[0:1], 1
	v_addc_co_u32_e32 v3, vcc, v4, v3, vcc
	s_mov_b64 s[4:5], 0
	v_mov_b32_e32 v4, 0
	v_mov_b32_e32 v5, s15
	s_mov_b32 s15, s3
.LBB503_2:                              ; =>This Inner Loop Header: Depth=1
	global_load_ushort v6, v[2:3], off
	s_add_i32 s18, s15, 1
	v_add_co_u32_e64 v2, s[0:1], s14, v2
	v_addc_co_u32_e64 v3, s[0:1], v3, v5, s[0:1]
	s_cmp_gt_u32 s15, 6
	v_cmp_le_i32_e32 vcc, s7, v1
	s_cselect_b64 s[0:1], -1, 0
	s_or_b64 s[0:1], s[0:1], vcc
	s_and_b64 s[0:1], exec, s[0:1]
	v_add_u32_e32 v1, s17, v1
	s_mov_b32 s15, s18
	s_or_b64 s[4:5], s[0:1], s[4:5]
	s_waitcnt vmcnt(0)
	v_fma_f16 v4, v6, v6, v4
	s_andn2_b64 exec, exec, s[4:5]
	s_cbranch_execnz .LBB503_2
; %bb.3:
	s_or_b64 exec, exec, s[4:5]
.LBB503_4:
	s_or_b64 exec, exec, s[12:13]
	v_and_b32_e32 v2, 63, v0
	v_cmp_gt_u32_e32 vcc, 64, v0
	v_lshlrev_b32_e32 v1, 1, v2
	s_and_saveexec_b64 s[0:1], vcc
	s_cbranch_execz .LBB503_6
; %bb.5:
	v_mov_b32_e32 v3, 0
	ds_write_b16 v1, v3
.LBB503_6:
	s_or_b64 exec, exec, s[0:1]
	v_mbcnt_lo_u32_b32 v3, -1, 0
	v_mbcnt_hi_u32_b32 v5, -1, v3
	v_and_b32_e32 v7, 63, v5
	v_cmp_gt_u32_e64 s[0:1], 32, v7
	v_cndmask_b32_e64 v6, 0, 1, s[0:1]
	v_lshlrev_b32_e32 v6, 5, v6
	v_and_b32_e32 v3, 0xffff, v4
	v_add_lshl_u32 v6, v6, v5, 2
	ds_bpermute_b32 v3, v6, v3
	v_cmp_gt_u32_e64 s[0:1], 48, v7
	v_cndmask_b32_e64 v6, 0, 1, s[0:1]
	s_mov_b32 s4, 0xffff0000
	v_lshlrev_b32_e32 v6, 4, v6
	s_waitcnt lgkmcnt(0)
	v_add_f16_e32 v4, v4, v3
	v_and_or_b32 v3, v3, s4, v4
	v_add_lshl_u32 v6, v6, v5, 2
	ds_bpermute_b32 v3, v6, v3
	v_cmp_gt_u32_e64 s[0:1], 56, v7
	v_cndmask_b32_e64 v6, 0, 1, s[0:1]
	v_lshlrev_b32_e32 v6, 3, v6
	v_add_lshl_u32 v6, v6, v5, 2
	s_waitcnt lgkmcnt(0)
	v_add_f16_e32 v4, v4, v3
	v_and_or_b32 v3, v3, s4, v4
	ds_bpermute_b32 v3, v6, v3
	v_cmp_gt_u32_e64 s[0:1], 60, v7
	s_waitcnt lgkmcnt(0)
	s_barrier
	v_add_f16_e32 v4, v4, v3
	v_and_or_b32 v6, v3, s4, v4
	v_cndmask_b32_e64 v3, 0, 1, s[0:1]
	v_lshlrev_b32_e32 v3, 2, v3
	v_add_lshl_u32 v3, v3, v5, 2
	ds_bpermute_b32 v6, v3, v6
	v_cmp_gt_u32_e64 s[0:1], 62, v7
	s_waitcnt lgkmcnt(0)
	v_add_f16_e32 v8, v4, v6
	v_cndmask_b32_e64 v4, 0, 1, s[0:1]
	v_lshlrev_b32_e32 v4, 1, v4
	v_and_or_b32 v6, v6, s4, v8
	v_add_lshl_u32 v4, v4, v5, 2
	ds_bpermute_b32 v9, v4, v6
	v_cmp_ne_u32_e64 s[0:1], 63, v7
	v_addc_co_u32_e64 v5, s[0:1], 0, v5, s[0:1]
	v_lshlrev_b32_e32 v5, 2, v5
	s_waitcnt lgkmcnt(0)
	v_add_f16_e32 v6, v8, v9
	v_and_or_b32 v8, v9, s4, v6
	ds_bpermute_b32 v7, v5, v8
	v_cmp_eq_u32_e64 s[0:1], 0, v2
	s_and_saveexec_b64 s[4:5], s[0:1]
	s_cbranch_execz .LBB503_8
; %bb.7:
	s_waitcnt lgkmcnt(0)
	v_add_f16_e32 v2, v6, v7
	v_lshrrev_b32_e32 v6, 5, v0
	v_and_b32_e32 v6, 14, v6
	ds_write_b16 v6, v2
.LBB503_8:
	s_or_b64 exec, exec, s[4:5]
	v_cmp_gt_u32_e64 s[0:1], 8, v0
	v_mov_b32_e32 v2, 0
	s_waitcnt lgkmcnt(0)
	s_barrier
	s_and_saveexec_b64 s[4:5], s[0:1]
	s_cbranch_execnz .LBB503_12
; %bb.9:
	s_or_b64 exec, exec, s[4:5]
	s_and_saveexec_b64 s[0:1], vcc
	s_cbranch_execnz .LBB503_13
.LBB503_10:
	s_or_b64 exec, exec, s[0:1]
	v_cmp_eq_u32_e32 vcc, 0, v0
	s_and_saveexec_b64 s[0:1], vcc
	s_cbranch_execnz .LBB503_14
.LBB503_11:
	s_endpgm
.LBB503_12:
	ds_read_u16 v2, v1
	s_or_b64 exec, exec, s[4:5]
	s_and_saveexec_b64 s[0:1], vcc
	s_cbranch_execz .LBB503_10
.LBB503_13:
	s_waitcnt lgkmcnt(0)
	v_and_b32_e32 v1, 0xffff, v2
	ds_bpermute_b32 v1, v3, v1
	s_mov_b32 s4, 0xffff0000
	s_waitcnt lgkmcnt(0)
	v_add_f16_e32 v2, v2, v1
	v_and_or_b32 v1, v1, s4, v2
	ds_bpermute_b32 v1, v4, v1
	s_waitcnt lgkmcnt(0)
	v_add_f16_e32 v2, v2, v1
	v_and_or_b32 v1, v1, s4, v2
	ds_bpermute_b32 v1, v5, v1
	s_waitcnt lgkmcnt(0)
	v_add_f16_e32 v2, v2, v1
	s_or_b64 exec, exec, s[0:1]
	v_cmp_eq_u32_e32 vcc, 0, v0
	s_and_saveexec_b64 s[0:1], vcc
	s_cbranch_execz .LBB503_11
.LBB503_14:
	s_cmp_lg_u32 s16, 1
	s_cbranch_scc0 .LBB503_16
; %bb.15:
	s_mul_hi_u32 s1, s16, s2
	s_mul_i32 s0, s16, s2
	s_lshl_b64 s[0:1], s[0:1], 1
	s_mov_b32 s7, 0
	s_add_u32 s4, s8, s0
	s_addc_u32 s5, s9, s1
	s_lshl_b64 s[0:1], s[6:7], 1
	s_add_u32 s0, s4, s0
	s_addc_u32 s1, s5, s1
	s_cbranch_execz .LBB503_17
	s_branch .LBB503_18
.LBB503_16:
                                        ; implicit-def: $sgpr0_sgpr1
.LBB503_17:
	s_lshl_b64 s[0:1], s[2:3], 1
	s_add_u32 s0, s10, s0
	s_addc_u32 s1, s11, s1
.LBB503_18:
	v_mov_b32_e32 v0, 0
	s_waitcnt lgkmcnt(0)
	global_store_short v0, v2, s[0:1]
	s_endpgm
	.section	.rodata,"a",@progbits
	.p2align	6, 0x0
	.amdhsa_kernel _ZL24rocblas_dot_kernel_magsqIiLb0ELi512ELi8ELb1EDF16_PKDF16_DF16_EviT5_lT_liPT6_PT4_
		.amdhsa_group_segment_fixed_size 128
		.amdhsa_private_segment_fixed_size 0
		.amdhsa_kernarg_size 320
		.amdhsa_user_sgpr_count 6
		.amdhsa_user_sgpr_private_segment_buffer 1
		.amdhsa_user_sgpr_dispatch_ptr 0
		.amdhsa_user_sgpr_queue_ptr 0
		.amdhsa_user_sgpr_kernarg_segment_ptr 1
		.amdhsa_user_sgpr_dispatch_id 0
		.amdhsa_user_sgpr_flat_scratch_init 0
		.amdhsa_user_sgpr_kernarg_preload_length 0
		.amdhsa_user_sgpr_kernarg_preload_offset 0
		.amdhsa_user_sgpr_private_segment_size 0
		.amdhsa_uses_dynamic_stack 0
		.amdhsa_system_sgpr_private_segment_wavefront_offset 0
		.amdhsa_system_sgpr_workgroup_id_x 1
		.amdhsa_system_sgpr_workgroup_id_y 0
		.amdhsa_system_sgpr_workgroup_id_z 1
		.amdhsa_system_sgpr_workgroup_info 0
		.amdhsa_system_vgpr_workitem_id 0
		.amdhsa_next_free_vgpr 10
		.amdhsa_next_free_sgpr 24
		.amdhsa_accum_offset 12
		.amdhsa_reserve_vcc 1
		.amdhsa_reserve_flat_scratch 0
		.amdhsa_float_round_mode_32 0
		.amdhsa_float_round_mode_16_64 0
		.amdhsa_float_denorm_mode_32 3
		.amdhsa_float_denorm_mode_16_64 3
		.amdhsa_dx10_clamp 1
		.amdhsa_ieee_mode 1
		.amdhsa_fp16_overflow 0
		.amdhsa_tg_split 0
		.amdhsa_exception_fp_ieee_invalid_op 0
		.amdhsa_exception_fp_denorm_src 0
		.amdhsa_exception_fp_ieee_div_zero 0
		.amdhsa_exception_fp_ieee_overflow 0
		.amdhsa_exception_fp_ieee_underflow 0
		.amdhsa_exception_fp_ieee_inexact 0
		.amdhsa_exception_int_div_zero 0
	.end_amdhsa_kernel
	.section	.text._ZL24rocblas_dot_kernel_magsqIiLb0ELi512ELi8ELb1EDF16_PKDF16_DF16_EviT5_lT_liPT6_PT4_,"axG",@progbits,_ZL24rocblas_dot_kernel_magsqIiLb0ELi512ELi8ELb1EDF16_PKDF16_DF16_EviT5_lT_liPT6_PT4_,comdat
.Lfunc_end503:
	.size	_ZL24rocblas_dot_kernel_magsqIiLb0ELi512ELi8ELb1EDF16_PKDF16_DF16_EviT5_lT_liPT6_PT4_, .Lfunc_end503-_ZL24rocblas_dot_kernel_magsqIiLb0ELi512ELi8ELb1EDF16_PKDF16_DF16_EviT5_lT_liPT6_PT4_
                                        ; -- End function
	.section	.AMDGPU.csdata,"",@progbits
; Kernel info:
; codeLenInByte = 952
; NumSgprs: 28
; NumVgprs: 10
; NumAgprs: 0
; TotalNumVgprs: 10
; ScratchSize: 0
; MemoryBound: 0
; FloatMode: 240
; IeeeMode: 1
; LDSByteSize: 128 bytes/workgroup (compile time only)
; SGPRBlocks: 3
; VGPRBlocks: 1
; NumSGPRsForWavesPerEU: 28
; NumVGPRsForWavesPerEU: 10
; AccumOffset: 12
; Occupancy: 8
; WaveLimiterHint : 0
; COMPUTE_PGM_RSRC2:SCRATCH_EN: 0
; COMPUTE_PGM_RSRC2:USER_SGPR: 6
; COMPUTE_PGM_RSRC2:TRAP_HANDLER: 0
; COMPUTE_PGM_RSRC2:TGID_X_EN: 1
; COMPUTE_PGM_RSRC2:TGID_Y_EN: 0
; COMPUTE_PGM_RSRC2:TGID_Z_EN: 1
; COMPUTE_PGM_RSRC2:TIDIG_COMP_CNT: 0
; COMPUTE_PGM_RSRC3_GFX90A:ACCUM_OFFSET: 2
; COMPUTE_PGM_RSRC3_GFX90A:TG_SPLIT: 0
	.section	.text._ZL30rocblas_reduction_kernel_part2ILi512ELi8E25rocblas_finalize_identityDF16_DF16_EviPT2_PT3_,"axG",@progbits,_ZL30rocblas_reduction_kernel_part2ILi512ELi8E25rocblas_finalize_identityDF16_DF16_EviPT2_PT3_,comdat
	.globl	_ZL30rocblas_reduction_kernel_part2ILi512ELi8E25rocblas_finalize_identityDF16_DF16_EviPT2_PT3_ ; -- Begin function _ZL30rocblas_reduction_kernel_part2ILi512ELi8E25rocblas_finalize_identityDF16_DF16_EviPT2_PT3_
	.p2align	8
	.type	_ZL30rocblas_reduction_kernel_part2ILi512ELi8E25rocblas_finalize_identityDF16_DF16_EviPT2_PT3_,@function
_ZL30rocblas_reduction_kernel_part2ILi512ELi8E25rocblas_finalize_identityDF16_DF16_EviPT2_PT3_: ; @_ZL30rocblas_reduction_kernel_part2ILi512ELi8E25rocblas_finalize_identityDF16_DF16_EviPT2_PT3_
; %bb.0:
	s_load_dword s12, s[4:5], 0x0
	s_load_dwordx4 s[0:3], s[4:5], 0x8
	v_lshlrev_b32_e32 v4, 3, v0
	s_mov_b32 s7, 0
	v_mov_b32_e32 v1, 0
	s_waitcnt lgkmcnt(0)
	s_ashr_i32 s8, s12, 31
	s_mul_i32 s5, s8, s6
	s_lshr_b32 s8, s8, 29
	s_add_i32 s8, s12, s8
	s_mul_hi_u32 s4, s12, s6
	s_and_b32 s13, s8, -8
	s_add_i32 s5, s4, s5
	s_mul_i32 s4, s12, s6
	v_cmp_gt_i32_e32 vcc, s13, v4
	s_and_saveexec_b64 s[8:9], vcc
	s_cbranch_execz .LBB504_4
; %bb.1:
	s_lshl_b64 s[10:11], s[4:5], 1
	s_add_u32 s10, s0, s10
	v_lshlrev_b32_e32 v2, 4, v0
	s_addc_u32 s11, s1, s11
	v_mov_b32_e32 v3, s11
	v_add_co_u32_e32 v2, vcc, s10, v2
	v_addc_co_u32_e32 v3, vcc, 0, v3, vcc
	v_add_co_u32_e32 v2, vcc, 14, v2
	v_mov_b32_e32 v1, 0
	v_addc_co_u32_e32 v3, vcc, 0, v3, vcc
	s_mov_b64 s[10:11], 0
.LBB504_2:                              ; =>This Inner Loop Header: Depth=1
	global_load_dwordx4 v[6:9], v[2:3], off offset:-14
	v_add_co_u32_e32 v2, vcc, 0x2000, v2
	v_add_u32_e32 v4, 0x1000, v4
	v_addc_co_u32_e32 v3, vcc, 0, v3, vcc
	v_cmp_le_i32_e32 vcc, s13, v4
	s_or_b64 s[10:11], vcc, s[10:11]
	s_waitcnt vmcnt(0)
	v_add_f16_e32 v1, v1, v6
	v_add_f16_sdwa v1, v1, v6 dst_sel:DWORD dst_unused:UNUSED_PAD src0_sel:DWORD src1_sel:WORD_1
	v_add_f16_e32 v1, v1, v7
	v_add_f16_sdwa v1, v1, v7 dst_sel:DWORD dst_unused:UNUSED_PAD src0_sel:DWORD src1_sel:WORD_1
	;; [unrolled: 2-line block ×4, first 2 shown]
	s_andn2_b64 exec, exec, s[10:11]
	s_cbranch_execnz .LBB504_2
; %bb.3:
	s_or_b64 exec, exec, s[10:11]
.LBB504_4:
	s_or_b64 exec, exec, s[8:9]
	s_sub_i32 s8, s12, s13
	v_cmp_gt_u32_e32 vcc, s8, v0
	s_and_saveexec_b64 s[8:9], vcc
	s_cbranch_execz .LBB504_6
; %bb.5:
	s_lshl_b64 s[4:5], s[4:5], 1
	s_add_u32 s0, s0, s4
	v_xad_u32 v2, v0, -1, s12
	v_mov_b32_e32 v3, 0
	s_addc_u32 s1, s1, s5
	v_lshlrev_b64 v[2:3], 1, v[2:3]
	v_mov_b32_e32 v4, s1
	v_add_co_u32_e32 v2, vcc, s0, v2
	v_addc_co_u32_e32 v3, vcc, v4, v3, vcc
	global_load_ushort v2, v[2:3], off
	s_waitcnt vmcnt(0)
	v_add_f16_e32 v1, v1, v2
.LBB504_6:
	s_or_b64 exec, exec, s[8:9]
	v_and_b32_e32 v3, 63, v0
	v_cmp_gt_u32_e32 vcc, 64, v0
	v_lshlrev_b32_e32 v2, 1, v3
	s_and_saveexec_b64 s[0:1], vcc
	s_cbranch_execz .LBB504_8
; %bb.7:
	v_mov_b32_e32 v4, 0
	ds_write_b16 v2, v4
.LBB504_8:
	s_or_b64 exec, exec, s[0:1]
	v_mbcnt_lo_u32_b32 v4, -1, 0
	v_mbcnt_hi_u32_b32 v5, -1, v4
	v_and_b32_e32 v7, 63, v5
	v_cmp_gt_u32_e64 s[0:1], 32, v7
	v_cndmask_b32_e64 v6, 0, 1, s[0:1]
	v_lshlrev_b32_e32 v6, 5, v6
	v_and_b32_e32 v4, 0xffff, v1
	v_add_lshl_u32 v6, v6, v5, 2
	ds_bpermute_b32 v4, v6, v4
	v_cmp_gt_u32_e64 s[0:1], 48, v7
	v_cndmask_b32_e64 v6, 0, 1, s[0:1]
	s_mov_b32 s4, 0xffff0000
	v_lshlrev_b32_e32 v6, 4, v6
	s_waitcnt lgkmcnt(0)
	v_add_f16_e32 v1, v1, v4
	v_and_or_b32 v4, v4, s4, v1
	v_add_lshl_u32 v6, v6, v5, 2
	ds_bpermute_b32 v4, v6, v4
	v_cmp_gt_u32_e64 s[0:1], 56, v7
	v_cndmask_b32_e64 v6, 0, 1, s[0:1]
	v_lshlrev_b32_e32 v6, 3, v6
	v_add_lshl_u32 v6, v6, v5, 2
	s_waitcnt lgkmcnt(0)
	v_add_f16_e32 v1, v1, v4
	v_and_or_b32 v4, v4, s4, v1
	ds_bpermute_b32 v4, v6, v4
	v_cmp_gt_u32_e64 s[0:1], 60, v7
	s_waitcnt lgkmcnt(0)
	s_barrier
	v_add_f16_e32 v6, v1, v4
	v_cndmask_b32_e64 v1, 0, 1, s[0:1]
	v_lshlrev_b32_e32 v1, 2, v1
	v_and_or_b32 v4, v4, s4, v6
	v_add_lshl_u32 v1, v1, v5, 2
	ds_bpermute_b32 v4, v1, v4
	v_cmp_gt_u32_e64 s[0:1], 62, v7
	s_waitcnt lgkmcnt(0)
	v_add_f16_e32 v6, v6, v4
	v_and_or_b32 v8, v4, s4, v6
	v_cndmask_b32_e64 v4, 0, 1, s[0:1]
	v_lshlrev_b32_e32 v4, 1, v4
	v_add_lshl_u32 v4, v4, v5, 2
	ds_bpermute_b32 v8, v4, v8
	v_cmp_ne_u32_e64 s[0:1], 63, v7
	v_addc_co_u32_e64 v5, s[0:1], 0, v5, s[0:1]
	v_lshlrev_b32_e32 v5, 2, v5
	s_waitcnt lgkmcnt(0)
	v_add_f16_e32 v6, v6, v8
	v_and_or_b32 v8, v8, s4, v6
	ds_bpermute_b32 v7, v5, v8
	v_cmp_eq_u32_e64 s[0:1], 0, v3
	s_and_saveexec_b64 s[4:5], s[0:1]
	s_cbranch_execz .LBB504_10
; %bb.9:
	s_waitcnt lgkmcnt(0)
	v_add_f16_e32 v3, v6, v7
	v_lshrrev_b32_e32 v6, 5, v0
	v_and_b32_e32 v6, 14, v6
	ds_write_b16 v6, v3
.LBB504_10:
	s_or_b64 exec, exec, s[4:5]
	v_cmp_gt_u32_e64 s[0:1], 8, v0
	v_mov_b32_e32 v3, 0
	s_waitcnt lgkmcnt(0)
	s_barrier
	s_and_saveexec_b64 s[4:5], s[0:1]
	s_cbranch_execnz .LBB504_14
; %bb.11:
	s_or_b64 exec, exec, s[4:5]
	s_and_saveexec_b64 s[0:1], vcc
	s_cbranch_execnz .LBB504_15
.LBB504_12:
	s_or_b64 exec, exec, s[0:1]
	v_cmp_eq_u32_e32 vcc, 0, v0
	s_and_saveexec_b64 s[0:1], vcc
	s_cbranch_execnz .LBB504_16
.LBB504_13:
	s_endpgm
.LBB504_14:
	ds_read_u16 v3, v2
	s_or_b64 exec, exec, s[4:5]
	s_and_saveexec_b64 s[0:1], vcc
	s_cbranch_execz .LBB504_12
.LBB504_15:
	s_waitcnt lgkmcnt(0)
	v_and_b32_e32 v2, 0xffff, v3
	ds_bpermute_b32 v1, v1, v2
	s_mov_b32 s4, 0xffff0000
	s_waitcnt lgkmcnt(0)
	v_add_f16_e32 v2, v3, v1
	v_and_or_b32 v1, v1, s4, v2
	ds_bpermute_b32 v1, v4, v1
	s_waitcnt lgkmcnt(0)
	v_add_f16_e32 v2, v2, v1
	v_and_or_b32 v1, v1, s4, v2
	ds_bpermute_b32 v1, v5, v1
	s_waitcnt lgkmcnt(0)
	v_add_f16_e32 v3, v2, v1
	s_or_b64 exec, exec, s[0:1]
	v_cmp_eq_u32_e32 vcc, 0, v0
	s_and_saveexec_b64 s[0:1], vcc
	s_cbranch_execz .LBB504_13
.LBB504_16:
	s_lshl_b64 s[0:1], s[6:7], 1
	s_add_u32 s0, s2, s0
	s_addc_u32 s1, s3, s1
	v_mov_b32_e32 v0, 0
	s_waitcnt lgkmcnt(0)
	global_store_short v0, v3, s[0:1]
	s_endpgm
	.section	.rodata,"a",@progbits
	.p2align	6, 0x0
	.amdhsa_kernel _ZL30rocblas_reduction_kernel_part2ILi512ELi8E25rocblas_finalize_identityDF16_DF16_EviPT2_PT3_
		.amdhsa_group_segment_fixed_size 128
		.amdhsa_private_segment_fixed_size 0
		.amdhsa_kernarg_size 24
		.amdhsa_user_sgpr_count 6
		.amdhsa_user_sgpr_private_segment_buffer 1
		.amdhsa_user_sgpr_dispatch_ptr 0
		.amdhsa_user_sgpr_queue_ptr 0
		.amdhsa_user_sgpr_kernarg_segment_ptr 1
		.amdhsa_user_sgpr_dispatch_id 0
		.amdhsa_user_sgpr_flat_scratch_init 0
		.amdhsa_user_sgpr_kernarg_preload_length 0
		.amdhsa_user_sgpr_kernarg_preload_offset 0
		.amdhsa_user_sgpr_private_segment_size 0
		.amdhsa_uses_dynamic_stack 0
		.amdhsa_system_sgpr_private_segment_wavefront_offset 0
		.amdhsa_system_sgpr_workgroup_id_x 1
		.amdhsa_system_sgpr_workgroup_id_y 0
		.amdhsa_system_sgpr_workgroup_id_z 0
		.amdhsa_system_sgpr_workgroup_info 0
		.amdhsa_system_vgpr_workitem_id 0
		.amdhsa_next_free_vgpr 10
		.amdhsa_next_free_sgpr 14
		.amdhsa_accum_offset 12
		.amdhsa_reserve_vcc 1
		.amdhsa_reserve_flat_scratch 0
		.amdhsa_float_round_mode_32 0
		.amdhsa_float_round_mode_16_64 0
		.amdhsa_float_denorm_mode_32 3
		.amdhsa_float_denorm_mode_16_64 3
		.amdhsa_dx10_clamp 1
		.amdhsa_ieee_mode 1
		.amdhsa_fp16_overflow 0
		.amdhsa_tg_split 0
		.amdhsa_exception_fp_ieee_invalid_op 0
		.amdhsa_exception_fp_denorm_src 0
		.amdhsa_exception_fp_ieee_div_zero 0
		.amdhsa_exception_fp_ieee_overflow 0
		.amdhsa_exception_fp_ieee_underflow 0
		.amdhsa_exception_fp_ieee_inexact 0
		.amdhsa_exception_int_div_zero 0
	.end_amdhsa_kernel
	.section	.text._ZL30rocblas_reduction_kernel_part2ILi512ELi8E25rocblas_finalize_identityDF16_DF16_EviPT2_PT3_,"axG",@progbits,_ZL30rocblas_reduction_kernel_part2ILi512ELi8E25rocblas_finalize_identityDF16_DF16_EviPT2_PT3_,comdat
.Lfunc_end504:
	.size	_ZL30rocblas_reduction_kernel_part2ILi512ELi8E25rocblas_finalize_identityDF16_DF16_EviPT2_PT3_, .Lfunc_end504-_ZL30rocblas_reduction_kernel_part2ILi512ELi8E25rocblas_finalize_identityDF16_DF16_EviPT2_PT3_
                                        ; -- End function
	.section	.AMDGPU.csdata,"",@progbits
; Kernel info:
; codeLenInByte = 924
; NumSgprs: 18
; NumVgprs: 10
; NumAgprs: 0
; TotalNumVgprs: 10
; ScratchSize: 0
; MemoryBound: 0
; FloatMode: 240
; IeeeMode: 1
; LDSByteSize: 128 bytes/workgroup (compile time only)
; SGPRBlocks: 2
; VGPRBlocks: 1
; NumSGPRsForWavesPerEU: 18
; NumVGPRsForWavesPerEU: 10
; AccumOffset: 12
; Occupancy: 8
; WaveLimiterHint : 0
; COMPUTE_PGM_RSRC2:SCRATCH_EN: 0
; COMPUTE_PGM_RSRC2:USER_SGPR: 6
; COMPUTE_PGM_RSRC2:TRAP_HANDLER: 0
; COMPUTE_PGM_RSRC2:TGID_X_EN: 1
; COMPUTE_PGM_RSRC2:TGID_Y_EN: 0
; COMPUTE_PGM_RSRC2:TGID_Z_EN: 0
; COMPUTE_PGM_RSRC2:TIDIG_COMP_CNT: 0
; COMPUTE_PGM_RSRC3_GFX90A:ACCUM_OFFSET: 2
; COMPUTE_PGM_RSRC3_GFX90A:TG_SPLIT: 0
	.section	.text._ZL28rocblas_dot_batched_4_kernelIlLi32ELi4ELb1EDF16_DF16_PKDF16_EviT5_lT_lS2_lS3_liPT4_,"axG",@progbits,_ZL28rocblas_dot_batched_4_kernelIlLi32ELi4ELb1EDF16_DF16_PKDF16_EviT5_lT_lS2_lS3_liPT4_,comdat
	.globl	_ZL28rocblas_dot_batched_4_kernelIlLi32ELi4ELb1EDF16_DF16_PKDF16_EviT5_lT_lS2_lS3_liPT4_ ; -- Begin function _ZL28rocblas_dot_batched_4_kernelIlLi32ELi4ELb1EDF16_DF16_PKDF16_EviT5_lT_lS2_lS3_liPT4_
	.p2align	8
	.type	_ZL28rocblas_dot_batched_4_kernelIlLi32ELi4ELb1EDF16_DF16_PKDF16_EviT5_lT_lS2_lS3_liPT4_,@function
_ZL28rocblas_dot_batched_4_kernelIlLi32ELi4ELb1EDF16_DF16_PKDF16_EviT5_lT_lS2_lS3_liPT4_: ; @_ZL28rocblas_dot_batched_4_kernelIlLi32ELi4ELb1EDF16_DF16_PKDF16_EviT5_lT_lS2_lS3_liPT4_
; %bb.0:
	s_load_dword s0, s[4:5], 0x48
	v_bfe_u32 v1, v0, 10, 10
	v_lshl_add_u32 v2, s6, 2, v1
	s_waitcnt lgkmcnt(0)
	v_cmp_gt_u32_e32 vcc, s0, v2
	s_and_saveexec_b64 s[0:1], vcc
	s_cbranch_execz .LBB505_7
; %bb.1:
	s_load_dword s16, s[4:5], 0x0
	s_load_dwordx2 s[0:1], s[4:5], 0x50
	v_mov_b32_e32 v3, 0
	v_and_b32_e32 v6, 0x3ff, v0
	v_mov_b32_e32 v7, v3
	s_waitcnt lgkmcnt(0)
	v_cmp_gt_i32_e32 vcc, s16, v6
	s_and_saveexec_b64 s[2:3], vcc
	s_cbranch_execz .LBB505_5
; %bb.2:
	s_load_dwordx4 s[20:23], s[4:5], 0x10
	s_load_dwordx2 s[6:7], s[4:5], 0x8
	s_load_dwordx8 s[8:15], s[4:5], 0x20
	s_load_dwordx2 s[18:19], s[4:5], 0x40
	s_waitcnt lgkmcnt(0)
	v_mad_u64_u32 v[0:1], s[4:5], s22, v6, 0
	v_mov_b32_e32 v4, v1
	v_mad_u64_u32 v[4:5], s[4:5], s23, v6, v[4:5]
	v_mov_b32_e32 v1, v4
	;; [unrolled: 2-line block ×4, first 2 shown]
	v_lshlrev_b64 v[0:1], 1, v[0:1]
	v_lshlrev_b64 v[4:5], 1, v[4:5]
	s_lshl_b64 s[4:5], s[20:21], 1
	v_add_co_u32_e32 v0, vcc, v0, v4
	s_add_u32 s4, s6, s4
	v_addc_co_u32_e32 v1, vcc, v1, v5, vcc
	s_addc_u32 s5, s7, s5
	v_mov_b32_e32 v4, s5
	v_add_co_u32_e32 v0, vcc, s4, v0
	v_addc_co_u32_e32 v1, vcc, v4, v1, vcc
	v_mad_u64_u32 v[4:5], s[6:7], s14, v6, 0
	v_mov_b32_e32 v8, v5
	v_mad_u64_u32 v[8:9], s[6:7], s15, v6, v[8:9]
	v_mov_b32_e32 v5, v8
	;; [unrolled: 2-line block ×4, first 2 shown]
	s_lshl_b64 s[4:5], s[22:23], 6
	v_lshlrev_b64 v[4:5], 1, v[4:5]
	v_lshlrev_b64 v[8:9], 1, v[8:9]
	s_lshl_b64 s[6:7], s[12:13], 1
	v_add_co_u32_e32 v4, vcc, v4, v8
	s_add_u32 s6, s10, s6
	v_addc_co_u32_e32 v5, vcc, v5, v9, vcc
	s_addc_u32 s7, s11, s7
	v_mov_b32_e32 v7, s7
	v_add_co_u32_e32 v4, vcc, s6, v4
	s_lshl_b64 s[8:9], s[14:15], 6
	v_addc_co_u32_e32 v5, vcc, v7, v5, vcc
	s_mov_b64 s[6:7], 0
	v_mov_b32_e32 v7, 0
	v_mov_b32_e32 v8, s5
	;; [unrolled: 1-line block ×4, first 2 shown]
.LBB505_3:                              ; =>This Inner Loop Header: Depth=1
	global_load_ushort v11, v[0:1], off
	global_load_ushort v12, v[4:5], off
	v_add_co_u32_e32 v0, vcc, s4, v0
	v_addc_co_u32_e32 v1, vcc, v1, v8, vcc
	v_add_co_u32_e32 v4, vcc, s8, v4
	v_add_u32_e32 v10, 32, v10
	v_addc_co_u32_e32 v5, vcc, v5, v9, vcc
	v_cmp_le_i32_e32 vcc, s16, v10
	s_or_b64 s[6:7], vcc, s[6:7]
	s_waitcnt vmcnt(0)
	v_fma_f16 v7, v11, v12, v7
	s_andn2_b64 exec, exec, s[6:7]
	s_cbranch_execnz .LBB505_3
; %bb.4:
	s_or_b64 exec, exec, s[6:7]
.LBB505_5:
	s_or_b64 exec, exec, s[2:3]
	v_mbcnt_lo_u32_b32 v0, -1, 0
	v_mbcnt_hi_u32_b32 v1, -1, v0
	v_and_b32_e32 v4, 63, v1
	v_cmp_gt_u32_e32 vcc, 48, v4
	v_cndmask_b32_e64 v5, 0, 1, vcc
	v_lshlrev_b32_e32 v5, 4, v5
	v_and_b32_e32 v0, 0xffff, v7
	v_add_lshl_u32 v5, v5, v1, 2
	ds_bpermute_b32 v0, v5, v0
	v_cmp_gt_u32_e32 vcc, 56, v4
	s_mov_b32 s2, 0xffff0000
	s_waitcnt lgkmcnt(0)
	s_barrier
	v_add_f16_e32 v5, v7, v0
	v_cndmask_b32_e64 v7, 0, 1, vcc
	v_lshlrev_b32_e32 v7, 3, v7
	v_and_or_b32 v0, v0, s2, v5
	v_add_lshl_u32 v7, v7, v1, 2
	ds_bpermute_b32 v0, v7, v0
	v_cmp_gt_u32_e32 vcc, 60, v4
	v_cndmask_b32_e64 v7, 0, 1, vcc
	v_lshlrev_b32_e32 v7, 2, v7
	v_add_lshl_u32 v7, v7, v1, 2
	s_waitcnt lgkmcnt(0)
	v_add_f16_e32 v5, v5, v0
	v_and_or_b32 v0, v0, s2, v5
	ds_bpermute_b32 v0, v7, v0
	v_cmp_gt_u32_e32 vcc, 62, v4
	v_cndmask_b32_e64 v7, 0, 1, vcc
	v_lshlrev_b32_e32 v7, 1, v7
	v_add_lshl_u32 v7, v7, v1, 2
	s_waitcnt lgkmcnt(0)
	v_add_f16_e32 v5, v5, v0
	v_and_or_b32 v0, v0, s2, v5
	ds_bpermute_b32 v7, v7, v0
	v_cmp_ne_u32_e32 vcc, 63, v4
	v_addc_co_u32_e32 v1, vcc, 0, v1, vcc
	v_lshlrev_b32_e32 v1, 2, v1
	s_waitcnt lgkmcnt(0)
	v_add_f16_e32 v0, v5, v7
	v_and_or_b32 v5, v7, s2, v0
	ds_bpermute_b32 v1, v1, v5
	v_cmp_eq_u32_e32 vcc, 0, v6
	s_waitcnt lgkmcnt(0)
	s_and_b64 exec, exec, vcc
	s_cbranch_execz .LBB505_7
; %bb.6:
	v_lshlrev_b64 v[2:3], 1, v[2:3]
	v_mov_b32_e32 v4, s1
	v_add_co_u32_e32 v2, vcc, s0, v2
	v_addc_co_u32_e32 v3, vcc, v4, v3, vcc
	v_add_f16_e32 v0, v0, v1
	global_store_short v[2:3], v0, off
.LBB505_7:
	s_endpgm
	.section	.rodata,"a",@progbits
	.p2align	6, 0x0
	.amdhsa_kernel _ZL28rocblas_dot_batched_4_kernelIlLi32ELi4ELb1EDF16_DF16_PKDF16_EviT5_lT_lS2_lS3_liPT4_
		.amdhsa_group_segment_fixed_size 0
		.amdhsa_private_segment_fixed_size 0
		.amdhsa_kernarg_size 88
		.amdhsa_user_sgpr_count 6
		.amdhsa_user_sgpr_private_segment_buffer 1
		.amdhsa_user_sgpr_dispatch_ptr 0
		.amdhsa_user_sgpr_queue_ptr 0
		.amdhsa_user_sgpr_kernarg_segment_ptr 1
		.amdhsa_user_sgpr_dispatch_id 0
		.amdhsa_user_sgpr_flat_scratch_init 0
		.amdhsa_user_sgpr_kernarg_preload_length 0
		.amdhsa_user_sgpr_kernarg_preload_offset 0
		.amdhsa_user_sgpr_private_segment_size 0
		.amdhsa_uses_dynamic_stack 0
		.amdhsa_system_sgpr_private_segment_wavefront_offset 0
		.amdhsa_system_sgpr_workgroup_id_x 1
		.amdhsa_system_sgpr_workgroup_id_y 0
		.amdhsa_system_sgpr_workgroup_id_z 0
		.amdhsa_system_sgpr_workgroup_info 0
		.amdhsa_system_vgpr_workitem_id 1
		.amdhsa_next_free_vgpr 13
		.amdhsa_next_free_sgpr 24
		.amdhsa_accum_offset 16
		.amdhsa_reserve_vcc 1
		.amdhsa_reserve_flat_scratch 0
		.amdhsa_float_round_mode_32 0
		.amdhsa_float_round_mode_16_64 0
		.amdhsa_float_denorm_mode_32 3
		.amdhsa_float_denorm_mode_16_64 3
		.amdhsa_dx10_clamp 1
		.amdhsa_ieee_mode 1
		.amdhsa_fp16_overflow 0
		.amdhsa_tg_split 0
		.amdhsa_exception_fp_ieee_invalid_op 0
		.amdhsa_exception_fp_denorm_src 0
		.amdhsa_exception_fp_ieee_div_zero 0
		.amdhsa_exception_fp_ieee_overflow 0
		.amdhsa_exception_fp_ieee_underflow 0
		.amdhsa_exception_fp_ieee_inexact 0
		.amdhsa_exception_int_div_zero 0
	.end_amdhsa_kernel
	.section	.text._ZL28rocblas_dot_batched_4_kernelIlLi32ELi4ELb1EDF16_DF16_PKDF16_EviT5_lT_lS2_lS3_liPT4_,"axG",@progbits,_ZL28rocblas_dot_batched_4_kernelIlLi32ELi4ELb1EDF16_DF16_PKDF16_EviT5_lT_lS2_lS3_liPT4_,comdat
.Lfunc_end505:
	.size	_ZL28rocblas_dot_batched_4_kernelIlLi32ELi4ELb1EDF16_DF16_PKDF16_EviT5_lT_lS2_lS3_liPT4_, .Lfunc_end505-_ZL28rocblas_dot_batched_4_kernelIlLi32ELi4ELb1EDF16_DF16_PKDF16_EviT5_lT_lS2_lS3_liPT4_
                                        ; -- End function
	.section	.AMDGPU.csdata,"",@progbits
; Kernel info:
; codeLenInByte = 720
; NumSgprs: 28
; NumVgprs: 13
; NumAgprs: 0
; TotalNumVgprs: 13
; ScratchSize: 0
; MemoryBound: 0
; FloatMode: 240
; IeeeMode: 1
; LDSByteSize: 0 bytes/workgroup (compile time only)
; SGPRBlocks: 3
; VGPRBlocks: 1
; NumSGPRsForWavesPerEU: 28
; NumVGPRsForWavesPerEU: 13
; AccumOffset: 16
; Occupancy: 8
; WaveLimiterHint : 0
; COMPUTE_PGM_RSRC2:SCRATCH_EN: 0
; COMPUTE_PGM_RSRC2:USER_SGPR: 6
; COMPUTE_PGM_RSRC2:TRAP_HANDLER: 0
; COMPUTE_PGM_RSRC2:TGID_X_EN: 1
; COMPUTE_PGM_RSRC2:TGID_Y_EN: 0
; COMPUTE_PGM_RSRC2:TGID_Z_EN: 0
; COMPUTE_PGM_RSRC2:TIDIG_COMP_CNT: 1
; COMPUTE_PGM_RSRC3_GFX90A:ACCUM_OFFSET: 3
; COMPUTE_PGM_RSRC3_GFX90A:TG_SPLIT: 0
	.section	.text._ZL28rocblas_dot_batched_4_kernelIlLi64ELi4ELb1EDF16_DF16_PKDF16_EviT5_lT_lS2_lS3_liPT4_,"axG",@progbits,_ZL28rocblas_dot_batched_4_kernelIlLi64ELi4ELb1EDF16_DF16_PKDF16_EviT5_lT_lS2_lS3_liPT4_,comdat
	.globl	_ZL28rocblas_dot_batched_4_kernelIlLi64ELi4ELb1EDF16_DF16_PKDF16_EviT5_lT_lS2_lS3_liPT4_ ; -- Begin function _ZL28rocblas_dot_batched_4_kernelIlLi64ELi4ELb1EDF16_DF16_PKDF16_EviT5_lT_lS2_lS3_liPT4_
	.p2align	8
	.type	_ZL28rocblas_dot_batched_4_kernelIlLi64ELi4ELb1EDF16_DF16_PKDF16_EviT5_lT_lS2_lS3_liPT4_,@function
_ZL28rocblas_dot_batched_4_kernelIlLi64ELi4ELb1EDF16_DF16_PKDF16_EviT5_lT_lS2_lS3_liPT4_: ; @_ZL28rocblas_dot_batched_4_kernelIlLi64ELi4ELb1EDF16_DF16_PKDF16_EviT5_lT_lS2_lS3_liPT4_
; %bb.0:
	s_load_dword s0, s[4:5], 0x48
	v_bfe_u32 v1, v0, 10, 10
	v_lshl_add_u32 v2, s6, 2, v1
	s_waitcnt lgkmcnt(0)
	v_cmp_gt_u32_e32 vcc, s0, v2
	s_and_saveexec_b64 s[0:1], vcc
	s_cbranch_execz .LBB506_7
; %bb.1:
	s_load_dword s16, s[4:5], 0x0
	s_load_dwordx2 s[0:1], s[4:5], 0x50
	v_mov_b32_e32 v3, 0
	v_and_b32_e32 v6, 0x3ff, v0
	v_mov_b32_e32 v7, v3
	s_waitcnt lgkmcnt(0)
	v_cmp_gt_i32_e32 vcc, s16, v6
	s_and_saveexec_b64 s[2:3], vcc
	s_cbranch_execz .LBB506_5
; %bb.2:
	s_load_dwordx4 s[20:23], s[4:5], 0x10
	s_load_dwordx2 s[6:7], s[4:5], 0x8
	s_load_dwordx8 s[8:15], s[4:5], 0x20
	s_load_dwordx2 s[18:19], s[4:5], 0x40
	s_waitcnt lgkmcnt(0)
	v_mad_u64_u32 v[0:1], s[4:5], s22, v6, 0
	v_mov_b32_e32 v4, v1
	v_mad_u64_u32 v[4:5], s[4:5], s23, v6, v[4:5]
	v_mov_b32_e32 v1, v4
	;; [unrolled: 2-line block ×4, first 2 shown]
	v_lshlrev_b64 v[0:1], 1, v[0:1]
	v_lshlrev_b64 v[4:5], 1, v[4:5]
	s_lshl_b64 s[4:5], s[20:21], 1
	v_add_co_u32_e32 v0, vcc, v0, v4
	s_add_u32 s4, s6, s4
	v_addc_co_u32_e32 v1, vcc, v1, v5, vcc
	s_addc_u32 s5, s7, s5
	v_mov_b32_e32 v4, s5
	v_add_co_u32_e32 v0, vcc, s4, v0
	v_addc_co_u32_e32 v1, vcc, v4, v1, vcc
	v_mad_u64_u32 v[4:5], s[6:7], s14, v6, 0
	v_mov_b32_e32 v8, v5
	v_mad_u64_u32 v[8:9], s[6:7], s15, v6, v[8:9]
	v_mov_b32_e32 v5, v8
	;; [unrolled: 2-line block ×4, first 2 shown]
	s_lshl_b64 s[4:5], s[22:23], 7
	v_lshlrev_b64 v[4:5], 1, v[4:5]
	v_lshlrev_b64 v[8:9], 1, v[8:9]
	s_lshl_b64 s[6:7], s[12:13], 1
	v_add_co_u32_e32 v4, vcc, v4, v8
	s_add_u32 s6, s10, s6
	v_addc_co_u32_e32 v5, vcc, v5, v9, vcc
	s_addc_u32 s7, s11, s7
	v_mov_b32_e32 v7, s7
	v_add_co_u32_e32 v4, vcc, s6, v4
	s_lshl_b64 s[8:9], s[14:15], 7
	v_addc_co_u32_e32 v5, vcc, v7, v5, vcc
	s_mov_b64 s[6:7], 0
	v_mov_b32_e32 v7, 0
	v_mov_b32_e32 v8, s5
	;; [unrolled: 1-line block ×4, first 2 shown]
.LBB506_3:                              ; =>This Inner Loop Header: Depth=1
	global_load_ushort v11, v[0:1], off
	global_load_ushort v12, v[4:5], off
	v_add_co_u32_e32 v0, vcc, s4, v0
	v_addc_co_u32_e32 v1, vcc, v1, v8, vcc
	v_add_co_u32_e32 v4, vcc, s8, v4
	v_add_u32_e32 v10, 64, v10
	v_addc_co_u32_e32 v5, vcc, v5, v9, vcc
	v_cmp_le_i32_e32 vcc, s16, v10
	s_or_b64 s[6:7], vcc, s[6:7]
	s_waitcnt vmcnt(0)
	v_fma_f16 v7, v11, v12, v7
	s_andn2_b64 exec, exec, s[6:7]
	s_cbranch_execnz .LBB506_3
; %bb.4:
	s_or_b64 exec, exec, s[6:7]
.LBB506_5:
	s_or_b64 exec, exec, s[2:3]
	v_mbcnt_lo_u32_b32 v0, -1, 0
	v_mbcnt_hi_u32_b32 v1, -1, v0
	v_and_b32_e32 v4, 63, v1
	v_cmp_gt_u32_e32 vcc, 32, v4
	v_cndmask_b32_e64 v5, 0, 1, vcc
	v_lshlrev_b32_e32 v5, 5, v5
	v_and_b32_e32 v0, 0xffff, v7
	v_add_lshl_u32 v5, v5, v1, 2
	ds_bpermute_b32 v0, v5, v0
	v_cmp_gt_u32_e32 vcc, 48, v4
	s_mov_b32 s2, 0xffff0000
	s_waitcnt lgkmcnt(0)
	s_barrier
	v_add_f16_e32 v5, v7, v0
	v_cndmask_b32_e64 v7, 0, 1, vcc
	v_lshlrev_b32_e32 v7, 4, v7
	v_and_or_b32 v0, v0, s2, v5
	v_add_lshl_u32 v7, v7, v1, 2
	ds_bpermute_b32 v0, v7, v0
	v_cmp_gt_u32_e32 vcc, 56, v4
	v_cndmask_b32_e64 v7, 0, 1, vcc
	v_lshlrev_b32_e32 v7, 3, v7
	v_add_lshl_u32 v7, v7, v1, 2
	s_waitcnt lgkmcnt(0)
	v_add_f16_e32 v5, v5, v0
	v_and_or_b32 v0, v0, s2, v5
	ds_bpermute_b32 v0, v7, v0
	v_cmp_gt_u32_e32 vcc, 60, v4
	v_cndmask_b32_e64 v7, 0, 1, vcc
	v_lshlrev_b32_e32 v7, 2, v7
	v_add_lshl_u32 v7, v7, v1, 2
	s_waitcnt lgkmcnt(0)
	v_add_f16_e32 v5, v5, v0
	v_and_or_b32 v0, v0, s2, v5
	;; [unrolled: 8-line block ×3, first 2 shown]
	ds_bpermute_b32 v7, v7, v0
	v_cmp_ne_u32_e32 vcc, 63, v4
	v_addc_co_u32_e32 v1, vcc, 0, v1, vcc
	v_lshlrev_b32_e32 v1, 2, v1
	s_waitcnt lgkmcnt(0)
	v_add_f16_e32 v0, v5, v7
	v_and_or_b32 v5, v7, s2, v0
	ds_bpermute_b32 v1, v1, v5
	v_cmp_eq_u32_e32 vcc, 0, v6
	s_waitcnt lgkmcnt(0)
	s_and_b64 exec, exec, vcc
	s_cbranch_execz .LBB506_7
; %bb.6:
	v_lshlrev_b64 v[2:3], 1, v[2:3]
	v_mov_b32_e32 v4, s1
	v_add_co_u32_e32 v2, vcc, s0, v2
	v_addc_co_u32_e32 v3, vcc, v4, v3, vcc
	v_add_f16_e32 v0, v0, v1
	global_store_short v[2:3], v0, off
.LBB506_7:
	s_endpgm
	.section	.rodata,"a",@progbits
	.p2align	6, 0x0
	.amdhsa_kernel _ZL28rocblas_dot_batched_4_kernelIlLi64ELi4ELb1EDF16_DF16_PKDF16_EviT5_lT_lS2_lS3_liPT4_
		.amdhsa_group_segment_fixed_size 0
		.amdhsa_private_segment_fixed_size 0
		.amdhsa_kernarg_size 88
		.amdhsa_user_sgpr_count 6
		.amdhsa_user_sgpr_private_segment_buffer 1
		.amdhsa_user_sgpr_dispatch_ptr 0
		.amdhsa_user_sgpr_queue_ptr 0
		.amdhsa_user_sgpr_kernarg_segment_ptr 1
		.amdhsa_user_sgpr_dispatch_id 0
		.amdhsa_user_sgpr_flat_scratch_init 0
		.amdhsa_user_sgpr_kernarg_preload_length 0
		.amdhsa_user_sgpr_kernarg_preload_offset 0
		.amdhsa_user_sgpr_private_segment_size 0
		.amdhsa_uses_dynamic_stack 0
		.amdhsa_system_sgpr_private_segment_wavefront_offset 0
		.amdhsa_system_sgpr_workgroup_id_x 1
		.amdhsa_system_sgpr_workgroup_id_y 0
		.amdhsa_system_sgpr_workgroup_id_z 0
		.amdhsa_system_sgpr_workgroup_info 0
		.amdhsa_system_vgpr_workitem_id 1
		.amdhsa_next_free_vgpr 13
		.amdhsa_next_free_sgpr 24
		.amdhsa_accum_offset 16
		.amdhsa_reserve_vcc 1
		.amdhsa_reserve_flat_scratch 0
		.amdhsa_float_round_mode_32 0
		.amdhsa_float_round_mode_16_64 0
		.amdhsa_float_denorm_mode_32 3
		.amdhsa_float_denorm_mode_16_64 3
		.amdhsa_dx10_clamp 1
		.amdhsa_ieee_mode 1
		.amdhsa_fp16_overflow 0
		.amdhsa_tg_split 0
		.amdhsa_exception_fp_ieee_invalid_op 0
		.amdhsa_exception_fp_denorm_src 0
		.amdhsa_exception_fp_ieee_div_zero 0
		.amdhsa_exception_fp_ieee_overflow 0
		.amdhsa_exception_fp_ieee_underflow 0
		.amdhsa_exception_fp_ieee_inexact 0
		.amdhsa_exception_int_div_zero 0
	.end_amdhsa_kernel
	.section	.text._ZL28rocblas_dot_batched_4_kernelIlLi64ELi4ELb1EDF16_DF16_PKDF16_EviT5_lT_lS2_lS3_liPT4_,"axG",@progbits,_ZL28rocblas_dot_batched_4_kernelIlLi64ELi4ELb1EDF16_DF16_PKDF16_EviT5_lT_lS2_lS3_liPT4_,comdat
.Lfunc_end506:
	.size	_ZL28rocblas_dot_batched_4_kernelIlLi64ELi4ELb1EDF16_DF16_PKDF16_EviT5_lT_lS2_lS3_liPT4_, .Lfunc_end506-_ZL28rocblas_dot_batched_4_kernelIlLi64ELi4ELb1EDF16_DF16_PKDF16_EviT5_lT_lS2_lS3_liPT4_
                                        ; -- End function
	.section	.AMDGPU.csdata,"",@progbits
; Kernel info:
; codeLenInByte = 768
; NumSgprs: 28
; NumVgprs: 13
; NumAgprs: 0
; TotalNumVgprs: 13
; ScratchSize: 0
; MemoryBound: 0
; FloatMode: 240
; IeeeMode: 1
; LDSByteSize: 0 bytes/workgroup (compile time only)
; SGPRBlocks: 3
; VGPRBlocks: 1
; NumSGPRsForWavesPerEU: 28
; NumVGPRsForWavesPerEU: 13
; AccumOffset: 16
; Occupancy: 8
; WaveLimiterHint : 0
; COMPUTE_PGM_RSRC2:SCRATCH_EN: 0
; COMPUTE_PGM_RSRC2:USER_SGPR: 6
; COMPUTE_PGM_RSRC2:TRAP_HANDLER: 0
; COMPUTE_PGM_RSRC2:TGID_X_EN: 1
; COMPUTE_PGM_RSRC2:TGID_Y_EN: 0
; COMPUTE_PGM_RSRC2:TGID_Z_EN: 0
; COMPUTE_PGM_RSRC2:TIDIG_COMP_CNT: 1
; COMPUTE_PGM_RSRC3_GFX90A:ACCUM_OFFSET: 3
; COMPUTE_PGM_RSRC3_GFX90A:TG_SPLIT: 0
	.section	.text._ZL18rocblas_dot_kernelIlLb1ELi1024ELi32ELb1EDF16_PKDF16_DF16_EviT5_lT_lS2_lS3_liPT6_PT4_,"axG",@progbits,_ZL18rocblas_dot_kernelIlLb1ELi1024ELi32ELb1EDF16_PKDF16_DF16_EviT5_lT_lS2_lS3_liPT6_PT4_,comdat
	.globl	_ZL18rocblas_dot_kernelIlLb1ELi1024ELi32ELb1EDF16_PKDF16_DF16_EviT5_lT_lS2_lS3_liPT6_PT4_ ; -- Begin function _ZL18rocblas_dot_kernelIlLb1ELi1024ELi32ELb1EDF16_PKDF16_DF16_EviT5_lT_lS2_lS3_liPT6_PT4_
	.p2align	8
	.type	_ZL18rocblas_dot_kernelIlLb1ELi1024ELi32ELb1EDF16_PKDF16_DF16_EviT5_lT_lS2_lS3_liPT6_PT4_,@function
_ZL18rocblas_dot_kernelIlLb1ELi1024ELi32ELb1EDF16_PKDF16_DF16_EviT5_lT_lS2_lS3_liPT6_PT4_: ; @_ZL18rocblas_dot_kernelIlLb1ELi1024ELi32ELb1EDF16_PKDF16_DF16_EviT5_lT_lS2_lS3_liPT6_PT4_
; %bb.0:
	s_mov_b32 s2, s7
	s_load_dword s18, s[4:5], 0x0
	s_load_dwordx2 s[6:7], s[4:5], 0x58
	s_mov_b32 s3, 0
	v_mov_b32_e32 v6, 0
	s_waitcnt lgkmcnt(0)
	v_cmp_gt_i32_e32 vcc, s18, v0
	s_and_saveexec_b64 s[16:17], vcc
	s_cbranch_execz .LBB507_4
; %bb.1:
	s_load_dword s19, s[4:5], 0x60
	s_load_dwordx2 s[0:1], s[4:5], 0x40
	s_load_dwordx8 s[8:15], s[4:5], 0x20
	s_load_dwordx2 s[24:25], s[4:5], 0x8
	s_load_dwordx4 s[20:23], s[4:5], 0x10
	s_waitcnt lgkmcnt(0)
	s_lshl_b32 s19, s19, 10
	s_mul_i32 s1, s1, s2
	s_mul_i32 s4, s9, s2
	s_mul_hi_u32 s5, s8, s2
	s_add_i32 s5, s5, s4
	s_mul_i32 s4, s8, s2
	v_mad_u64_u32 v[2:3], s[8:9], s22, v0, 0
	v_mov_b32_e32 v4, v3
	v_mad_u64_u32 v[4:5], s[8:9], s23, v0, v[4:5]
	s_lshl_b64 s[4:5], s[4:5], 1
	s_lshl_b64 s[8:9], s[20:21], 1
	s_add_u32 s8, s24, s8
	s_addc_u32 s9, s25, s9
	v_mov_b32_e32 v3, v4
	s_add_u32 s4, s8, s4
	v_lshlrev_b64 v[2:3], 1, v[2:3]
	s_addc_u32 s5, s9, s5
	v_mov_b32_e32 v4, s5
	v_add_co_u32_e32 v2, vcc, s4, v2
	s_ashr_i32 s20, s19, 31
	s_mul_hi_u32 s8, s0, s2
	v_addc_co_u32_e32 v3, vcc, v4, v3, vcc
	s_mul_i32 s4, s22, s20
	s_mul_hi_u32 s5, s22, s19
	s_add_i32 s1, s8, s1
	v_mad_u64_u32 v[4:5], s[8:9], s14, v0, 0
	s_add_i32 s4, s5, s4
	s_mul_i32 s5, s23, s19
	v_mov_b32_e32 v6, v5
	s_add_i32 s5, s4, s5
	s_mul_i32 s4, s22, s19
	s_mul_i32 s0, s0, s2
	v_mad_u64_u32 v[6:7], s[8:9], s15, v0, v[6:7]
	s_lshl_b64 s[4:5], s[4:5], 1
	s_lshl_b64 s[0:1], s[0:1], 1
	;; [unrolled: 1-line block ×3, first 2 shown]
	s_add_u32 s8, s10, s8
	s_addc_u32 s9, s11, s9
	v_mov_b32_e32 v5, v6
	s_add_u32 s0, s8, s0
	v_lshlrev_b64 v[4:5], 1, v[4:5]
	s_addc_u32 s1, s9, s1
	v_mov_b32_e32 v6, s1
	v_add_co_u32_e32 v4, vcc, s0, v4
	s_mul_i32 s0, s14, s20
	s_mul_hi_u32 s1, s14, s19
	s_add_i32 s0, s1, s0
	s_mul_i32 s1, s15, s19
	s_add_i32 s1, s0, s1
	s_mul_i32 s0, s14, s19
	s_lshl_b64 s[10:11], s[0:1], 1
	v_or_b32_e32 v1, s19, v0
	v_addc_co_u32_e32 v5, vcc, v6, v5, vcc
	s_mov_b64 s[8:9], 0
	v_mov_b32_e32 v6, 0
	v_mov_b32_e32 v7, s5
	;; [unrolled: 1-line block ×3, first 2 shown]
	s_mov_b32 s5, s3
.LBB507_2:                              ; =>This Inner Loop Header: Depth=1
	global_load_ushort v9, v[4:5], off
	global_load_ushort v10, v[2:3], off
	v_add_co_u32_e64 v2, s[0:1], s4, v2
	v_addc_co_u32_e64 v3, s[0:1], v3, v7, s[0:1]
	s_add_i32 s11, s5, 1
	v_add_co_u32_e64 v4, s[0:1], s10, v4
	v_addc_co_u32_e64 v5, s[0:1], v5, v8, s[0:1]
	s_cmp_gt_u32 s5, 30
	v_cmp_le_i32_e32 vcc, s18, v1
	s_cselect_b64 s[0:1], -1, 0
	s_or_b64 s[0:1], s[0:1], vcc
	s_and_b64 s[0:1], exec, s[0:1]
	v_add_u32_e32 v1, s19, v1
	s_mov_b32 s5, s11
	s_or_b64 s[8:9], s[0:1], s[8:9]
	s_waitcnt vmcnt(0)
	v_fma_f16 v6, v9, v10, v6
	s_andn2_b64 exec, exec, s[8:9]
	s_cbranch_execnz .LBB507_2
; %bb.3:
	s_or_b64 exec, exec, s[8:9]
.LBB507_4:
	s_or_b64 exec, exec, s[16:17]
	v_and_b32_e32 v2, 63, v0
	v_cmp_gt_u32_e32 vcc, 64, v0
	v_lshlrev_b32_e32 v1, 1, v2
	s_and_saveexec_b64 s[0:1], vcc
	s_cbranch_execz .LBB507_6
; %bb.5:
	v_mov_b32_e32 v3, 0
	ds_write_b16 v1, v3
.LBB507_6:
	s_or_b64 exec, exec, s[0:1]
	v_mbcnt_lo_u32_b32 v3, -1, 0
	v_mbcnt_hi_u32_b32 v8, -1, v3
	v_and_b32_e32 v9, 63, v8
	v_cmp_gt_u32_e64 s[0:1], 32, v9
	v_cndmask_b32_e64 v4, 0, 1, s[0:1]
	v_lshlrev_b32_e32 v4, 5, v4
	v_and_b32_e32 v3, 0xffff, v6
	v_add_lshl_u32 v4, v4, v8, 2
	ds_bpermute_b32 v3, v4, v3
	v_cmp_gt_u32_e64 s[0:1], 48, v9
	v_cndmask_b32_e64 v5, 0, 1, s[0:1]
	s_mov_b32 s4, 0xffff0000
	v_lshlrev_b32_e32 v5, 4, v5
	s_waitcnt lgkmcnt(0)
	v_add_f16_e32 v4, v6, v3
	v_and_or_b32 v3, v3, s4, v4
	v_add_lshl_u32 v5, v5, v8, 2
	ds_bpermute_b32 v3, v5, v3
	v_cmp_gt_u32_e64 s[0:1], 56, v9
	s_waitcnt lgkmcnt(0)
	s_barrier
	v_add_f16_e32 v4, v4, v3
	v_and_or_b32 v5, v3, s4, v4
	v_cndmask_b32_e64 v3, 0, 1, s[0:1]
	v_lshlrev_b32_e32 v3, 3, v3
	v_add_lshl_u32 v3, v3, v8, 2
	ds_bpermute_b32 v5, v3, v5
	v_cmp_gt_u32_e64 s[0:1], 60, v9
	s_waitcnt lgkmcnt(0)
	v_add_f16_e32 v6, v4, v5
	v_cndmask_b32_e64 v4, 0, 1, s[0:1]
	v_lshlrev_b32_e32 v4, 2, v4
	v_and_or_b32 v5, v5, s4, v6
	v_add_lshl_u32 v4, v4, v8, 2
	ds_bpermute_b32 v5, v4, v5
	v_cmp_gt_u32_e64 s[0:1], 62, v9
	s_waitcnt lgkmcnt(0)
	v_add_f16_e32 v6, v6, v5
	v_and_or_b32 v7, v5, s4, v6
	v_cndmask_b32_e64 v5, 0, 1, s[0:1]
	v_lshlrev_b32_e32 v5, 1, v5
	v_add_lshl_u32 v5, v5, v8, 2
	ds_bpermute_b32 v10, v5, v7
	v_cmp_ne_u32_e64 s[0:1], 63, v9
	s_waitcnt lgkmcnt(0)
	v_add_f16_e32 v7, v6, v10
	v_addc_co_u32_e64 v6, s[0:1], 0, v8, s[0:1]
	v_and_or_b32 v10, v10, s4, v7
	v_lshlrev_b32_e32 v6, 2, v6
	ds_bpermute_b32 v8, v6, v10
	v_cmp_eq_u32_e64 s[0:1], 0, v2
	s_and_saveexec_b64 s[4:5], s[0:1]
	s_cbranch_execz .LBB507_8
; %bb.7:
	s_waitcnt lgkmcnt(0)
	v_add_f16_e32 v2, v7, v8
	v_lshrrev_b32_e32 v7, 5, v0
	v_and_b32_e32 v7, 30, v7
	ds_write_b16 v7, v2
.LBB507_8:
	s_or_b64 exec, exec, s[4:5]
	v_cmp_gt_u32_e64 s[0:1], 16, v0
	v_mov_b32_e32 v2, 0
	s_waitcnt lgkmcnt(0)
	s_barrier
	s_and_saveexec_b64 s[4:5], s[0:1]
	s_cbranch_execnz .LBB507_12
; %bb.9:
	s_or_b64 exec, exec, s[4:5]
	s_and_saveexec_b64 s[0:1], vcc
	s_cbranch_execnz .LBB507_13
.LBB507_10:
	s_or_b64 exec, exec, s[0:1]
	v_cmp_eq_u32_e32 vcc, 0, v0
	s_and_saveexec_b64 s[0:1], vcc
	s_cbranch_execnz .LBB507_14
.LBB507_11:
	s_endpgm
.LBB507_12:
	ds_read_u16 v2, v1
	s_or_b64 exec, exec, s[4:5]
	s_and_saveexec_b64 s[0:1], vcc
	s_cbranch_execz .LBB507_10
.LBB507_13:
	s_waitcnt lgkmcnt(0)
	v_and_b32_e32 v1, 0xffff, v2
	ds_bpermute_b32 v1, v3, v1
	s_mov_b32 s4, 0xffff0000
	s_waitcnt lgkmcnt(0)
	v_add_f16_e32 v2, v2, v1
	v_and_or_b32 v1, v1, s4, v2
	ds_bpermute_b32 v1, v4, v1
	s_waitcnt lgkmcnt(0)
	v_add_f16_e32 v2, v2, v1
	v_and_or_b32 v1, v1, s4, v2
	ds_bpermute_b32 v1, v5, v1
	;; [unrolled: 4-line block ×3, first 2 shown]
	s_waitcnt lgkmcnt(0)
	v_add_f16_e32 v2, v2, v1
	s_or_b64 exec, exec, s[0:1]
	v_cmp_eq_u32_e32 vcc, 0, v0
	s_and_saveexec_b64 s[0:1], vcc
	s_cbranch_execz .LBB507_11
.LBB507_14:
	s_lshl_b64 s[0:1], s[2:3], 1
	s_add_u32 s0, s6, s0
	s_addc_u32 s1, s7, s1
	v_mov_b32_e32 v0, 0
	s_waitcnt lgkmcnt(0)
	global_store_short v0, v2, s[0:1]
	s_endpgm
	.section	.rodata,"a",@progbits
	.p2align	6, 0x0
	.amdhsa_kernel _ZL18rocblas_dot_kernelIlLb1ELi1024ELi32ELb1EDF16_PKDF16_DF16_EviT5_lT_lS2_lS3_liPT6_PT4_
		.amdhsa_group_segment_fixed_size 128
		.amdhsa_private_segment_fixed_size 0
		.amdhsa_kernarg_size 352
		.amdhsa_user_sgpr_count 6
		.amdhsa_user_sgpr_private_segment_buffer 1
		.amdhsa_user_sgpr_dispatch_ptr 0
		.amdhsa_user_sgpr_queue_ptr 0
		.amdhsa_user_sgpr_kernarg_segment_ptr 1
		.amdhsa_user_sgpr_dispatch_id 0
		.amdhsa_user_sgpr_flat_scratch_init 0
		.amdhsa_user_sgpr_kernarg_preload_length 0
		.amdhsa_user_sgpr_kernarg_preload_offset 0
		.amdhsa_user_sgpr_private_segment_size 0
		.amdhsa_uses_dynamic_stack 0
		.amdhsa_system_sgpr_private_segment_wavefront_offset 0
		.amdhsa_system_sgpr_workgroup_id_x 1
		.amdhsa_system_sgpr_workgroup_id_y 0
		.amdhsa_system_sgpr_workgroup_id_z 1
		.amdhsa_system_sgpr_workgroup_info 0
		.amdhsa_system_vgpr_workitem_id 0
		.amdhsa_next_free_vgpr 11
		.amdhsa_next_free_sgpr 26
		.amdhsa_accum_offset 12
		.amdhsa_reserve_vcc 1
		.amdhsa_reserve_flat_scratch 0
		.amdhsa_float_round_mode_32 0
		.amdhsa_float_round_mode_16_64 0
		.amdhsa_float_denorm_mode_32 3
		.amdhsa_float_denorm_mode_16_64 3
		.amdhsa_dx10_clamp 1
		.amdhsa_ieee_mode 1
		.amdhsa_fp16_overflow 0
		.amdhsa_tg_split 0
		.amdhsa_exception_fp_ieee_invalid_op 0
		.amdhsa_exception_fp_denorm_src 0
		.amdhsa_exception_fp_ieee_div_zero 0
		.amdhsa_exception_fp_ieee_overflow 0
		.amdhsa_exception_fp_ieee_underflow 0
		.amdhsa_exception_fp_ieee_inexact 0
		.amdhsa_exception_int_div_zero 0
	.end_amdhsa_kernel
	.section	.text._ZL18rocblas_dot_kernelIlLb1ELi1024ELi32ELb1EDF16_PKDF16_DF16_EviT5_lT_lS2_lS3_liPT6_PT4_,"axG",@progbits,_ZL18rocblas_dot_kernelIlLb1ELi1024ELi32ELb1EDF16_PKDF16_DF16_EviT5_lT_lS2_lS3_liPT6_PT4_,comdat
.Lfunc_end507:
	.size	_ZL18rocblas_dot_kernelIlLb1ELi1024ELi32ELb1EDF16_PKDF16_DF16_EviT5_lT_lS2_lS3_liPT6_PT4_, .Lfunc_end507-_ZL18rocblas_dot_kernelIlLb1ELi1024ELi32ELb1EDF16_PKDF16_DF16_EviT5_lT_lS2_lS3_liPT6_PT4_
                                        ; -- End function
	.section	.AMDGPU.csdata,"",@progbits
; Kernel info:
; codeLenInByte = 1100
; NumSgprs: 30
; NumVgprs: 11
; NumAgprs: 0
; TotalNumVgprs: 11
; ScratchSize: 0
; MemoryBound: 0
; FloatMode: 240
; IeeeMode: 1
; LDSByteSize: 128 bytes/workgroup (compile time only)
; SGPRBlocks: 3
; VGPRBlocks: 1
; NumSGPRsForWavesPerEU: 30
; NumVGPRsForWavesPerEU: 11
; AccumOffset: 12
; Occupancy: 8
; WaveLimiterHint : 0
; COMPUTE_PGM_RSRC2:SCRATCH_EN: 0
; COMPUTE_PGM_RSRC2:USER_SGPR: 6
; COMPUTE_PGM_RSRC2:TRAP_HANDLER: 0
; COMPUTE_PGM_RSRC2:TGID_X_EN: 1
; COMPUTE_PGM_RSRC2:TGID_Y_EN: 0
; COMPUTE_PGM_RSRC2:TGID_Z_EN: 1
; COMPUTE_PGM_RSRC2:TIDIG_COMP_CNT: 0
; COMPUTE_PGM_RSRC3_GFX90A:ACCUM_OFFSET: 2
; COMPUTE_PGM_RSRC3_GFX90A:TG_SPLIT: 0
	.section	.text._ZL24rocblas_dot_kernel_magsqIlLb1ELi1024ELi32ELb1EDF16_PKDF16_DF16_EviT5_lT_liPT6_PT4_,"axG",@progbits,_ZL24rocblas_dot_kernel_magsqIlLb1ELi1024ELi32ELb1EDF16_PKDF16_DF16_EviT5_lT_liPT6_PT4_,comdat
	.globl	_ZL24rocblas_dot_kernel_magsqIlLb1ELi1024ELi32ELb1EDF16_PKDF16_DF16_EviT5_lT_liPT6_PT4_ ; -- Begin function _ZL24rocblas_dot_kernel_magsqIlLb1ELi1024ELi32ELb1EDF16_PKDF16_DF16_EviT5_lT_liPT6_PT4_
	.p2align	8
	.type	_ZL24rocblas_dot_kernel_magsqIlLb1ELi1024ELi32ELb1EDF16_PKDF16_DF16_EviT5_lT_liPT6_PT4_,@function
_ZL24rocblas_dot_kernel_magsqIlLb1ELi1024ELi32ELb1EDF16_PKDF16_DF16_EviT5_lT_liPT6_PT4_: ; @_ZL24rocblas_dot_kernel_magsqIlLb1ELi1024ELi32ELb1EDF16_PKDF16_DF16_EviT5_lT_liPT6_PT4_
; %bb.0:
	s_mov_b32 s2, s7
	s_load_dword s12, s[4:5], 0x0
	s_load_dwordx2 s[6:7], s[4:5], 0x38
	s_mov_b32 s3, 0
	v_mov_b32_e32 v4, 0
	s_waitcnt lgkmcnt(0)
	v_cmp_gt_i32_e32 vcc, s12, v0
	s_and_saveexec_b64 s[8:9], vcc
	s_cbranch_execz .LBB508_4
; %bb.1:
	s_load_dword s13, s[4:5], 0x40
	s_load_dwordx2 s[0:1], s[4:5], 0x20
	s_load_dwordx2 s[10:11], s[4:5], 0x8
	s_load_dwordx4 s[16:19], s[4:5], 0x10
	s_waitcnt lgkmcnt(0)
	s_lshl_b32 s13, s13, 10
	s_mul_i32 s1, s1, s2
	s_mul_hi_u32 s4, s0, s2
	s_add_i32 s1, s4, s1
	v_mad_u64_u32 v[2:3], s[4:5], s18, v0, 0
	v_mov_b32_e32 v4, v3
	s_mul_i32 s0, s0, s2
	v_mad_u64_u32 v[4:5], s[4:5], s19, v0, v[4:5]
	s_lshl_b64 s[0:1], s[0:1], 1
	s_lshl_b64 s[4:5], s[16:17], 1
	s_add_u32 s4, s10, s4
	v_mov_b32_e32 v3, v4
	s_addc_u32 s5, s11, s5
	v_lshlrev_b64 v[2:3], 1, v[2:3]
	s_add_u32 s0, s4, s0
	s_addc_u32 s1, s5, s1
	v_add_co_u32_e32 v2, vcc, s0, v2
	s_ashr_i32 s0, s13, 31
	v_mov_b32_e32 v4, s1
	s_mul_i32 s0, s18, s0
	s_mul_hi_u32 s1, s18, s13
	s_add_i32 s0, s1, s0
	s_mul_i32 s1, s19, s13
	s_add_i32 s1, s0, s1
	s_mul_i32 s0, s18, s13
	s_lshl_b64 s[10:11], s[0:1], 1
	v_or_b32_e32 v1, s13, v0
	v_addc_co_u32_e32 v3, vcc, v4, v3, vcc
	s_mov_b64 s[4:5], 0
	v_mov_b32_e32 v4, 0
	v_mov_b32_e32 v5, s11
	s_mov_b32 s11, s3
.LBB508_2:                              ; =>This Inner Loop Header: Depth=1
	global_load_ushort v6, v[2:3], off
	s_add_i32 s14, s11, 1
	v_add_co_u32_e64 v2, s[0:1], s10, v2
	v_addc_co_u32_e64 v3, s[0:1], v3, v5, s[0:1]
	s_cmp_gt_u32 s11, 30
	v_cmp_le_i32_e32 vcc, s12, v1
	s_cselect_b64 s[0:1], -1, 0
	s_or_b64 s[0:1], s[0:1], vcc
	s_and_b64 s[0:1], exec, s[0:1]
	v_add_u32_e32 v1, s13, v1
	s_mov_b32 s11, s14
	s_or_b64 s[4:5], s[0:1], s[4:5]
	s_waitcnt vmcnt(0)
	v_fma_f16 v4, v6, v6, v4
	s_andn2_b64 exec, exec, s[4:5]
	s_cbranch_execnz .LBB508_2
; %bb.3:
	s_or_b64 exec, exec, s[4:5]
.LBB508_4:
	s_or_b64 exec, exec, s[8:9]
	v_and_b32_e32 v2, 63, v0
	v_cmp_gt_u32_e32 vcc, 64, v0
	v_lshlrev_b32_e32 v1, 1, v2
	s_and_saveexec_b64 s[0:1], vcc
	s_cbranch_execz .LBB508_6
; %bb.5:
	v_mov_b32_e32 v3, 0
	ds_write_b16 v1, v3
.LBB508_6:
	s_or_b64 exec, exec, s[0:1]
	v_mbcnt_lo_u32_b32 v3, -1, 0
	v_mbcnt_hi_u32_b32 v6, -1, v3
	v_and_b32_e32 v8, 63, v6
	v_cmp_gt_u32_e64 s[0:1], 32, v8
	v_cndmask_b32_e64 v5, 0, 1, s[0:1]
	v_lshlrev_b32_e32 v5, 5, v5
	v_and_b32_e32 v3, 0xffff, v4
	v_add_lshl_u32 v5, v5, v6, 2
	ds_bpermute_b32 v3, v5, v3
	v_cmp_gt_u32_e64 s[0:1], 48, v8
	v_cndmask_b32_e64 v5, 0, 1, s[0:1]
	s_mov_b32 s4, 0xffff0000
	v_lshlrev_b32_e32 v5, 4, v5
	s_waitcnt lgkmcnt(0)
	v_add_f16_e32 v4, v4, v3
	v_and_or_b32 v3, v3, s4, v4
	v_add_lshl_u32 v5, v5, v6, 2
	ds_bpermute_b32 v3, v5, v3
	v_cmp_gt_u32_e64 s[0:1], 56, v8
	s_waitcnt lgkmcnt(0)
	s_barrier
	v_add_f16_e32 v4, v4, v3
	v_and_or_b32 v5, v3, s4, v4
	v_cndmask_b32_e64 v3, 0, 1, s[0:1]
	v_lshlrev_b32_e32 v3, 3, v3
	v_add_lshl_u32 v3, v3, v6, 2
	ds_bpermute_b32 v5, v3, v5
	v_cmp_gt_u32_e64 s[0:1], 60, v8
	s_waitcnt lgkmcnt(0)
	v_add_f16_e32 v7, v4, v5
	v_cndmask_b32_e64 v4, 0, 1, s[0:1]
	v_lshlrev_b32_e32 v4, 2, v4
	v_and_or_b32 v5, v5, s4, v7
	v_add_lshl_u32 v4, v4, v6, 2
	ds_bpermute_b32 v5, v4, v5
	v_cmp_gt_u32_e64 s[0:1], 62, v8
	s_waitcnt lgkmcnt(0)
	v_add_f16_e32 v7, v7, v5
	v_and_or_b32 v9, v5, s4, v7
	v_cndmask_b32_e64 v5, 0, 1, s[0:1]
	v_lshlrev_b32_e32 v5, 1, v5
	v_add_lshl_u32 v5, v5, v6, 2
	ds_bpermute_b32 v9, v5, v9
	v_cmp_ne_u32_e64 s[0:1], 63, v8
	v_addc_co_u32_e64 v6, s[0:1], 0, v6, s[0:1]
	v_lshlrev_b32_e32 v6, 2, v6
	s_waitcnt lgkmcnt(0)
	v_add_f16_e32 v7, v7, v9
	v_and_or_b32 v9, v9, s4, v7
	ds_bpermute_b32 v8, v6, v9
	v_cmp_eq_u32_e64 s[0:1], 0, v2
	s_and_saveexec_b64 s[4:5], s[0:1]
	s_cbranch_execz .LBB508_8
; %bb.7:
	s_waitcnt lgkmcnt(0)
	v_add_f16_e32 v2, v7, v8
	v_lshrrev_b32_e32 v7, 5, v0
	v_and_b32_e32 v7, 30, v7
	ds_write_b16 v7, v2
.LBB508_8:
	s_or_b64 exec, exec, s[4:5]
	v_cmp_gt_u32_e64 s[0:1], 16, v0
	v_mov_b32_e32 v2, 0
	s_waitcnt lgkmcnt(0)
	s_barrier
	s_and_saveexec_b64 s[4:5], s[0:1]
	s_cbranch_execnz .LBB508_12
; %bb.9:
	s_or_b64 exec, exec, s[4:5]
	s_and_saveexec_b64 s[0:1], vcc
	s_cbranch_execnz .LBB508_13
.LBB508_10:
	s_or_b64 exec, exec, s[0:1]
	v_cmp_eq_u32_e32 vcc, 0, v0
	s_and_saveexec_b64 s[0:1], vcc
	s_cbranch_execnz .LBB508_14
.LBB508_11:
	s_endpgm
.LBB508_12:
	ds_read_u16 v2, v1
	s_or_b64 exec, exec, s[4:5]
	s_and_saveexec_b64 s[0:1], vcc
	s_cbranch_execz .LBB508_10
.LBB508_13:
	s_waitcnt lgkmcnt(0)
	v_and_b32_e32 v1, 0xffff, v2
	ds_bpermute_b32 v1, v3, v1
	s_mov_b32 s4, 0xffff0000
	s_waitcnt lgkmcnt(0)
	v_add_f16_e32 v2, v2, v1
	v_and_or_b32 v1, v1, s4, v2
	ds_bpermute_b32 v1, v4, v1
	s_waitcnt lgkmcnt(0)
	v_add_f16_e32 v2, v2, v1
	v_and_or_b32 v1, v1, s4, v2
	ds_bpermute_b32 v1, v5, v1
	;; [unrolled: 4-line block ×3, first 2 shown]
	s_waitcnt lgkmcnt(0)
	v_add_f16_e32 v2, v2, v1
	s_or_b64 exec, exec, s[0:1]
	v_cmp_eq_u32_e32 vcc, 0, v0
	s_and_saveexec_b64 s[0:1], vcc
	s_cbranch_execz .LBB508_11
.LBB508_14:
	s_lshl_b64 s[0:1], s[2:3], 1
	s_add_u32 s0, s6, s0
	s_addc_u32 s1, s7, s1
	v_mov_b32_e32 v0, 0
	s_waitcnt lgkmcnt(0)
	global_store_short v0, v2, s[0:1]
	s_endpgm
	.section	.rodata,"a",@progbits
	.p2align	6, 0x0
	.amdhsa_kernel _ZL24rocblas_dot_kernel_magsqIlLb1ELi1024ELi32ELb1EDF16_PKDF16_DF16_EviT5_lT_liPT6_PT4_
		.amdhsa_group_segment_fixed_size 128
		.amdhsa_private_segment_fixed_size 0
		.amdhsa_kernarg_size 320
		.amdhsa_user_sgpr_count 6
		.amdhsa_user_sgpr_private_segment_buffer 1
		.amdhsa_user_sgpr_dispatch_ptr 0
		.amdhsa_user_sgpr_queue_ptr 0
		.amdhsa_user_sgpr_kernarg_segment_ptr 1
		.amdhsa_user_sgpr_dispatch_id 0
		.amdhsa_user_sgpr_flat_scratch_init 0
		.amdhsa_user_sgpr_kernarg_preload_length 0
		.amdhsa_user_sgpr_kernarg_preload_offset 0
		.amdhsa_user_sgpr_private_segment_size 0
		.amdhsa_uses_dynamic_stack 0
		.amdhsa_system_sgpr_private_segment_wavefront_offset 0
		.amdhsa_system_sgpr_workgroup_id_x 1
		.amdhsa_system_sgpr_workgroup_id_y 0
		.amdhsa_system_sgpr_workgroup_id_z 1
		.amdhsa_system_sgpr_workgroup_info 0
		.amdhsa_system_vgpr_workitem_id 0
		.amdhsa_next_free_vgpr 10
		.amdhsa_next_free_sgpr 20
		.amdhsa_accum_offset 12
		.amdhsa_reserve_vcc 1
		.amdhsa_reserve_flat_scratch 0
		.amdhsa_float_round_mode_32 0
		.amdhsa_float_round_mode_16_64 0
		.amdhsa_float_denorm_mode_32 3
		.amdhsa_float_denorm_mode_16_64 3
		.amdhsa_dx10_clamp 1
		.amdhsa_ieee_mode 1
		.amdhsa_fp16_overflow 0
		.amdhsa_tg_split 0
		.amdhsa_exception_fp_ieee_invalid_op 0
		.amdhsa_exception_fp_denorm_src 0
		.amdhsa_exception_fp_ieee_div_zero 0
		.amdhsa_exception_fp_ieee_overflow 0
		.amdhsa_exception_fp_ieee_underflow 0
		.amdhsa_exception_fp_ieee_inexact 0
		.amdhsa_exception_int_div_zero 0
	.end_amdhsa_kernel
	.section	.text._ZL24rocblas_dot_kernel_magsqIlLb1ELi1024ELi32ELb1EDF16_PKDF16_DF16_EviT5_lT_liPT6_PT4_,"axG",@progbits,_ZL24rocblas_dot_kernel_magsqIlLb1ELi1024ELi32ELb1EDF16_PKDF16_DF16_EviT5_lT_liPT6_PT4_,comdat
.Lfunc_end508:
	.size	_ZL24rocblas_dot_kernel_magsqIlLb1ELi1024ELi32ELb1EDF16_PKDF16_DF16_EviT5_lT_liPT6_PT4_, .Lfunc_end508-_ZL24rocblas_dot_kernel_magsqIlLb1ELi1024ELi32ELb1EDF16_PKDF16_DF16_EviT5_lT_liPT6_PT4_
                                        ; -- End function
	.section	.AMDGPU.csdata,"",@progbits
; Kernel info:
; codeLenInByte = 952
; NumSgprs: 24
; NumVgprs: 10
; NumAgprs: 0
; TotalNumVgprs: 10
; ScratchSize: 0
; MemoryBound: 0
; FloatMode: 240
; IeeeMode: 1
; LDSByteSize: 128 bytes/workgroup (compile time only)
; SGPRBlocks: 2
; VGPRBlocks: 1
; NumSGPRsForWavesPerEU: 24
; NumVGPRsForWavesPerEU: 10
; AccumOffset: 12
; Occupancy: 8
; WaveLimiterHint : 0
; COMPUTE_PGM_RSRC2:SCRATCH_EN: 0
; COMPUTE_PGM_RSRC2:USER_SGPR: 6
; COMPUTE_PGM_RSRC2:TRAP_HANDLER: 0
; COMPUTE_PGM_RSRC2:TGID_X_EN: 1
; COMPUTE_PGM_RSRC2:TGID_Y_EN: 0
; COMPUTE_PGM_RSRC2:TGID_Z_EN: 1
; COMPUTE_PGM_RSRC2:TIDIG_COMP_CNT: 0
; COMPUTE_PGM_RSRC3_GFX90A:ACCUM_OFFSET: 2
; COMPUTE_PGM_RSRC3_GFX90A:TG_SPLIT: 0
	.section	.text._ZL18rocblas_dot_kernelIlLb0ELi512ELi8ELb1EDF16_PKDF16_DF16_EviT5_lT_lS2_lS3_liPT6_PT4_,"axG",@progbits,_ZL18rocblas_dot_kernelIlLb0ELi512ELi8ELb1EDF16_PKDF16_DF16_EviT5_lT_lS2_lS3_liPT6_PT4_,comdat
	.globl	_ZL18rocblas_dot_kernelIlLb0ELi512ELi8ELb1EDF16_PKDF16_DF16_EviT5_lT_lS2_lS3_liPT6_PT4_ ; -- Begin function _ZL18rocblas_dot_kernelIlLb0ELi512ELi8ELb1EDF16_PKDF16_DF16_EviT5_lT_lS2_lS3_liPT6_PT4_
	.p2align	8
	.type	_ZL18rocblas_dot_kernelIlLb0ELi512ELi8ELb1EDF16_PKDF16_DF16_EviT5_lT_lS2_lS3_liPT6_PT4_,@function
_ZL18rocblas_dot_kernelIlLb0ELi512ELi8ELb1EDF16_PKDF16_DF16_EviT5_lT_lS2_lS3_liPT6_PT4_: ; @_ZL18rocblas_dot_kernelIlLb0ELi512ELi8ELb1EDF16_PKDF16_DF16_EviT5_lT_lS2_lS3_liPT6_PT4_
; %bb.0:
	s_mov_b32 s2, s7
	s_load_dword s22, s[4:5], 0x60
	s_load_dword s7, s[4:5], 0x0
	s_load_dwordx4 s[16:19], s[4:5], 0x50
	v_lshl_or_b32 v4, s6, 9, v0
	s_mov_b32 s3, 0
	v_mov_b32_e32 v6, 0
	s_waitcnt lgkmcnt(0)
	v_cmp_gt_i32_e32 vcc, s7, v4
	s_and_saveexec_b64 s[20:21], vcc
	s_cbranch_execz .LBB509_4
; %bb.1:
	s_load_dwordx8 s[8:15], s[4:5], 0x20
	s_load_dwordx2 s[0:1], s[4:5], 0x8
	s_load_dwordx4 s[24:27], s[4:5], 0x10
	s_load_dwordx2 s[28:29], s[4:5], 0x40
	s_lshl_b32 s23, s22, 9
	v_ashrrev_i32_e32 v5, 31, v4
	v_add_u32_e32 v1, s23, v4
	s_waitcnt lgkmcnt(0)
	v_mad_u64_u32 v[2:3], s[4:5], s26, v4, 0
	s_mul_i32 s4, s9, s2
	s_mul_hi_u32 s5, s8, s2
	s_add_i32 s5, s5, s4
	s_mul_i32 s4, s8, s2
	s_lshl_b64 s[4:5], s[4:5], 1
	s_lshl_b64 s[8:9], s[24:25], 1
	s_add_u32 s0, s0, s8
	v_mul_lo_u32 v6, s27, v4
	v_mul_lo_u32 v7, s26, v5
	s_addc_u32 s1, s1, s9
	v_add3_u32 v3, v3, v7, v6
	s_add_u32 s0, s0, s4
	v_lshlrev_b64 v[2:3], 1, v[2:3]
	s_addc_u32 s1, s1, s5
	s_ashr_i32 s24, s23, 31
	v_mov_b32_e32 v6, s1
	v_add_co_u32_e32 v2, vcc, s0, v2
	s_mul_i32 s0, s26, s24
	s_mul_hi_u32 s1, s26, s23
	s_add_i32 s0, s1, s0
	s_mul_i32 s1, s27, s23
	s_add_i32 s1, s0, s1
	s_mul_i32 s0, s26, s23
	v_addc_co_u32_e32 v3, vcc, v6, v3, vcc
	s_lshl_b64 s[4:5], s[0:1], 1
	v_mul_lo_u32 v6, s15, v4
	v_mul_lo_u32 v7, s14, v5
	v_mad_u64_u32 v[4:5], s[0:1], s14, v4, 0
	s_mul_i32 s0, s29, s2
	s_mul_hi_u32 s1, s28, s2
	s_add_i32 s1, s1, s0
	s_mul_i32 s0, s28, s2
	s_lshl_b64 s[0:1], s[0:1], 1
	s_lshl_b64 s[8:9], s[12:13], 1
	s_add_u32 s8, s10, s8
	s_addc_u32 s9, s11, s9
	v_add3_u32 v5, v5, v7, v6
	s_add_u32 s0, s8, s0
	v_lshlrev_b64 v[4:5], 1, v[4:5]
	s_addc_u32 s1, s9, s1
	v_mov_b32_e32 v6, s1
	v_add_co_u32_e32 v4, vcc, s0, v4
	s_mul_i32 s0, s14, s24
	s_mul_hi_u32 s1, s14, s23
	s_add_i32 s0, s1, s0
	s_mul_i32 s1, s15, s23
	s_add_i32 s1, s0, s1
	s_mul_i32 s0, s14, s23
	s_lshl_b64 s[10:11], s[0:1], 1
	v_addc_co_u32_e32 v5, vcc, v6, v5, vcc
	s_mov_b64 s[8:9], 0
	v_mov_b32_e32 v6, 0
	v_mov_b32_e32 v7, s5
	;; [unrolled: 1-line block ×3, first 2 shown]
	s_mov_b32 s5, s3
.LBB509_2:                              ; =>This Inner Loop Header: Depth=1
	global_load_ushort v9, v[4:5], off
	global_load_ushort v10, v[2:3], off
	v_add_co_u32_e64 v2, s[0:1], s4, v2
	v_addc_co_u32_e64 v3, s[0:1], v3, v7, s[0:1]
	s_add_i32 s11, s5, 1
	v_add_co_u32_e64 v4, s[0:1], s10, v4
	v_addc_co_u32_e64 v5, s[0:1], v5, v8, s[0:1]
	s_cmp_gt_u32 s5, 6
	v_cmp_le_i32_e32 vcc, s7, v1
	s_cselect_b64 s[0:1], -1, 0
	s_or_b64 s[0:1], s[0:1], vcc
	s_and_b64 s[0:1], exec, s[0:1]
	v_add_u32_e32 v1, s23, v1
	s_mov_b32 s5, s11
	s_or_b64 s[8:9], s[0:1], s[8:9]
	s_waitcnt vmcnt(0)
	v_fma_f16 v6, v9, v10, v6
	s_andn2_b64 exec, exec, s[8:9]
	s_cbranch_execnz .LBB509_2
; %bb.3:
	s_or_b64 exec, exec, s[8:9]
.LBB509_4:
	s_or_b64 exec, exec, s[20:21]
	v_and_b32_e32 v2, 63, v0
	v_cmp_gt_u32_e32 vcc, 64, v0
	v_lshlrev_b32_e32 v1, 1, v2
	s_and_saveexec_b64 s[0:1], vcc
	s_cbranch_execz .LBB509_6
; %bb.5:
	v_mov_b32_e32 v3, 0
	ds_write_b16 v1, v3
.LBB509_6:
	s_or_b64 exec, exec, s[0:1]
	v_mbcnt_lo_u32_b32 v3, -1, 0
	v_mbcnt_hi_u32_b32 v5, -1, v3
	v_and_b32_e32 v7, 63, v5
	v_cmp_gt_u32_e64 s[0:1], 32, v7
	v_cndmask_b32_e64 v4, 0, 1, s[0:1]
	v_lshlrev_b32_e32 v4, 5, v4
	v_and_b32_e32 v3, 0xffff, v6
	v_add_lshl_u32 v4, v4, v5, 2
	ds_bpermute_b32 v3, v4, v3
	v_cmp_gt_u32_e64 s[0:1], 48, v7
	s_mov_b32 s4, 0xffff0000
	s_waitcnt lgkmcnt(0)
	s_barrier
	v_add_f16_e32 v4, v6, v3
	v_cndmask_b32_e64 v6, 0, 1, s[0:1]
	v_lshlrev_b32_e32 v6, 4, v6
	v_and_or_b32 v3, v3, s4, v4
	v_add_lshl_u32 v6, v6, v5, 2
	ds_bpermute_b32 v3, v6, v3
	v_cmp_gt_u32_e64 s[0:1], 56, v7
	v_cndmask_b32_e64 v6, 0, 1, s[0:1]
	v_lshlrev_b32_e32 v6, 3, v6
	v_add_lshl_u32 v6, v6, v5, 2
	s_waitcnt lgkmcnt(0)
	v_add_f16_e32 v4, v4, v3
	v_and_or_b32 v3, v3, s4, v4
	ds_bpermute_b32 v3, v6, v3
	v_cmp_gt_u32_e64 s[0:1], 60, v7
	s_waitcnt lgkmcnt(0)
	v_add_f16_e32 v4, v4, v3
	v_and_or_b32 v6, v3, s4, v4
	v_cndmask_b32_e64 v3, 0, 1, s[0:1]
	v_lshlrev_b32_e32 v3, 2, v3
	v_add_lshl_u32 v3, v3, v5, 2
	ds_bpermute_b32 v6, v3, v6
	v_cmp_gt_u32_e64 s[0:1], 62, v7
	s_waitcnt lgkmcnt(0)
	v_add_f16_e32 v8, v4, v6
	v_cndmask_b32_e64 v4, 0, 1, s[0:1]
	v_lshlrev_b32_e32 v4, 1, v4
	v_and_or_b32 v6, v6, s4, v8
	v_add_lshl_u32 v4, v4, v5, 2
	ds_bpermute_b32 v9, v4, v6
	v_cmp_ne_u32_e64 s[0:1], 63, v7
	v_addc_co_u32_e64 v5, s[0:1], 0, v5, s[0:1]
	v_lshlrev_b32_e32 v5, 2, v5
	s_waitcnt lgkmcnt(0)
	v_add_f16_e32 v6, v8, v9
	v_and_or_b32 v8, v9, s4, v6
	ds_bpermute_b32 v7, v5, v8
	v_cmp_eq_u32_e64 s[0:1], 0, v2
	s_and_saveexec_b64 s[4:5], s[0:1]
	s_cbranch_execz .LBB509_8
; %bb.7:
	s_waitcnt lgkmcnt(0)
	v_add_f16_e32 v2, v6, v7
	v_lshrrev_b32_e32 v6, 5, v0
	v_and_b32_e32 v6, 14, v6
	ds_write_b16 v6, v2
.LBB509_8:
	s_or_b64 exec, exec, s[4:5]
	v_cmp_gt_u32_e64 s[0:1], 8, v0
	v_mov_b32_e32 v2, 0
	s_waitcnt lgkmcnt(0)
	s_barrier
	s_and_saveexec_b64 s[4:5], s[0:1]
	s_cbranch_execnz .LBB509_12
; %bb.9:
	s_or_b64 exec, exec, s[4:5]
	s_and_saveexec_b64 s[0:1], vcc
	s_cbranch_execnz .LBB509_13
.LBB509_10:
	s_or_b64 exec, exec, s[0:1]
	v_cmp_eq_u32_e32 vcc, 0, v0
	s_and_saveexec_b64 s[0:1], vcc
	s_cbranch_execnz .LBB509_14
.LBB509_11:
	s_endpgm
.LBB509_12:
	ds_read_u16 v2, v1
	s_or_b64 exec, exec, s[4:5]
	s_and_saveexec_b64 s[0:1], vcc
	s_cbranch_execz .LBB509_10
.LBB509_13:
	s_waitcnt lgkmcnt(0)
	v_and_b32_e32 v1, 0xffff, v2
	ds_bpermute_b32 v1, v3, v1
	s_mov_b32 s4, 0xffff0000
	s_waitcnt lgkmcnt(0)
	v_add_f16_e32 v2, v2, v1
	v_and_or_b32 v1, v1, s4, v2
	ds_bpermute_b32 v1, v4, v1
	s_waitcnt lgkmcnt(0)
	v_add_f16_e32 v2, v2, v1
	v_and_or_b32 v1, v1, s4, v2
	ds_bpermute_b32 v1, v5, v1
	s_waitcnt lgkmcnt(0)
	v_add_f16_e32 v2, v2, v1
	s_or_b64 exec, exec, s[0:1]
	v_cmp_eq_u32_e32 vcc, 0, v0
	s_and_saveexec_b64 s[0:1], vcc
	s_cbranch_execz .LBB509_11
.LBB509_14:
	s_cmp_lg_u32 s22, 1
	s_cbranch_scc0 .LBB509_16
; %bb.15:
	s_mul_hi_u32 s1, s22, s2
	s_mul_i32 s0, s22, s2
	s_lshl_b64 s[0:1], s[0:1], 1
	s_mov_b32 s7, 0
	s_add_u32 s4, s16, s0
	s_addc_u32 s5, s17, s1
	s_lshl_b64 s[0:1], s[6:7], 1
	s_add_u32 s0, s4, s0
	s_addc_u32 s1, s5, s1
	s_cbranch_execz .LBB509_17
	s_branch .LBB509_18
.LBB509_16:
                                        ; implicit-def: $sgpr0_sgpr1
.LBB509_17:
	s_lshl_b64 s[0:1], s[2:3], 1
	s_add_u32 s0, s18, s0
	s_addc_u32 s1, s19, s1
.LBB509_18:
	v_mov_b32_e32 v0, 0
	s_waitcnt lgkmcnt(0)
	global_store_short v0, v2, s[0:1]
	s_endpgm
	.section	.rodata,"a",@progbits
	.p2align	6, 0x0
	.amdhsa_kernel _ZL18rocblas_dot_kernelIlLb0ELi512ELi8ELb1EDF16_PKDF16_DF16_EviT5_lT_lS2_lS3_liPT6_PT4_
		.amdhsa_group_segment_fixed_size 128
		.amdhsa_private_segment_fixed_size 0
		.amdhsa_kernarg_size 352
		.amdhsa_user_sgpr_count 6
		.amdhsa_user_sgpr_private_segment_buffer 1
		.amdhsa_user_sgpr_dispatch_ptr 0
		.amdhsa_user_sgpr_queue_ptr 0
		.amdhsa_user_sgpr_kernarg_segment_ptr 1
		.amdhsa_user_sgpr_dispatch_id 0
		.amdhsa_user_sgpr_flat_scratch_init 0
		.amdhsa_user_sgpr_kernarg_preload_length 0
		.amdhsa_user_sgpr_kernarg_preload_offset 0
		.amdhsa_user_sgpr_private_segment_size 0
		.amdhsa_uses_dynamic_stack 0
		.amdhsa_system_sgpr_private_segment_wavefront_offset 0
		.amdhsa_system_sgpr_workgroup_id_x 1
		.amdhsa_system_sgpr_workgroup_id_y 0
		.amdhsa_system_sgpr_workgroup_id_z 1
		.amdhsa_system_sgpr_workgroup_info 0
		.amdhsa_system_vgpr_workitem_id 0
		.amdhsa_next_free_vgpr 11
		.amdhsa_next_free_sgpr 30
		.amdhsa_accum_offset 12
		.amdhsa_reserve_vcc 1
		.amdhsa_reserve_flat_scratch 0
		.amdhsa_float_round_mode_32 0
		.amdhsa_float_round_mode_16_64 0
		.amdhsa_float_denorm_mode_32 3
		.amdhsa_float_denorm_mode_16_64 3
		.amdhsa_dx10_clamp 1
		.amdhsa_ieee_mode 1
		.amdhsa_fp16_overflow 0
		.amdhsa_tg_split 0
		.amdhsa_exception_fp_ieee_invalid_op 0
		.amdhsa_exception_fp_denorm_src 0
		.amdhsa_exception_fp_ieee_div_zero 0
		.amdhsa_exception_fp_ieee_overflow 0
		.amdhsa_exception_fp_ieee_underflow 0
		.amdhsa_exception_fp_ieee_inexact 0
		.amdhsa_exception_int_div_zero 0
	.end_amdhsa_kernel
	.section	.text._ZL18rocblas_dot_kernelIlLb0ELi512ELi8ELb1EDF16_PKDF16_DF16_EviT5_lT_lS2_lS3_liPT6_PT4_,"axG",@progbits,_ZL18rocblas_dot_kernelIlLb0ELi512ELi8ELb1EDF16_PKDF16_DF16_EviT5_lT_lS2_lS3_liPT6_PT4_,comdat
.Lfunc_end509:
	.size	_ZL18rocblas_dot_kernelIlLb0ELi512ELi8ELb1EDF16_PKDF16_DF16_EviT5_lT_lS2_lS3_liPT6_PT4_, .Lfunc_end509-_ZL18rocblas_dot_kernelIlLb0ELi512ELi8ELb1EDF16_PKDF16_DF16_EviT5_lT_lS2_lS3_liPT6_PT4_
                                        ; -- End function
	.section	.AMDGPU.csdata,"",@progbits
; Kernel info:
; codeLenInByte = 1156
; NumSgprs: 34
; NumVgprs: 11
; NumAgprs: 0
; TotalNumVgprs: 11
; ScratchSize: 0
; MemoryBound: 0
; FloatMode: 240
; IeeeMode: 1
; LDSByteSize: 128 bytes/workgroup (compile time only)
; SGPRBlocks: 4
; VGPRBlocks: 1
; NumSGPRsForWavesPerEU: 34
; NumVGPRsForWavesPerEU: 11
; AccumOffset: 12
; Occupancy: 8
; WaveLimiterHint : 0
; COMPUTE_PGM_RSRC2:SCRATCH_EN: 0
; COMPUTE_PGM_RSRC2:USER_SGPR: 6
; COMPUTE_PGM_RSRC2:TRAP_HANDLER: 0
; COMPUTE_PGM_RSRC2:TGID_X_EN: 1
; COMPUTE_PGM_RSRC2:TGID_Y_EN: 0
; COMPUTE_PGM_RSRC2:TGID_Z_EN: 1
; COMPUTE_PGM_RSRC2:TIDIG_COMP_CNT: 0
; COMPUTE_PGM_RSRC3_GFX90A:ACCUM_OFFSET: 2
; COMPUTE_PGM_RSRC3_GFX90A:TG_SPLIT: 0
	.section	.text._ZL24rocblas_dot_kernel_magsqIlLb0ELi512ELi8ELb1EDF16_PKDF16_DF16_EviT5_lT_liPT6_PT4_,"axG",@progbits,_ZL24rocblas_dot_kernel_magsqIlLb0ELi512ELi8ELb1EDF16_PKDF16_DF16_EviT5_lT_liPT6_PT4_,comdat
	.globl	_ZL24rocblas_dot_kernel_magsqIlLb0ELi512ELi8ELb1EDF16_PKDF16_DF16_EviT5_lT_liPT6_PT4_ ; -- Begin function _ZL24rocblas_dot_kernel_magsqIlLb0ELi512ELi8ELb1EDF16_PKDF16_DF16_EviT5_lT_liPT6_PT4_
	.p2align	8
	.type	_ZL24rocblas_dot_kernel_magsqIlLb0ELi512ELi8ELb1EDF16_PKDF16_DF16_EviT5_lT_liPT6_PT4_,@function
_ZL24rocblas_dot_kernel_magsqIlLb0ELi512ELi8ELb1EDF16_PKDF16_DF16_EviT5_lT_liPT6_PT4_: ; @_ZL24rocblas_dot_kernel_magsqIlLb0ELi512ELi8ELb1EDF16_PKDF16_DF16_EviT5_lT_liPT6_PT4_
; %bb.0:
	s_mov_b32 s2, s7
	s_load_dword s7, s[4:5], 0x0
	s_load_dwordx4 s[8:11], s[4:5], 0x30
	s_load_dword s16, s[4:5], 0x40
	v_lshl_or_b32 v2, s6, 9, v0
	s_mov_b32 s3, 0
	s_waitcnt lgkmcnt(0)
	v_cmp_gt_i32_e32 vcc, s7, v2
	v_mov_b32_e32 v4, 0
	s_and_saveexec_b64 s[12:13], vcc
	s_cbranch_execz .LBB510_4
; %bb.1:
	s_load_dwordx2 s[0:1], s[4:5], 0x8
	s_load_dwordx4 s[20:23], s[4:5], 0x10
	s_load_dwordx2 s[14:15], s[4:5], 0x20
	s_lshl_b32 s17, s16, 9
	v_ashrrev_i32_e32 v3, 31, v2
	v_add_u32_e32 v1, s17, v2
	s_waitcnt lgkmcnt(0)
	v_mul_lo_u32 v4, s23, v2
	v_mul_lo_u32 v5, s22, v3
	v_mad_u64_u32 v[2:3], s[4:5], s22, v2, 0
	s_mul_i32 s4, s15, s2
	s_mul_hi_u32 s5, s14, s2
	s_add_i32 s5, s5, s4
	s_mul_i32 s4, s14, s2
	s_lshl_b64 s[4:5], s[4:5], 1
	s_lshl_b64 s[14:15], s[20:21], 1
	s_add_u32 s0, s0, s14
	v_add3_u32 v3, v3, v5, v4
	s_addc_u32 s1, s1, s15
	v_lshlrev_b64 v[2:3], 1, v[2:3]
	s_add_u32 s0, s0, s4
	s_addc_u32 s1, s1, s5
	v_add_co_u32_e32 v2, vcc, s0, v2
	s_ashr_i32 s0, s17, 31
	v_mov_b32_e32 v4, s1
	s_mul_i32 s0, s22, s0
	s_mul_hi_u32 s1, s22, s17
	s_add_i32 s0, s1, s0
	s_mul_i32 s1, s23, s17
	s_add_i32 s1, s0, s1
	s_mul_i32 s0, s22, s17
	s_lshl_b64 s[14:15], s[0:1], 1
	v_addc_co_u32_e32 v3, vcc, v4, v3, vcc
	s_mov_b64 s[4:5], 0
	v_mov_b32_e32 v4, 0
	v_mov_b32_e32 v5, s15
	s_mov_b32 s15, s3
.LBB510_2:                              ; =>This Inner Loop Header: Depth=1
	global_load_ushort v6, v[2:3], off
	s_add_i32 s18, s15, 1
	v_add_co_u32_e64 v2, s[0:1], s14, v2
	v_addc_co_u32_e64 v3, s[0:1], v3, v5, s[0:1]
	s_cmp_gt_u32 s15, 6
	v_cmp_le_i32_e32 vcc, s7, v1
	s_cselect_b64 s[0:1], -1, 0
	s_or_b64 s[0:1], s[0:1], vcc
	s_and_b64 s[0:1], exec, s[0:1]
	v_add_u32_e32 v1, s17, v1
	s_mov_b32 s15, s18
	s_or_b64 s[4:5], s[0:1], s[4:5]
	s_waitcnt vmcnt(0)
	v_fma_f16 v4, v6, v6, v4
	s_andn2_b64 exec, exec, s[4:5]
	s_cbranch_execnz .LBB510_2
; %bb.3:
	s_or_b64 exec, exec, s[4:5]
.LBB510_4:
	s_or_b64 exec, exec, s[12:13]
	v_and_b32_e32 v2, 63, v0
	v_cmp_gt_u32_e32 vcc, 64, v0
	v_lshlrev_b32_e32 v1, 1, v2
	s_and_saveexec_b64 s[0:1], vcc
	s_cbranch_execz .LBB510_6
; %bb.5:
	v_mov_b32_e32 v3, 0
	ds_write_b16 v1, v3
.LBB510_6:
	s_or_b64 exec, exec, s[0:1]
	v_mbcnt_lo_u32_b32 v3, -1, 0
	v_mbcnt_hi_u32_b32 v5, -1, v3
	v_and_b32_e32 v7, 63, v5
	v_cmp_gt_u32_e64 s[0:1], 32, v7
	v_cndmask_b32_e64 v6, 0, 1, s[0:1]
	v_lshlrev_b32_e32 v6, 5, v6
	v_and_b32_e32 v3, 0xffff, v4
	v_add_lshl_u32 v6, v6, v5, 2
	ds_bpermute_b32 v3, v6, v3
	v_cmp_gt_u32_e64 s[0:1], 48, v7
	v_cndmask_b32_e64 v6, 0, 1, s[0:1]
	s_mov_b32 s4, 0xffff0000
	v_lshlrev_b32_e32 v6, 4, v6
	s_waitcnt lgkmcnt(0)
	v_add_f16_e32 v4, v4, v3
	v_and_or_b32 v3, v3, s4, v4
	v_add_lshl_u32 v6, v6, v5, 2
	ds_bpermute_b32 v3, v6, v3
	v_cmp_gt_u32_e64 s[0:1], 56, v7
	v_cndmask_b32_e64 v6, 0, 1, s[0:1]
	v_lshlrev_b32_e32 v6, 3, v6
	v_add_lshl_u32 v6, v6, v5, 2
	s_waitcnt lgkmcnt(0)
	v_add_f16_e32 v4, v4, v3
	v_and_or_b32 v3, v3, s4, v4
	ds_bpermute_b32 v3, v6, v3
	v_cmp_gt_u32_e64 s[0:1], 60, v7
	s_waitcnt lgkmcnt(0)
	s_barrier
	v_add_f16_e32 v4, v4, v3
	v_and_or_b32 v6, v3, s4, v4
	v_cndmask_b32_e64 v3, 0, 1, s[0:1]
	v_lshlrev_b32_e32 v3, 2, v3
	v_add_lshl_u32 v3, v3, v5, 2
	ds_bpermute_b32 v6, v3, v6
	v_cmp_gt_u32_e64 s[0:1], 62, v7
	s_waitcnt lgkmcnt(0)
	v_add_f16_e32 v8, v4, v6
	v_cndmask_b32_e64 v4, 0, 1, s[0:1]
	v_lshlrev_b32_e32 v4, 1, v4
	v_and_or_b32 v6, v6, s4, v8
	v_add_lshl_u32 v4, v4, v5, 2
	ds_bpermute_b32 v9, v4, v6
	v_cmp_ne_u32_e64 s[0:1], 63, v7
	v_addc_co_u32_e64 v5, s[0:1], 0, v5, s[0:1]
	v_lshlrev_b32_e32 v5, 2, v5
	s_waitcnt lgkmcnt(0)
	v_add_f16_e32 v6, v8, v9
	v_and_or_b32 v8, v9, s4, v6
	ds_bpermute_b32 v7, v5, v8
	v_cmp_eq_u32_e64 s[0:1], 0, v2
	s_and_saveexec_b64 s[4:5], s[0:1]
	s_cbranch_execz .LBB510_8
; %bb.7:
	s_waitcnt lgkmcnt(0)
	v_add_f16_e32 v2, v6, v7
	v_lshrrev_b32_e32 v6, 5, v0
	v_and_b32_e32 v6, 14, v6
	ds_write_b16 v6, v2
.LBB510_8:
	s_or_b64 exec, exec, s[4:5]
	v_cmp_gt_u32_e64 s[0:1], 8, v0
	v_mov_b32_e32 v2, 0
	s_waitcnt lgkmcnt(0)
	s_barrier
	s_and_saveexec_b64 s[4:5], s[0:1]
	s_cbranch_execnz .LBB510_12
; %bb.9:
	s_or_b64 exec, exec, s[4:5]
	s_and_saveexec_b64 s[0:1], vcc
	s_cbranch_execnz .LBB510_13
.LBB510_10:
	s_or_b64 exec, exec, s[0:1]
	v_cmp_eq_u32_e32 vcc, 0, v0
	s_and_saveexec_b64 s[0:1], vcc
	s_cbranch_execnz .LBB510_14
.LBB510_11:
	s_endpgm
.LBB510_12:
	ds_read_u16 v2, v1
	s_or_b64 exec, exec, s[4:5]
	s_and_saveexec_b64 s[0:1], vcc
	s_cbranch_execz .LBB510_10
.LBB510_13:
	s_waitcnt lgkmcnt(0)
	v_and_b32_e32 v1, 0xffff, v2
	ds_bpermute_b32 v1, v3, v1
	s_mov_b32 s4, 0xffff0000
	s_waitcnt lgkmcnt(0)
	v_add_f16_e32 v2, v2, v1
	v_and_or_b32 v1, v1, s4, v2
	ds_bpermute_b32 v1, v4, v1
	s_waitcnt lgkmcnt(0)
	v_add_f16_e32 v2, v2, v1
	v_and_or_b32 v1, v1, s4, v2
	ds_bpermute_b32 v1, v5, v1
	s_waitcnt lgkmcnt(0)
	v_add_f16_e32 v2, v2, v1
	s_or_b64 exec, exec, s[0:1]
	v_cmp_eq_u32_e32 vcc, 0, v0
	s_and_saveexec_b64 s[0:1], vcc
	s_cbranch_execz .LBB510_11
.LBB510_14:
	s_cmp_lg_u32 s16, 1
	s_cbranch_scc0 .LBB510_16
; %bb.15:
	s_mul_hi_u32 s1, s16, s2
	s_mul_i32 s0, s16, s2
	s_lshl_b64 s[0:1], s[0:1], 1
	s_mov_b32 s7, 0
	s_add_u32 s4, s8, s0
	s_addc_u32 s5, s9, s1
	s_lshl_b64 s[0:1], s[6:7], 1
	s_add_u32 s0, s4, s0
	s_addc_u32 s1, s5, s1
	s_cbranch_execz .LBB510_17
	s_branch .LBB510_18
.LBB510_16:
                                        ; implicit-def: $sgpr0_sgpr1
.LBB510_17:
	s_lshl_b64 s[0:1], s[2:3], 1
	s_add_u32 s0, s10, s0
	s_addc_u32 s1, s11, s1
.LBB510_18:
	v_mov_b32_e32 v0, 0
	s_waitcnt lgkmcnt(0)
	global_store_short v0, v2, s[0:1]
	s_endpgm
	.section	.rodata,"a",@progbits
	.p2align	6, 0x0
	.amdhsa_kernel _ZL24rocblas_dot_kernel_magsqIlLb0ELi512ELi8ELb1EDF16_PKDF16_DF16_EviT5_lT_liPT6_PT4_
		.amdhsa_group_segment_fixed_size 128
		.amdhsa_private_segment_fixed_size 0
		.amdhsa_kernarg_size 320
		.amdhsa_user_sgpr_count 6
		.amdhsa_user_sgpr_private_segment_buffer 1
		.amdhsa_user_sgpr_dispatch_ptr 0
		.amdhsa_user_sgpr_queue_ptr 0
		.amdhsa_user_sgpr_kernarg_segment_ptr 1
		.amdhsa_user_sgpr_dispatch_id 0
		.amdhsa_user_sgpr_flat_scratch_init 0
		.amdhsa_user_sgpr_kernarg_preload_length 0
		.amdhsa_user_sgpr_kernarg_preload_offset 0
		.amdhsa_user_sgpr_private_segment_size 0
		.amdhsa_uses_dynamic_stack 0
		.amdhsa_system_sgpr_private_segment_wavefront_offset 0
		.amdhsa_system_sgpr_workgroup_id_x 1
		.amdhsa_system_sgpr_workgroup_id_y 0
		.amdhsa_system_sgpr_workgroup_id_z 1
		.amdhsa_system_sgpr_workgroup_info 0
		.amdhsa_system_vgpr_workitem_id 0
		.amdhsa_next_free_vgpr 10
		.amdhsa_next_free_sgpr 24
		.amdhsa_accum_offset 12
		.amdhsa_reserve_vcc 1
		.amdhsa_reserve_flat_scratch 0
		.amdhsa_float_round_mode_32 0
		.amdhsa_float_round_mode_16_64 0
		.amdhsa_float_denorm_mode_32 3
		.amdhsa_float_denorm_mode_16_64 3
		.amdhsa_dx10_clamp 1
		.amdhsa_ieee_mode 1
		.amdhsa_fp16_overflow 0
		.amdhsa_tg_split 0
		.amdhsa_exception_fp_ieee_invalid_op 0
		.amdhsa_exception_fp_denorm_src 0
		.amdhsa_exception_fp_ieee_div_zero 0
		.amdhsa_exception_fp_ieee_overflow 0
		.amdhsa_exception_fp_ieee_underflow 0
		.amdhsa_exception_fp_ieee_inexact 0
		.amdhsa_exception_int_div_zero 0
	.end_amdhsa_kernel
	.section	.text._ZL24rocblas_dot_kernel_magsqIlLb0ELi512ELi8ELb1EDF16_PKDF16_DF16_EviT5_lT_liPT6_PT4_,"axG",@progbits,_ZL24rocblas_dot_kernel_magsqIlLb0ELi512ELi8ELb1EDF16_PKDF16_DF16_EviT5_lT_liPT6_PT4_,comdat
.Lfunc_end510:
	.size	_ZL24rocblas_dot_kernel_magsqIlLb0ELi512ELi8ELb1EDF16_PKDF16_DF16_EviT5_lT_liPT6_PT4_, .Lfunc_end510-_ZL24rocblas_dot_kernel_magsqIlLb0ELi512ELi8ELb1EDF16_PKDF16_DF16_EviT5_lT_liPT6_PT4_
                                        ; -- End function
	.section	.AMDGPU.csdata,"",@progbits
; Kernel info:
; codeLenInByte = 1000
; NumSgprs: 28
; NumVgprs: 10
; NumAgprs: 0
; TotalNumVgprs: 10
; ScratchSize: 0
; MemoryBound: 0
; FloatMode: 240
; IeeeMode: 1
; LDSByteSize: 128 bytes/workgroup (compile time only)
; SGPRBlocks: 3
; VGPRBlocks: 1
; NumSGPRsForWavesPerEU: 28
; NumVGPRsForWavesPerEU: 10
; AccumOffset: 12
; Occupancy: 8
; WaveLimiterHint : 0
; COMPUTE_PGM_RSRC2:SCRATCH_EN: 0
; COMPUTE_PGM_RSRC2:USER_SGPR: 6
; COMPUTE_PGM_RSRC2:TRAP_HANDLER: 0
; COMPUTE_PGM_RSRC2:TGID_X_EN: 1
; COMPUTE_PGM_RSRC2:TGID_Y_EN: 0
; COMPUTE_PGM_RSRC2:TGID_Z_EN: 1
; COMPUTE_PGM_RSRC2:TIDIG_COMP_CNT: 0
; COMPUTE_PGM_RSRC3_GFX90A:ACCUM_OFFSET: 2
; COMPUTE_PGM_RSRC3_GFX90A:TG_SPLIT: 0
	.section	.text._ZL28rocblas_dot_batched_4_kernelIiLi32ELi4ELb1EDF16_DF16_PKPKDF16_EviT5_lT_lS4_lS5_liPT4_,"axG",@progbits,_ZL28rocblas_dot_batched_4_kernelIiLi32ELi4ELb1EDF16_DF16_PKPKDF16_EviT5_lT_lS4_lS5_liPT4_,comdat
	.globl	_ZL28rocblas_dot_batched_4_kernelIiLi32ELi4ELb1EDF16_DF16_PKPKDF16_EviT5_lT_lS4_lS5_liPT4_ ; -- Begin function _ZL28rocblas_dot_batched_4_kernelIiLi32ELi4ELb1EDF16_DF16_PKPKDF16_EviT5_lT_lS4_lS5_liPT4_
	.p2align	8
	.type	_ZL28rocblas_dot_batched_4_kernelIiLi32ELi4ELb1EDF16_DF16_PKPKDF16_EviT5_lT_lS4_lS5_liPT4_,@function
_ZL28rocblas_dot_batched_4_kernelIiLi32ELi4ELb1EDF16_DF16_PKPKDF16_EviT5_lT_lS4_lS5_liPT4_: ; @_ZL28rocblas_dot_batched_4_kernelIiLi32ELi4ELb1EDF16_DF16_PKPKDF16_EviT5_lT_lS4_lS5_liPT4_
; %bb.0:
	s_load_dword s0, s[4:5], 0x48
	v_bfe_u32 v1, v0, 10, 10
	v_lshl_add_u32 v2, s6, 2, v1
	s_waitcnt lgkmcnt(0)
	v_cmp_gt_u32_e32 vcc, s0, v2
	s_and_saveexec_b64 s[0:1], vcc
	s_cbranch_execz .LBB511_7
; %bb.1:
	s_load_dword s14, s[4:5], 0x0
	s_load_dwordx2 s[6:7], s[4:5], 0x50
	v_mov_b32_e32 v3, 0
	v_and_b32_e32 v6, 0x3ff, v0
	v_mov_b32_e32 v7, v3
	s_waitcnt lgkmcnt(0)
	v_cmp_gt_i32_e32 vcc, s14, v6
	s_and_saveexec_b64 s[12:13], vcc
	s_cbranch_execz .LBB511_5
; %bb.2:
	s_load_dwordx4 s[0:3], s[4:5], 0x8
	s_load_dwordx4 s[8:11], s[4:5], 0x28
	v_lshlrev_b64 v[0:1], 3, v[2:3]
	s_load_dword s16, s[4:5], 0x18
	s_waitcnt lgkmcnt(0)
	v_mov_b32_e32 v5, s1
	v_add_co_u32_e32 v4, vcc, s0, v0
	v_addc_co_u32_e32 v5, vcc, v5, v1, vcc
	global_load_dwordx2 v[4:5], v[4:5], off
	v_mov_b32_e32 v7, s9
	v_add_co_u32_e32 v0, vcc, s8, v0
	v_addc_co_u32_e32 v1, vcc, v7, v1, vcc
	global_load_dwordx2 v[10:11], v[0:1], off
	s_load_dword s4, s[4:5], 0x38
	v_mad_i64_i32 v[0:1], s[8:9], s16, v6, 0
	s_lshl_b64 s[8:9], s[2:3], 1
	v_lshlrev_b64 v[0:1], 1, v[0:1]
	s_waitcnt lgkmcnt(0)
	v_mad_i64_i32 v[8:9], s[2:3], s4, v6, 0
	v_mov_b32_e32 v12, s9
	v_add_co_u32_e32 v0, vcc, s8, v0
	s_lshl_b64 s[10:11], s[10:11], 1
	v_lshlrev_b64 v[8:9], 1, v[8:9]
	v_addc_co_u32_e32 v1, vcc, v1, v12, vcc
	v_mov_b32_e32 v13, s11
	v_add_co_u32_e32 v12, vcc, s10, v8
	v_addc_co_u32_e32 v13, vcc, v9, v13, vcc
	s_ashr_i32 s17, s16, 31
	s_ashr_i32 s5, s4, 31
	s_lshl_b64 s[2:3], s[16:17], 6
	s_lshl_b64 s[4:5], s[4:5], 6
	s_mov_b64 s[0:1], 0
	v_mov_b32_e32 v7, 0
	v_mov_b32_e32 v8, s3
	;; [unrolled: 1-line block ×3, first 2 shown]
	s_waitcnt vmcnt(1)
	v_add_co_u32_e32 v0, vcc, v4, v0
	v_addc_co_u32_e32 v1, vcc, v5, v1, vcc
	s_waitcnt vmcnt(0)
	v_add_co_u32_e32 v4, vcc, v10, v12
	v_addc_co_u32_e32 v5, vcc, v11, v13, vcc
	v_mov_b32_e32 v10, v6
.LBB511_3:                              ; =>This Inner Loop Header: Depth=1
	global_load_ushort v11, v[0:1], off
	global_load_ushort v12, v[4:5], off
	v_add_co_u32_e32 v0, vcc, s2, v0
	v_addc_co_u32_e32 v1, vcc, v1, v8, vcc
	v_add_co_u32_e32 v4, vcc, s4, v4
	v_add_u32_e32 v10, 32, v10
	v_addc_co_u32_e32 v5, vcc, v5, v9, vcc
	v_cmp_le_i32_e32 vcc, s14, v10
	s_or_b64 s[0:1], vcc, s[0:1]
	s_waitcnt vmcnt(0)
	v_fma_f16 v7, v11, v12, v7
	s_andn2_b64 exec, exec, s[0:1]
	s_cbranch_execnz .LBB511_3
; %bb.4:
	s_or_b64 exec, exec, s[0:1]
.LBB511_5:
	s_or_b64 exec, exec, s[12:13]
	v_mbcnt_lo_u32_b32 v0, -1, 0
	v_mbcnt_hi_u32_b32 v1, -1, v0
	v_and_b32_e32 v4, 63, v1
	v_cmp_gt_u32_e32 vcc, 48, v4
	v_cndmask_b32_e64 v5, 0, 1, vcc
	v_lshlrev_b32_e32 v5, 4, v5
	v_and_b32_e32 v0, 0xffff, v7
	v_add_lshl_u32 v5, v5, v1, 2
	ds_bpermute_b32 v0, v5, v0
	v_cmp_gt_u32_e32 vcc, 56, v4
	s_mov_b32 s0, 0xffff0000
	s_waitcnt lgkmcnt(0)
	s_barrier
	v_add_f16_e32 v5, v7, v0
	v_cndmask_b32_e64 v7, 0, 1, vcc
	v_lshlrev_b32_e32 v7, 3, v7
	v_and_or_b32 v0, v0, s0, v5
	v_add_lshl_u32 v7, v7, v1, 2
	ds_bpermute_b32 v0, v7, v0
	v_cmp_gt_u32_e32 vcc, 60, v4
	v_cndmask_b32_e64 v7, 0, 1, vcc
	v_lshlrev_b32_e32 v7, 2, v7
	v_add_lshl_u32 v7, v7, v1, 2
	s_waitcnt lgkmcnt(0)
	v_add_f16_e32 v5, v5, v0
	v_and_or_b32 v0, v0, s0, v5
	ds_bpermute_b32 v0, v7, v0
	v_cmp_gt_u32_e32 vcc, 62, v4
	v_cndmask_b32_e64 v7, 0, 1, vcc
	v_lshlrev_b32_e32 v7, 1, v7
	v_add_lshl_u32 v7, v7, v1, 2
	s_waitcnt lgkmcnt(0)
	v_add_f16_e32 v5, v5, v0
	v_and_or_b32 v0, v0, s0, v5
	ds_bpermute_b32 v7, v7, v0
	v_cmp_ne_u32_e32 vcc, 63, v4
	v_addc_co_u32_e32 v1, vcc, 0, v1, vcc
	v_lshlrev_b32_e32 v1, 2, v1
	s_waitcnt lgkmcnt(0)
	v_add_f16_e32 v0, v5, v7
	v_and_or_b32 v5, v7, s0, v0
	ds_bpermute_b32 v1, v1, v5
	v_cmp_eq_u32_e32 vcc, 0, v6
	s_waitcnt lgkmcnt(0)
	s_and_b64 exec, exec, vcc
	s_cbranch_execz .LBB511_7
; %bb.6:
	v_lshlrev_b64 v[2:3], 1, v[2:3]
	v_mov_b32_e32 v4, s7
	v_add_co_u32_e32 v2, vcc, s6, v2
	v_addc_co_u32_e32 v3, vcc, v4, v3, vcc
	v_add_f16_e32 v0, v0, v1
	global_store_short v[2:3], v0, off
.LBB511_7:
	s_endpgm
	.section	.rodata,"a",@progbits
	.p2align	6, 0x0
	.amdhsa_kernel _ZL28rocblas_dot_batched_4_kernelIiLi32ELi4ELb1EDF16_DF16_PKPKDF16_EviT5_lT_lS4_lS5_liPT4_
		.amdhsa_group_segment_fixed_size 0
		.amdhsa_private_segment_fixed_size 0
		.amdhsa_kernarg_size 88
		.amdhsa_user_sgpr_count 6
		.amdhsa_user_sgpr_private_segment_buffer 1
		.amdhsa_user_sgpr_dispatch_ptr 0
		.amdhsa_user_sgpr_queue_ptr 0
		.amdhsa_user_sgpr_kernarg_segment_ptr 1
		.amdhsa_user_sgpr_dispatch_id 0
		.amdhsa_user_sgpr_flat_scratch_init 0
		.amdhsa_user_sgpr_kernarg_preload_length 0
		.amdhsa_user_sgpr_kernarg_preload_offset 0
		.amdhsa_user_sgpr_private_segment_size 0
		.amdhsa_uses_dynamic_stack 0
		.amdhsa_system_sgpr_private_segment_wavefront_offset 0
		.amdhsa_system_sgpr_workgroup_id_x 1
		.amdhsa_system_sgpr_workgroup_id_y 0
		.amdhsa_system_sgpr_workgroup_id_z 0
		.amdhsa_system_sgpr_workgroup_info 0
		.amdhsa_system_vgpr_workitem_id 1
		.amdhsa_next_free_vgpr 14
		.amdhsa_next_free_sgpr 18
		.amdhsa_accum_offset 16
		.amdhsa_reserve_vcc 1
		.amdhsa_reserve_flat_scratch 0
		.amdhsa_float_round_mode_32 0
		.amdhsa_float_round_mode_16_64 0
		.amdhsa_float_denorm_mode_32 3
		.amdhsa_float_denorm_mode_16_64 3
		.amdhsa_dx10_clamp 1
		.amdhsa_ieee_mode 1
		.amdhsa_fp16_overflow 0
		.amdhsa_tg_split 0
		.amdhsa_exception_fp_ieee_invalid_op 0
		.amdhsa_exception_fp_denorm_src 0
		.amdhsa_exception_fp_ieee_div_zero 0
		.amdhsa_exception_fp_ieee_overflow 0
		.amdhsa_exception_fp_ieee_underflow 0
		.amdhsa_exception_fp_ieee_inexact 0
		.amdhsa_exception_int_div_zero 0
	.end_amdhsa_kernel
	.section	.text._ZL28rocblas_dot_batched_4_kernelIiLi32ELi4ELb1EDF16_DF16_PKPKDF16_EviT5_lT_lS4_lS5_liPT4_,"axG",@progbits,_ZL28rocblas_dot_batched_4_kernelIiLi32ELi4ELb1EDF16_DF16_PKPKDF16_EviT5_lT_lS4_lS5_liPT4_,comdat
.Lfunc_end511:
	.size	_ZL28rocblas_dot_batched_4_kernelIiLi32ELi4ELb1EDF16_DF16_PKPKDF16_EviT5_lT_lS4_lS5_liPT4_, .Lfunc_end511-_ZL28rocblas_dot_batched_4_kernelIiLi32ELi4ELb1EDF16_DF16_PKPKDF16_EviT5_lT_lS4_lS5_liPT4_
                                        ; -- End function
	.section	.AMDGPU.csdata,"",@progbits
; Kernel info:
; codeLenInByte = 676
; NumSgprs: 22
; NumVgprs: 14
; NumAgprs: 0
; TotalNumVgprs: 14
; ScratchSize: 0
; MemoryBound: 0
; FloatMode: 240
; IeeeMode: 1
; LDSByteSize: 0 bytes/workgroup (compile time only)
; SGPRBlocks: 2
; VGPRBlocks: 1
; NumSGPRsForWavesPerEU: 22
; NumVGPRsForWavesPerEU: 14
; AccumOffset: 16
; Occupancy: 8
; WaveLimiterHint : 0
; COMPUTE_PGM_RSRC2:SCRATCH_EN: 0
; COMPUTE_PGM_RSRC2:USER_SGPR: 6
; COMPUTE_PGM_RSRC2:TRAP_HANDLER: 0
; COMPUTE_PGM_RSRC2:TGID_X_EN: 1
; COMPUTE_PGM_RSRC2:TGID_Y_EN: 0
; COMPUTE_PGM_RSRC2:TGID_Z_EN: 0
; COMPUTE_PGM_RSRC2:TIDIG_COMP_CNT: 1
; COMPUTE_PGM_RSRC3_GFX90A:ACCUM_OFFSET: 3
; COMPUTE_PGM_RSRC3_GFX90A:TG_SPLIT: 0
	.section	.text._ZL28rocblas_dot_batched_4_kernelIiLi64ELi4ELb1EDF16_DF16_PKPKDF16_EviT5_lT_lS4_lS5_liPT4_,"axG",@progbits,_ZL28rocblas_dot_batched_4_kernelIiLi64ELi4ELb1EDF16_DF16_PKPKDF16_EviT5_lT_lS4_lS5_liPT4_,comdat
	.globl	_ZL28rocblas_dot_batched_4_kernelIiLi64ELi4ELb1EDF16_DF16_PKPKDF16_EviT5_lT_lS4_lS5_liPT4_ ; -- Begin function _ZL28rocblas_dot_batched_4_kernelIiLi64ELi4ELb1EDF16_DF16_PKPKDF16_EviT5_lT_lS4_lS5_liPT4_
	.p2align	8
	.type	_ZL28rocblas_dot_batched_4_kernelIiLi64ELi4ELb1EDF16_DF16_PKPKDF16_EviT5_lT_lS4_lS5_liPT4_,@function
_ZL28rocblas_dot_batched_4_kernelIiLi64ELi4ELb1EDF16_DF16_PKPKDF16_EviT5_lT_lS4_lS5_liPT4_: ; @_ZL28rocblas_dot_batched_4_kernelIiLi64ELi4ELb1EDF16_DF16_PKPKDF16_EviT5_lT_lS4_lS5_liPT4_
; %bb.0:
	s_load_dword s0, s[4:5], 0x48
	v_bfe_u32 v1, v0, 10, 10
	v_lshl_add_u32 v2, s6, 2, v1
	s_waitcnt lgkmcnt(0)
	v_cmp_gt_u32_e32 vcc, s0, v2
	s_and_saveexec_b64 s[0:1], vcc
	s_cbranch_execz .LBB512_7
; %bb.1:
	s_load_dword s14, s[4:5], 0x0
	s_load_dwordx2 s[6:7], s[4:5], 0x50
	v_mov_b32_e32 v3, 0
	v_and_b32_e32 v6, 0x3ff, v0
	v_mov_b32_e32 v7, v3
	s_waitcnt lgkmcnt(0)
	v_cmp_gt_i32_e32 vcc, s14, v6
	s_and_saveexec_b64 s[12:13], vcc
	s_cbranch_execz .LBB512_5
; %bb.2:
	s_load_dwordx4 s[0:3], s[4:5], 0x8
	s_load_dwordx4 s[8:11], s[4:5], 0x28
	v_lshlrev_b64 v[0:1], 3, v[2:3]
	s_load_dword s16, s[4:5], 0x18
	s_waitcnt lgkmcnt(0)
	v_mov_b32_e32 v5, s1
	v_add_co_u32_e32 v4, vcc, s0, v0
	v_addc_co_u32_e32 v5, vcc, v5, v1, vcc
	global_load_dwordx2 v[4:5], v[4:5], off
	v_mov_b32_e32 v7, s9
	v_add_co_u32_e32 v0, vcc, s8, v0
	v_addc_co_u32_e32 v1, vcc, v7, v1, vcc
	global_load_dwordx2 v[10:11], v[0:1], off
	s_load_dword s4, s[4:5], 0x38
	v_mad_i64_i32 v[0:1], s[8:9], s16, v6, 0
	s_lshl_b64 s[8:9], s[2:3], 1
	v_lshlrev_b64 v[0:1], 1, v[0:1]
	s_waitcnt lgkmcnt(0)
	v_mad_i64_i32 v[8:9], s[2:3], s4, v6, 0
	v_mov_b32_e32 v12, s9
	v_add_co_u32_e32 v0, vcc, s8, v0
	s_lshl_b64 s[10:11], s[10:11], 1
	v_lshlrev_b64 v[8:9], 1, v[8:9]
	v_addc_co_u32_e32 v1, vcc, v1, v12, vcc
	v_mov_b32_e32 v13, s11
	v_add_co_u32_e32 v12, vcc, s10, v8
	v_addc_co_u32_e32 v13, vcc, v9, v13, vcc
	s_ashr_i32 s17, s16, 31
	s_ashr_i32 s5, s4, 31
	s_lshl_b64 s[2:3], s[16:17], 7
	s_lshl_b64 s[4:5], s[4:5], 7
	s_mov_b64 s[0:1], 0
	v_mov_b32_e32 v7, 0
	v_mov_b32_e32 v8, s3
	;; [unrolled: 1-line block ×3, first 2 shown]
	s_waitcnt vmcnt(1)
	v_add_co_u32_e32 v0, vcc, v4, v0
	v_addc_co_u32_e32 v1, vcc, v5, v1, vcc
	s_waitcnt vmcnt(0)
	v_add_co_u32_e32 v4, vcc, v10, v12
	v_addc_co_u32_e32 v5, vcc, v11, v13, vcc
	v_mov_b32_e32 v10, v6
.LBB512_3:                              ; =>This Inner Loop Header: Depth=1
	global_load_ushort v11, v[0:1], off
	global_load_ushort v12, v[4:5], off
	v_add_co_u32_e32 v0, vcc, s2, v0
	v_addc_co_u32_e32 v1, vcc, v1, v8, vcc
	v_add_co_u32_e32 v4, vcc, s4, v4
	v_add_u32_e32 v10, 64, v10
	v_addc_co_u32_e32 v5, vcc, v5, v9, vcc
	v_cmp_le_i32_e32 vcc, s14, v10
	s_or_b64 s[0:1], vcc, s[0:1]
	s_waitcnt vmcnt(0)
	v_fma_f16 v7, v11, v12, v7
	s_andn2_b64 exec, exec, s[0:1]
	s_cbranch_execnz .LBB512_3
; %bb.4:
	s_or_b64 exec, exec, s[0:1]
.LBB512_5:
	s_or_b64 exec, exec, s[12:13]
	v_mbcnt_lo_u32_b32 v0, -1, 0
	v_mbcnt_hi_u32_b32 v1, -1, v0
	v_and_b32_e32 v4, 63, v1
	v_cmp_gt_u32_e32 vcc, 32, v4
	v_cndmask_b32_e64 v5, 0, 1, vcc
	v_lshlrev_b32_e32 v5, 5, v5
	v_and_b32_e32 v0, 0xffff, v7
	v_add_lshl_u32 v5, v5, v1, 2
	ds_bpermute_b32 v0, v5, v0
	v_cmp_gt_u32_e32 vcc, 48, v4
	s_mov_b32 s0, 0xffff0000
	s_waitcnt lgkmcnt(0)
	s_barrier
	v_add_f16_e32 v5, v7, v0
	v_cndmask_b32_e64 v7, 0, 1, vcc
	v_lshlrev_b32_e32 v7, 4, v7
	v_and_or_b32 v0, v0, s0, v5
	v_add_lshl_u32 v7, v7, v1, 2
	ds_bpermute_b32 v0, v7, v0
	v_cmp_gt_u32_e32 vcc, 56, v4
	v_cndmask_b32_e64 v7, 0, 1, vcc
	v_lshlrev_b32_e32 v7, 3, v7
	v_add_lshl_u32 v7, v7, v1, 2
	s_waitcnt lgkmcnt(0)
	v_add_f16_e32 v5, v5, v0
	v_and_or_b32 v0, v0, s0, v5
	ds_bpermute_b32 v0, v7, v0
	v_cmp_gt_u32_e32 vcc, 60, v4
	v_cndmask_b32_e64 v7, 0, 1, vcc
	v_lshlrev_b32_e32 v7, 2, v7
	v_add_lshl_u32 v7, v7, v1, 2
	s_waitcnt lgkmcnt(0)
	v_add_f16_e32 v5, v5, v0
	v_and_or_b32 v0, v0, s0, v5
	;; [unrolled: 8-line block ×3, first 2 shown]
	ds_bpermute_b32 v7, v7, v0
	v_cmp_ne_u32_e32 vcc, 63, v4
	v_addc_co_u32_e32 v1, vcc, 0, v1, vcc
	v_lshlrev_b32_e32 v1, 2, v1
	s_waitcnt lgkmcnt(0)
	v_add_f16_e32 v0, v5, v7
	v_and_or_b32 v5, v7, s0, v0
	ds_bpermute_b32 v1, v1, v5
	v_cmp_eq_u32_e32 vcc, 0, v6
	s_waitcnt lgkmcnt(0)
	s_and_b64 exec, exec, vcc
	s_cbranch_execz .LBB512_7
; %bb.6:
	v_lshlrev_b64 v[2:3], 1, v[2:3]
	v_mov_b32_e32 v4, s7
	v_add_co_u32_e32 v2, vcc, s6, v2
	v_addc_co_u32_e32 v3, vcc, v4, v3, vcc
	v_add_f16_e32 v0, v0, v1
	global_store_short v[2:3], v0, off
.LBB512_7:
	s_endpgm
	.section	.rodata,"a",@progbits
	.p2align	6, 0x0
	.amdhsa_kernel _ZL28rocblas_dot_batched_4_kernelIiLi64ELi4ELb1EDF16_DF16_PKPKDF16_EviT5_lT_lS4_lS5_liPT4_
		.amdhsa_group_segment_fixed_size 0
		.amdhsa_private_segment_fixed_size 0
		.amdhsa_kernarg_size 88
		.amdhsa_user_sgpr_count 6
		.amdhsa_user_sgpr_private_segment_buffer 1
		.amdhsa_user_sgpr_dispatch_ptr 0
		.amdhsa_user_sgpr_queue_ptr 0
		.amdhsa_user_sgpr_kernarg_segment_ptr 1
		.amdhsa_user_sgpr_dispatch_id 0
		.amdhsa_user_sgpr_flat_scratch_init 0
		.amdhsa_user_sgpr_kernarg_preload_length 0
		.amdhsa_user_sgpr_kernarg_preload_offset 0
		.amdhsa_user_sgpr_private_segment_size 0
		.amdhsa_uses_dynamic_stack 0
		.amdhsa_system_sgpr_private_segment_wavefront_offset 0
		.amdhsa_system_sgpr_workgroup_id_x 1
		.amdhsa_system_sgpr_workgroup_id_y 0
		.amdhsa_system_sgpr_workgroup_id_z 0
		.amdhsa_system_sgpr_workgroup_info 0
		.amdhsa_system_vgpr_workitem_id 1
		.amdhsa_next_free_vgpr 14
		.amdhsa_next_free_sgpr 18
		.amdhsa_accum_offset 16
		.amdhsa_reserve_vcc 1
		.amdhsa_reserve_flat_scratch 0
		.amdhsa_float_round_mode_32 0
		.amdhsa_float_round_mode_16_64 0
		.amdhsa_float_denorm_mode_32 3
		.amdhsa_float_denorm_mode_16_64 3
		.amdhsa_dx10_clamp 1
		.amdhsa_ieee_mode 1
		.amdhsa_fp16_overflow 0
		.amdhsa_tg_split 0
		.amdhsa_exception_fp_ieee_invalid_op 0
		.amdhsa_exception_fp_denorm_src 0
		.amdhsa_exception_fp_ieee_div_zero 0
		.amdhsa_exception_fp_ieee_overflow 0
		.amdhsa_exception_fp_ieee_underflow 0
		.amdhsa_exception_fp_ieee_inexact 0
		.amdhsa_exception_int_div_zero 0
	.end_amdhsa_kernel
	.section	.text._ZL28rocblas_dot_batched_4_kernelIiLi64ELi4ELb1EDF16_DF16_PKPKDF16_EviT5_lT_lS4_lS5_liPT4_,"axG",@progbits,_ZL28rocblas_dot_batched_4_kernelIiLi64ELi4ELb1EDF16_DF16_PKPKDF16_EviT5_lT_lS4_lS5_liPT4_,comdat
.Lfunc_end512:
	.size	_ZL28rocblas_dot_batched_4_kernelIiLi64ELi4ELb1EDF16_DF16_PKPKDF16_EviT5_lT_lS4_lS5_liPT4_, .Lfunc_end512-_ZL28rocblas_dot_batched_4_kernelIiLi64ELi4ELb1EDF16_DF16_PKPKDF16_EviT5_lT_lS4_lS5_liPT4_
                                        ; -- End function
	.section	.AMDGPU.csdata,"",@progbits
; Kernel info:
; codeLenInByte = 724
; NumSgprs: 22
; NumVgprs: 14
; NumAgprs: 0
; TotalNumVgprs: 14
; ScratchSize: 0
; MemoryBound: 0
; FloatMode: 240
; IeeeMode: 1
; LDSByteSize: 0 bytes/workgroup (compile time only)
; SGPRBlocks: 2
; VGPRBlocks: 1
; NumSGPRsForWavesPerEU: 22
; NumVGPRsForWavesPerEU: 14
; AccumOffset: 16
; Occupancy: 8
; WaveLimiterHint : 0
; COMPUTE_PGM_RSRC2:SCRATCH_EN: 0
; COMPUTE_PGM_RSRC2:USER_SGPR: 6
; COMPUTE_PGM_RSRC2:TRAP_HANDLER: 0
; COMPUTE_PGM_RSRC2:TGID_X_EN: 1
; COMPUTE_PGM_RSRC2:TGID_Y_EN: 0
; COMPUTE_PGM_RSRC2:TGID_Z_EN: 0
; COMPUTE_PGM_RSRC2:TIDIG_COMP_CNT: 1
; COMPUTE_PGM_RSRC3_GFX90A:ACCUM_OFFSET: 3
; COMPUTE_PGM_RSRC3_GFX90A:TG_SPLIT: 0
	.section	.text._ZL26rocblas_dot_kernel_inc1by2ILb1ELi1024ELi32ELb1EDF16_PKPKDF16_DF16_EviT4_llS4_lliPT5_PT3_,"axG",@progbits,_ZL26rocblas_dot_kernel_inc1by2ILb1ELi1024ELi32ELb1EDF16_PKPKDF16_DF16_EviT4_llS4_lliPT5_PT3_,comdat
	.globl	_ZL26rocblas_dot_kernel_inc1by2ILb1ELi1024ELi32ELb1EDF16_PKPKDF16_DF16_EviT4_llS4_lliPT5_PT3_ ; -- Begin function _ZL26rocblas_dot_kernel_inc1by2ILb1ELi1024ELi32ELb1EDF16_PKPKDF16_DF16_EviT4_llS4_lliPT5_PT3_
	.p2align	8
	.type	_ZL26rocblas_dot_kernel_inc1by2ILb1ELi1024ELi32ELb1EDF16_PKPKDF16_DF16_EviT4_llS4_lliPT5_PT3_,@function
_ZL26rocblas_dot_kernel_inc1by2ILb1ELi1024ELi32ELb1EDF16_PKPKDF16_DF16_EviT4_llS4_lliPT5_PT3_: ; @_ZL26rocblas_dot_kernel_inc1by2ILb1ELi1024ELi32ELb1EDF16_PKPKDF16_DF16_EviT4_llS4_lliPT5_PT3_
; %bb.0:
	s_load_dword s20, s[4:5], 0x0
	s_load_dwordx4 s[0:3], s[4:5], 0x8
	s_load_dwordx2 s[12:13], s[4:5], 0x48
	s_load_dwordx4 s[8:11], s[4:5], 0x20
	s_mov_b32 s6, s7
	s_mov_b32 s7, 0
	s_lshl_b64 s[14:15], s[6:7], 3
	s_waitcnt lgkmcnt(0)
	s_add_u32 s0, s0, s14
	s_addc_u32 s1, s1, s15
	s_load_dwordx2 s[4:5], s[0:1], 0x0
	s_add_u32 s0, s8, s14
	s_addc_u32 s1, s9, s15
	s_load_dwordx2 s[14:15], s[0:1], 0x0
	v_lshlrev_b32_e32 v6, 1, v0
	s_add_i32 s8, s20, -1
	v_cmp_gt_i32_e32 vcc, s8, v6
	v_mov_b32_e32 v1, 0
	s_and_saveexec_b64 s[16:17], vcc
	s_cbranch_execz .LBB513_4
; %bb.1:
	s_lshl_b64 s[0:1], s[10:11], 1
	s_waitcnt lgkmcnt(0)
	s_add_u32 s0, s14, s0
	v_lshlrev_b32_e32 v4, 2, v0
	s_addc_u32 s1, s15, s1
	v_mov_b32_e32 v3, s1
	v_add_co_u32_e32 v2, vcc, s0, v4
	s_lshl_b64 s[0:1], s[2:3], 1
	s_add_u32 s0, s4, s0
	v_addc_co_u32_e32 v3, vcc, 0, v3, vcc
	s_addc_u32 s1, s5, s1
	v_mov_b32_e32 v5, s1
	v_add_co_u32_e32 v4, vcc, s0, v4
	v_mov_b32_e32 v1, 0
	v_addc_co_u32_e32 v5, vcc, 0, v5, vcc
	s_mov_b64 s[18:19], 0
	s_mov_b32 s9, s7
.LBB513_2:                              ; =>This Inner Loop Header: Depth=1
	global_load_dword v7, v[2:3], off
	global_load_dword v8, v[4:5], off
	s_add_i32 s21, s9, 1
	v_add_u32_e32 v6, 0x800, v6
	s_cmp_gt_u32 s9, 30
	v_add_co_u32_e32 v2, vcc, 0x1000, v2
	v_cmp_le_i32_e64 s[0:1], s8, v6
	s_cselect_b64 s[22:23], -1, 0
	v_addc_co_u32_e32 v3, vcc, 0, v3, vcc
	s_or_b64 s[0:1], s[22:23], s[0:1]
	v_add_co_u32_e32 v4, vcc, 0x1000, v4
	s_and_b64 s[0:1], exec, s[0:1]
	s_mov_b32 s9, s21
	v_addc_co_u32_e32 v5, vcc, 0, v5, vcc
	s_or_b64 s[18:19], s[0:1], s[18:19]
	s_waitcnt vmcnt(0)
	v_pk_mul_f16 v7, v7, v8
	v_add_f16_e32 v1, v1, v7
	v_add_f16_sdwa v1, v1, v7 dst_sel:DWORD dst_unused:UNUSED_PAD src0_sel:DWORD src1_sel:WORD_1
	s_andn2_b64 exec, exec, s[18:19]
	s_cbranch_execnz .LBB513_2
; %bb.3:
	s_or_b64 exec, exec, s[18:19]
.LBB513_4:
	s_or_b64 exec, exec, s[16:17]
	s_bitcmp1_b32 s20, 0
	s_cselect_b64 s[0:1], -1, 0
	v_cmp_eq_u32_e32 vcc, s8, v6
	s_and_b64 s[16:17], s[0:1], vcc
	s_and_saveexec_b64 s[0:1], s[16:17]
	s_cbranch_execz .LBB513_6
; %bb.5:
	s_lshl_b64 s[2:3], s[2:3], 1
	s_waitcnt lgkmcnt(0)
	s_add_u32 s4, s4, s2
	s_addc_u32 s5, s5, s3
	s_lshl_b64 s[2:3], s[10:11], 1
	s_add_u32 s10, s14, s2
	s_mov_b32 s9, 0
	s_addc_u32 s11, s15, s3
	s_lshl_b64 s[2:3], s[8:9], 1
	s_add_u32 s4, s4, s2
	s_addc_u32 s5, s5, s3
	s_add_u32 s2, s10, s2
	v_mov_b32_e32 v2, 0
	s_addc_u32 s3, s11, s3
	global_load_ushort v3, v2, s[2:3]
	global_load_ushort v4, v2, s[4:5]
	s_waitcnt vmcnt(0)
	v_fma_f16 v1, v3, v4, v1
.LBB513_6:
	s_or_b64 exec, exec, s[0:1]
	v_and_b32_e32 v3, 63, v0
	v_cmp_gt_u32_e32 vcc, 64, v0
	v_lshlrev_b32_e32 v2, 1, v3
	s_and_saveexec_b64 s[0:1], vcc
	s_cbranch_execz .LBB513_8
; %bb.7:
	v_mov_b32_e32 v4, 0
	ds_write_b16 v2, v4
.LBB513_8:
	s_or_b64 exec, exec, s[0:1]
	v_mbcnt_lo_u32_b32 v4, -1, 0
	v_mbcnt_hi_u32_b32 v6, -1, v4
	v_and_b32_e32 v8, 63, v6
	v_cmp_gt_u32_e64 s[0:1], 32, v8
	v_cndmask_b32_e64 v5, 0, 1, s[0:1]
	v_lshlrev_b32_e32 v5, 5, v5
	v_and_b32_e32 v4, 0xffff, v1
	v_add_lshl_u32 v5, v5, v6, 2
	ds_bpermute_b32 v4, v5, v4
	v_cmp_gt_u32_e64 s[0:1], 48, v8
	v_cndmask_b32_e64 v5, 0, 1, s[0:1]
	s_mov_b32 s2, 0xffff0000
	v_lshlrev_b32_e32 v5, 4, v5
	s_waitcnt lgkmcnt(0)
	v_add_f16_e32 v1, v1, v4
	v_and_or_b32 v4, v4, s2, v1
	v_add_lshl_u32 v5, v5, v6, 2
	ds_bpermute_b32 v4, v5, v4
	v_cmp_gt_u32_e64 s[0:1], 56, v8
	s_waitcnt lgkmcnt(0)
	s_barrier
	v_add_f16_e32 v5, v1, v4
	v_cndmask_b32_e64 v1, 0, 1, s[0:1]
	v_lshlrev_b32_e32 v1, 3, v1
	v_and_or_b32 v4, v4, s2, v5
	v_add_lshl_u32 v1, v1, v6, 2
	ds_bpermute_b32 v4, v1, v4
	v_cmp_gt_u32_e64 s[0:1], 60, v8
	s_waitcnt lgkmcnt(0)
	v_add_f16_e32 v5, v5, v4
	v_and_or_b32 v7, v4, s2, v5
	v_cndmask_b32_e64 v4, 0, 1, s[0:1]
	v_lshlrev_b32_e32 v4, 2, v4
	v_add_lshl_u32 v4, v4, v6, 2
	ds_bpermute_b32 v7, v4, v7
	v_cmp_gt_u32_e64 s[0:1], 62, v8
	s_waitcnt lgkmcnt(0)
	v_add_f16_e32 v9, v5, v7
	v_cndmask_b32_e64 v5, 0, 1, s[0:1]
	v_lshlrev_b32_e32 v5, 1, v5
	v_and_or_b32 v7, v7, s2, v9
	v_add_lshl_u32 v5, v5, v6, 2
	ds_bpermute_b32 v10, v5, v7
	v_cmp_ne_u32_e64 s[0:1], 63, v8
	v_addc_co_u32_e64 v6, s[0:1], 0, v6, s[0:1]
	v_lshlrev_b32_e32 v6, 2, v6
	s_waitcnt lgkmcnt(0)
	v_add_f16_e32 v7, v9, v10
	v_and_or_b32 v9, v10, s2, v7
	ds_bpermute_b32 v8, v6, v9
	v_cmp_eq_u32_e64 s[0:1], 0, v3
	s_and_saveexec_b64 s[2:3], s[0:1]
	s_cbranch_execz .LBB513_10
; %bb.9:
	s_waitcnt lgkmcnt(0)
	v_add_f16_e32 v3, v7, v8
	v_lshrrev_b32_e32 v7, 5, v0
	v_and_b32_e32 v7, 30, v7
	ds_write_b16 v7, v3
.LBB513_10:
	s_or_b64 exec, exec, s[2:3]
	v_cmp_gt_u32_e64 s[0:1], 16, v0
	v_mov_b32_e32 v3, 0
	s_waitcnt lgkmcnt(0)
	s_barrier
	s_and_saveexec_b64 s[2:3], s[0:1]
	s_cbranch_execnz .LBB513_14
; %bb.11:
	s_or_b64 exec, exec, s[2:3]
	s_and_saveexec_b64 s[0:1], vcc
	s_cbranch_execnz .LBB513_15
.LBB513_12:
	s_or_b64 exec, exec, s[0:1]
	v_cmp_eq_u32_e32 vcc, 0, v0
	s_and_saveexec_b64 s[0:1], vcc
	s_cbranch_execnz .LBB513_16
.LBB513_13:
	s_endpgm
.LBB513_14:
	ds_read_u16 v3, v2
	s_or_b64 exec, exec, s[2:3]
	s_and_saveexec_b64 s[0:1], vcc
	s_cbranch_execz .LBB513_12
.LBB513_15:
	s_waitcnt lgkmcnt(0)
	v_and_b32_e32 v2, 0xffff, v3
	ds_bpermute_b32 v1, v1, v2
	s_mov_b32 s2, 0xffff0000
	s_waitcnt lgkmcnt(0)
	v_add_f16_e32 v2, v3, v1
	v_and_or_b32 v1, v1, s2, v2
	ds_bpermute_b32 v1, v4, v1
	s_waitcnt lgkmcnt(0)
	v_add_f16_e32 v2, v2, v1
	v_and_or_b32 v1, v1, s2, v2
	ds_bpermute_b32 v1, v5, v1
	;; [unrolled: 4-line block ×3, first 2 shown]
	s_waitcnt lgkmcnt(0)
	v_add_f16_e32 v3, v2, v1
	s_or_b64 exec, exec, s[0:1]
	v_cmp_eq_u32_e32 vcc, 0, v0
	s_and_saveexec_b64 s[0:1], vcc
	s_cbranch_execz .LBB513_13
.LBB513_16:
	s_lshl_b64 s[0:1], s[6:7], 1
	s_add_u32 s0, s12, s0
	s_addc_u32 s1, s13, s1
	v_mov_b32_e32 v0, 0
	s_waitcnt lgkmcnt(0)
	global_store_short v0, v3, s[0:1]
	s_endpgm
	.section	.rodata,"a",@progbits
	.p2align	6, 0x0
	.amdhsa_kernel _ZL26rocblas_dot_kernel_inc1by2ILb1ELi1024ELi32ELb1EDF16_PKPKDF16_DF16_EviT4_llS4_lliPT5_PT3_
		.amdhsa_group_segment_fixed_size 128
		.amdhsa_private_segment_fixed_size 0
		.amdhsa_kernarg_size 80
		.amdhsa_user_sgpr_count 6
		.amdhsa_user_sgpr_private_segment_buffer 1
		.amdhsa_user_sgpr_dispatch_ptr 0
		.amdhsa_user_sgpr_queue_ptr 0
		.amdhsa_user_sgpr_kernarg_segment_ptr 1
		.amdhsa_user_sgpr_dispatch_id 0
		.amdhsa_user_sgpr_flat_scratch_init 0
		.amdhsa_user_sgpr_kernarg_preload_length 0
		.amdhsa_user_sgpr_kernarg_preload_offset 0
		.amdhsa_user_sgpr_private_segment_size 0
		.amdhsa_uses_dynamic_stack 0
		.amdhsa_system_sgpr_private_segment_wavefront_offset 0
		.amdhsa_system_sgpr_workgroup_id_x 1
		.amdhsa_system_sgpr_workgroup_id_y 0
		.amdhsa_system_sgpr_workgroup_id_z 1
		.amdhsa_system_sgpr_workgroup_info 0
		.amdhsa_system_vgpr_workitem_id 0
		.amdhsa_next_free_vgpr 11
		.amdhsa_next_free_sgpr 24
		.amdhsa_accum_offset 12
		.amdhsa_reserve_vcc 1
		.amdhsa_reserve_flat_scratch 0
		.amdhsa_float_round_mode_32 0
		.amdhsa_float_round_mode_16_64 0
		.amdhsa_float_denorm_mode_32 3
		.amdhsa_float_denorm_mode_16_64 3
		.amdhsa_dx10_clamp 1
		.amdhsa_ieee_mode 1
		.amdhsa_fp16_overflow 0
		.amdhsa_tg_split 0
		.amdhsa_exception_fp_ieee_invalid_op 0
		.amdhsa_exception_fp_denorm_src 0
		.amdhsa_exception_fp_ieee_div_zero 0
		.amdhsa_exception_fp_ieee_overflow 0
		.amdhsa_exception_fp_ieee_underflow 0
		.amdhsa_exception_fp_ieee_inexact 0
		.amdhsa_exception_int_div_zero 0
	.end_amdhsa_kernel
	.section	.text._ZL26rocblas_dot_kernel_inc1by2ILb1ELi1024ELi32ELb1EDF16_PKPKDF16_DF16_EviT4_llS4_lliPT5_PT3_,"axG",@progbits,_ZL26rocblas_dot_kernel_inc1by2ILb1ELi1024ELi32ELb1EDF16_PKPKDF16_DF16_EviT4_llS4_lliPT5_PT3_,comdat
.Lfunc_end513:
	.size	_ZL26rocblas_dot_kernel_inc1by2ILb1ELi1024ELi32ELb1EDF16_PKPKDF16_DF16_EviT4_llS4_lliPT5_PT3_, .Lfunc_end513-_ZL26rocblas_dot_kernel_inc1by2ILb1ELi1024ELi32ELb1EDF16_PKPKDF16_DF16_EviT4_llS4_lliPT5_PT3_
                                        ; -- End function
	.section	.AMDGPU.csdata,"",@progbits
; Kernel info:
; codeLenInByte = 1052
; NumSgprs: 28
; NumVgprs: 11
; NumAgprs: 0
; TotalNumVgprs: 11
; ScratchSize: 0
; MemoryBound: 0
; FloatMode: 240
; IeeeMode: 1
; LDSByteSize: 128 bytes/workgroup (compile time only)
; SGPRBlocks: 3
; VGPRBlocks: 1
; NumSGPRsForWavesPerEU: 28
; NumVGPRsForWavesPerEU: 11
; AccumOffset: 12
; Occupancy: 8
; WaveLimiterHint : 1
; COMPUTE_PGM_RSRC2:SCRATCH_EN: 0
; COMPUTE_PGM_RSRC2:USER_SGPR: 6
; COMPUTE_PGM_RSRC2:TRAP_HANDLER: 0
; COMPUTE_PGM_RSRC2:TGID_X_EN: 1
; COMPUTE_PGM_RSRC2:TGID_Y_EN: 0
; COMPUTE_PGM_RSRC2:TGID_Z_EN: 1
; COMPUTE_PGM_RSRC2:TIDIG_COMP_CNT: 0
; COMPUTE_PGM_RSRC3_GFX90A:ACCUM_OFFSET: 2
; COMPUTE_PGM_RSRC3_GFX90A:TG_SPLIT: 0
	.section	.text._ZL18rocblas_dot_kernelIiLb1ELi1024ELi32ELb1EDF16_PKPKDF16_DF16_EviT5_lT_lS4_lS5_liPT6_PT4_,"axG",@progbits,_ZL18rocblas_dot_kernelIiLb1ELi1024ELi32ELb1EDF16_PKPKDF16_DF16_EviT5_lT_lS4_lS5_liPT6_PT4_,comdat
	.globl	_ZL18rocblas_dot_kernelIiLb1ELi1024ELi32ELb1EDF16_PKPKDF16_DF16_EviT5_lT_lS4_lS5_liPT6_PT4_ ; -- Begin function _ZL18rocblas_dot_kernelIiLb1ELi1024ELi32ELb1EDF16_PKPKDF16_DF16_EviT5_lT_lS4_lS5_liPT6_PT4_
	.p2align	8
	.type	_ZL18rocblas_dot_kernelIiLb1ELi1024ELi32ELb1EDF16_PKPKDF16_DF16_EviT5_lT_lS4_lS5_liPT6_PT4_,@function
_ZL18rocblas_dot_kernelIiLb1ELi1024ELi32ELb1EDF16_PKPKDF16_DF16_EviT5_lT_lS4_lS5_liPT6_PT4_: ; @_ZL18rocblas_dot_kernelIiLb1ELi1024ELi32ELb1EDF16_PKPKDF16_DF16_EviT5_lT_lS4_lS5_liPT6_PT4_
; %bb.0:
	s_mov_b32 s2, s7
	s_load_dword s14, s[4:5], 0x0
	s_load_dwordx2 s[6:7], s[4:5], 0x58
	s_mov_b32 s3, 0
	v_mov_b32_e32 v1, 0
	s_waitcnt lgkmcnt(0)
	v_cmp_gt_i32_e32 vcc, s14, v0
	s_and_saveexec_b64 s[8:9], vcc
	s_cbranch_execz .LBB514_4
; %bb.1:
	s_load_dwordx4 s[16:19], s[4:5], 0x8
	s_load_dword s24, s[4:5], 0x18
	s_load_dwordx4 s[20:23], s[4:5], 0x28
	s_lshl_b64 s[0:1], s[2:3], 3
	s_waitcnt lgkmcnt(0)
	s_add_u32 s10, s16, s0
	s_addc_u32 s11, s17, s1
	s_load_dword s16, s[4:5], 0x38
	s_load_dword s15, s[4:5], 0x60
	s_load_dwordx2 s[12:13], s[10:11], 0x0
	s_add_u32 s0, s20, s0
	s_addc_u32 s1, s21, s1
	v_mad_i64_i32 v[2:3], s[4:5], s24, v0, 0
	s_load_dwordx2 s[0:1], s[0:1], 0x0
	s_waitcnt lgkmcnt(0)
	s_lshl_b32 s15, s15, 10
	s_lshl_b64 s[4:5], s[18:19], 1
	s_add_u32 s4, s12, s4
	v_lshlrev_b64 v[2:3], 1, v[2:3]
	s_addc_u32 s5, s13, s5
	v_mov_b32_e32 v1, s5
	v_add_co_u32_e32 v2, vcc, s4, v2
	s_mul_hi_i32 s5, s24, s15
	s_mul_i32 s4, s24, s15
	v_mad_i64_i32 v[4:5], s[10:11], s16, v0, 0
	s_lshl_b64 s[4:5], s[4:5], 1
	s_lshl_b64 s[10:11], s[22:23], 1
	s_add_u32 s0, s0, s10
	v_addc_co_u32_e32 v3, vcc, v1, v3, vcc
	v_lshlrev_b64 v[4:5], 1, v[4:5]
	s_addc_u32 s1, s1, s11
	v_mov_b32_e32 v1, s1
	v_add_co_u32_e32 v4, vcc, s0, v4
	s_mul_hi_i32 s1, s16, s15
	s_mul_i32 s0, s16, s15
	s_lshl_b64 s[12:13], s[0:1], 1
	v_or_b32_e32 v6, s15, v0
	v_addc_co_u32_e32 v5, vcc, v1, v5, vcc
	s_mov_b64 s[10:11], 0
	v_mov_b32_e32 v1, 0
	v_mov_b32_e32 v7, s5
	;; [unrolled: 1-line block ×3, first 2 shown]
	s_mov_b32 s5, s3
.LBB514_2:                              ; =>This Inner Loop Header: Depth=1
	global_load_ushort v9, v[4:5], off
	global_load_ushort v10, v[2:3], off
	v_add_co_u32_e64 v2, s[0:1], s4, v2
	v_addc_co_u32_e64 v3, s[0:1], v3, v7, s[0:1]
	s_add_i32 s13, s5, 1
	v_add_co_u32_e64 v4, s[0:1], s12, v4
	v_addc_co_u32_e64 v5, s[0:1], v5, v8, s[0:1]
	s_cmp_gt_u32 s5, 30
	v_cmp_le_i32_e32 vcc, s14, v6
	s_cselect_b64 s[0:1], -1, 0
	s_or_b64 s[0:1], s[0:1], vcc
	s_and_b64 s[0:1], exec, s[0:1]
	v_add_u32_e32 v6, s15, v6
	s_mov_b32 s5, s13
	s_or_b64 s[10:11], s[0:1], s[10:11]
	s_waitcnt vmcnt(0)
	v_fma_f16 v1, v9, v10, v1
	s_andn2_b64 exec, exec, s[10:11]
	s_cbranch_execnz .LBB514_2
; %bb.3:
	s_or_b64 exec, exec, s[10:11]
.LBB514_4:
	s_or_b64 exec, exec, s[8:9]
	v_and_b32_e32 v3, 63, v0
	v_cmp_gt_u32_e32 vcc, 64, v0
	v_lshlrev_b32_e32 v2, 1, v3
	s_and_saveexec_b64 s[0:1], vcc
	s_cbranch_execz .LBB514_6
; %bb.5:
	v_mov_b32_e32 v4, 0
	ds_write_b16 v2, v4
.LBB514_6:
	s_or_b64 exec, exec, s[0:1]
	v_mbcnt_lo_u32_b32 v4, -1, 0
	v_mbcnt_hi_u32_b32 v6, -1, v4
	v_and_b32_e32 v8, 63, v6
	v_cmp_gt_u32_e64 s[0:1], 32, v8
	v_cndmask_b32_e64 v5, 0, 1, s[0:1]
	v_lshlrev_b32_e32 v5, 5, v5
	v_and_b32_e32 v4, 0xffff, v1
	v_add_lshl_u32 v5, v5, v6, 2
	ds_bpermute_b32 v4, v5, v4
	v_cmp_gt_u32_e64 s[0:1], 48, v8
	v_cndmask_b32_e64 v5, 0, 1, s[0:1]
	s_mov_b32 s4, 0xffff0000
	v_lshlrev_b32_e32 v5, 4, v5
	s_waitcnt lgkmcnt(0)
	v_add_f16_e32 v1, v1, v4
	v_and_or_b32 v4, v4, s4, v1
	v_add_lshl_u32 v5, v5, v6, 2
	ds_bpermute_b32 v4, v5, v4
	v_cmp_gt_u32_e64 s[0:1], 56, v8
	s_waitcnt lgkmcnt(0)
	s_barrier
	v_add_f16_e32 v5, v1, v4
	v_cndmask_b32_e64 v1, 0, 1, s[0:1]
	v_lshlrev_b32_e32 v1, 3, v1
	v_and_or_b32 v4, v4, s4, v5
	v_add_lshl_u32 v1, v1, v6, 2
	ds_bpermute_b32 v4, v1, v4
	v_cmp_gt_u32_e64 s[0:1], 60, v8
	s_waitcnt lgkmcnt(0)
	v_add_f16_e32 v5, v5, v4
	v_and_or_b32 v7, v4, s4, v5
	v_cndmask_b32_e64 v4, 0, 1, s[0:1]
	v_lshlrev_b32_e32 v4, 2, v4
	v_add_lshl_u32 v4, v4, v6, 2
	ds_bpermute_b32 v7, v4, v7
	v_cmp_gt_u32_e64 s[0:1], 62, v8
	s_waitcnt lgkmcnt(0)
	v_add_f16_e32 v9, v5, v7
	v_cndmask_b32_e64 v5, 0, 1, s[0:1]
	v_lshlrev_b32_e32 v5, 1, v5
	v_and_or_b32 v7, v7, s4, v9
	v_add_lshl_u32 v5, v5, v6, 2
	ds_bpermute_b32 v10, v5, v7
	v_cmp_ne_u32_e64 s[0:1], 63, v8
	v_addc_co_u32_e64 v6, s[0:1], 0, v6, s[0:1]
	v_lshlrev_b32_e32 v6, 2, v6
	s_waitcnt lgkmcnt(0)
	v_add_f16_e32 v7, v9, v10
	v_and_or_b32 v9, v10, s4, v7
	ds_bpermute_b32 v8, v6, v9
	v_cmp_eq_u32_e64 s[0:1], 0, v3
	s_and_saveexec_b64 s[4:5], s[0:1]
	s_cbranch_execz .LBB514_8
; %bb.7:
	s_waitcnt lgkmcnt(0)
	v_add_f16_e32 v3, v7, v8
	v_lshrrev_b32_e32 v7, 5, v0
	v_and_b32_e32 v7, 30, v7
	ds_write_b16 v7, v3
.LBB514_8:
	s_or_b64 exec, exec, s[4:5]
	v_cmp_gt_u32_e64 s[0:1], 16, v0
	v_mov_b32_e32 v3, 0
	s_waitcnt lgkmcnt(0)
	s_barrier
	s_and_saveexec_b64 s[4:5], s[0:1]
	s_cbranch_execnz .LBB514_12
; %bb.9:
	s_or_b64 exec, exec, s[4:5]
	s_and_saveexec_b64 s[0:1], vcc
	s_cbranch_execnz .LBB514_13
.LBB514_10:
	s_or_b64 exec, exec, s[0:1]
	v_cmp_eq_u32_e32 vcc, 0, v0
	s_and_saveexec_b64 s[0:1], vcc
	s_cbranch_execnz .LBB514_14
.LBB514_11:
	s_endpgm
.LBB514_12:
	ds_read_u16 v3, v2
	s_or_b64 exec, exec, s[4:5]
	s_and_saveexec_b64 s[0:1], vcc
	s_cbranch_execz .LBB514_10
.LBB514_13:
	s_waitcnt lgkmcnt(0)
	v_and_b32_e32 v2, 0xffff, v3
	ds_bpermute_b32 v1, v1, v2
	s_mov_b32 s4, 0xffff0000
	s_waitcnt lgkmcnt(0)
	v_add_f16_e32 v2, v3, v1
	v_and_or_b32 v1, v1, s4, v2
	ds_bpermute_b32 v1, v4, v1
	s_waitcnt lgkmcnt(0)
	v_add_f16_e32 v2, v2, v1
	v_and_or_b32 v1, v1, s4, v2
	ds_bpermute_b32 v1, v5, v1
	s_waitcnt lgkmcnt(0)
	v_add_f16_e32 v2, v2, v1
	v_and_or_b32 v1, v1, s4, v2
	ds_bpermute_b32 v1, v6, v1
	s_waitcnt lgkmcnt(0)
	v_add_f16_e32 v3, v2, v1
	s_or_b64 exec, exec, s[0:1]
	v_cmp_eq_u32_e32 vcc, 0, v0
	s_and_saveexec_b64 s[0:1], vcc
	s_cbranch_execz .LBB514_11
.LBB514_14:
	s_lshl_b64 s[0:1], s[2:3], 1
	s_add_u32 s0, s6, s0
	s_addc_u32 s1, s7, s1
	v_mov_b32_e32 v0, 0
	s_waitcnt lgkmcnt(0)
	global_store_short v0, v3, s[0:1]
	s_endpgm
	.section	.rodata,"a",@progbits
	.p2align	6, 0x0
	.amdhsa_kernel _ZL18rocblas_dot_kernelIiLb1ELi1024ELi32ELb1EDF16_PKPKDF16_DF16_EviT5_lT_lS4_lS5_liPT6_PT4_
		.amdhsa_group_segment_fixed_size 128
		.amdhsa_private_segment_fixed_size 0
		.amdhsa_kernarg_size 352
		.amdhsa_user_sgpr_count 6
		.amdhsa_user_sgpr_private_segment_buffer 1
		.amdhsa_user_sgpr_dispatch_ptr 0
		.amdhsa_user_sgpr_queue_ptr 0
		.amdhsa_user_sgpr_kernarg_segment_ptr 1
		.amdhsa_user_sgpr_dispatch_id 0
		.amdhsa_user_sgpr_flat_scratch_init 0
		.amdhsa_user_sgpr_kernarg_preload_length 0
		.amdhsa_user_sgpr_kernarg_preload_offset 0
		.amdhsa_user_sgpr_private_segment_size 0
		.amdhsa_uses_dynamic_stack 0
		.amdhsa_system_sgpr_private_segment_wavefront_offset 0
		.amdhsa_system_sgpr_workgroup_id_x 1
		.amdhsa_system_sgpr_workgroup_id_y 0
		.amdhsa_system_sgpr_workgroup_id_z 1
		.amdhsa_system_sgpr_workgroup_info 0
		.amdhsa_system_vgpr_workitem_id 0
		.amdhsa_next_free_vgpr 11
		.amdhsa_next_free_sgpr 25
		.amdhsa_accum_offset 12
		.amdhsa_reserve_vcc 1
		.amdhsa_reserve_flat_scratch 0
		.amdhsa_float_round_mode_32 0
		.amdhsa_float_round_mode_16_64 0
		.amdhsa_float_denorm_mode_32 3
		.amdhsa_float_denorm_mode_16_64 3
		.amdhsa_dx10_clamp 1
		.amdhsa_ieee_mode 1
		.amdhsa_fp16_overflow 0
		.amdhsa_tg_split 0
		.amdhsa_exception_fp_ieee_invalid_op 0
		.amdhsa_exception_fp_denorm_src 0
		.amdhsa_exception_fp_ieee_div_zero 0
		.amdhsa_exception_fp_ieee_overflow 0
		.amdhsa_exception_fp_ieee_underflow 0
		.amdhsa_exception_fp_ieee_inexact 0
		.amdhsa_exception_int_div_zero 0
	.end_amdhsa_kernel
	.section	.text._ZL18rocblas_dot_kernelIiLb1ELi1024ELi32ELb1EDF16_PKPKDF16_DF16_EviT5_lT_lS4_lS5_liPT6_PT4_,"axG",@progbits,_ZL18rocblas_dot_kernelIiLb1ELi1024ELi32ELb1EDF16_PKPKDF16_DF16_EviT5_lT_lS4_lS5_liPT6_PT4_,comdat
.Lfunc_end514:
	.size	_ZL18rocblas_dot_kernelIiLb1ELi1024ELi32ELb1EDF16_PKPKDF16_DF16_EviT5_lT_lS4_lS5_liPT6_PT4_, .Lfunc_end514-_ZL18rocblas_dot_kernelIiLb1ELi1024ELi32ELb1EDF16_PKPKDF16_DF16_EviT5_lT_lS4_lS5_liPT6_PT4_
                                        ; -- End function
	.section	.AMDGPU.csdata,"",@progbits
; Kernel info:
; codeLenInByte = 1016
; NumSgprs: 29
; NumVgprs: 11
; NumAgprs: 0
; TotalNumVgprs: 11
; ScratchSize: 0
; MemoryBound: 0
; FloatMode: 240
; IeeeMode: 1
; LDSByteSize: 128 bytes/workgroup (compile time only)
; SGPRBlocks: 3
; VGPRBlocks: 1
; NumSGPRsForWavesPerEU: 29
; NumVGPRsForWavesPerEU: 11
; AccumOffset: 12
; Occupancy: 8
; WaveLimiterHint : 0
; COMPUTE_PGM_RSRC2:SCRATCH_EN: 0
; COMPUTE_PGM_RSRC2:USER_SGPR: 6
; COMPUTE_PGM_RSRC2:TRAP_HANDLER: 0
; COMPUTE_PGM_RSRC2:TGID_X_EN: 1
; COMPUTE_PGM_RSRC2:TGID_Y_EN: 0
; COMPUTE_PGM_RSRC2:TGID_Z_EN: 1
; COMPUTE_PGM_RSRC2:TIDIG_COMP_CNT: 0
; COMPUTE_PGM_RSRC3_GFX90A:ACCUM_OFFSET: 2
; COMPUTE_PGM_RSRC3_GFX90A:TG_SPLIT: 0
	.section	.text._ZL24rocblas_dot_kernel_magsqIiLb1ELi1024ELi32ELb1EDF16_PKPKDF16_DF16_EviT5_lT_liPT6_PT4_,"axG",@progbits,_ZL24rocblas_dot_kernel_magsqIiLb1ELi1024ELi32ELb1EDF16_PKPKDF16_DF16_EviT5_lT_liPT6_PT4_,comdat
	.globl	_ZL24rocblas_dot_kernel_magsqIiLb1ELi1024ELi32ELb1EDF16_PKPKDF16_DF16_EviT5_lT_liPT6_PT4_ ; -- Begin function _ZL24rocblas_dot_kernel_magsqIiLb1ELi1024ELi32ELb1EDF16_PKPKDF16_DF16_EviT5_lT_liPT6_PT4_
	.p2align	8
	.type	_ZL24rocblas_dot_kernel_magsqIiLb1ELi1024ELi32ELb1EDF16_PKPKDF16_DF16_EviT5_lT_liPT6_PT4_,@function
_ZL24rocblas_dot_kernel_magsqIiLb1ELi1024ELi32ELb1EDF16_PKPKDF16_DF16_EviT5_lT_liPT6_PT4_: ; @_ZL24rocblas_dot_kernel_magsqIiLb1ELi1024ELi32ELb1EDF16_PKPKDF16_DF16_EviT5_lT_liPT6_PT4_
; %bb.0:
	s_mov_b32 s2, s7
	s_load_dword s12, s[4:5], 0x0
	s_load_dwordx2 s[6:7], s[4:5], 0x38
	s_mov_b32 s3, 0
	v_mov_b32_e32 v4, 0
	s_waitcnt lgkmcnt(0)
	v_cmp_gt_i32_e32 vcc, s12, v0
	s_and_saveexec_b64 s[8:9], vcc
	s_cbranch_execz .LBB515_4
; %bb.1:
	s_load_dwordx4 s[16:19], s[4:5], 0x8
	s_load_dword s10, s[4:5], 0x40
	s_load_dword s11, s[4:5], 0x18
	s_lshl_b64 s[0:1], s[2:3], 3
	s_waitcnt lgkmcnt(0)
	s_add_u32 s0, s16, s0
	s_addc_u32 s1, s17, s1
	s_load_dwordx2 s[0:1], s[0:1], 0x0
	v_mad_i64_i32 v[2:3], s[4:5], s11, v0, 0
	s_lshl_b32 s13, s10, 10
	s_lshl_b64 s[4:5], s[18:19], 1
	s_waitcnt lgkmcnt(0)
	s_add_u32 s0, s0, s4
	v_lshlrev_b64 v[2:3], 1, v[2:3]
	s_addc_u32 s1, s1, s5
	v_mov_b32_e32 v4, s1
	v_add_co_u32_e32 v2, vcc, s0, v2
	s_mul_hi_i32 s1, s11, s13
	s_mul_i32 s0, s11, s13
	s_lshl_b64 s[10:11], s[0:1], 1
	v_or_b32_e32 v1, s13, v0
	v_addc_co_u32_e32 v3, vcc, v4, v3, vcc
	s_mov_b64 s[4:5], 0
	v_mov_b32_e32 v4, 0
	v_mov_b32_e32 v5, s11
	s_mov_b32 s11, s3
.LBB515_2:                              ; =>This Inner Loop Header: Depth=1
	global_load_ushort v6, v[2:3], off
	s_add_i32 s14, s11, 1
	v_add_co_u32_e64 v2, s[0:1], s10, v2
	v_addc_co_u32_e64 v3, s[0:1], v3, v5, s[0:1]
	s_cmp_gt_u32 s11, 30
	v_cmp_le_i32_e32 vcc, s12, v1
	s_cselect_b64 s[0:1], -1, 0
	s_or_b64 s[0:1], s[0:1], vcc
	s_and_b64 s[0:1], exec, s[0:1]
	v_add_u32_e32 v1, s13, v1
	s_mov_b32 s11, s14
	s_or_b64 s[4:5], s[0:1], s[4:5]
	s_waitcnt vmcnt(0)
	v_fma_f16 v4, v6, v6, v4
	s_andn2_b64 exec, exec, s[4:5]
	s_cbranch_execnz .LBB515_2
; %bb.3:
	s_or_b64 exec, exec, s[4:5]
.LBB515_4:
	s_or_b64 exec, exec, s[8:9]
	v_and_b32_e32 v2, 63, v0
	v_cmp_gt_u32_e32 vcc, 64, v0
	v_lshlrev_b32_e32 v1, 1, v2
	s_and_saveexec_b64 s[0:1], vcc
	s_cbranch_execz .LBB515_6
; %bb.5:
	v_mov_b32_e32 v3, 0
	ds_write_b16 v1, v3
.LBB515_6:
	s_or_b64 exec, exec, s[0:1]
	v_mbcnt_lo_u32_b32 v3, -1, 0
	v_mbcnt_hi_u32_b32 v6, -1, v3
	v_and_b32_e32 v8, 63, v6
	v_cmp_gt_u32_e64 s[0:1], 32, v8
	v_cndmask_b32_e64 v5, 0, 1, s[0:1]
	v_lshlrev_b32_e32 v5, 5, v5
	v_and_b32_e32 v3, 0xffff, v4
	v_add_lshl_u32 v5, v5, v6, 2
	ds_bpermute_b32 v3, v5, v3
	v_cmp_gt_u32_e64 s[0:1], 48, v8
	v_cndmask_b32_e64 v5, 0, 1, s[0:1]
	s_mov_b32 s4, 0xffff0000
	v_lshlrev_b32_e32 v5, 4, v5
	s_waitcnt lgkmcnt(0)
	v_add_f16_e32 v4, v4, v3
	v_and_or_b32 v3, v3, s4, v4
	v_add_lshl_u32 v5, v5, v6, 2
	ds_bpermute_b32 v3, v5, v3
	v_cmp_gt_u32_e64 s[0:1], 56, v8
	s_waitcnt lgkmcnt(0)
	s_barrier
	v_add_f16_e32 v4, v4, v3
	v_and_or_b32 v5, v3, s4, v4
	v_cndmask_b32_e64 v3, 0, 1, s[0:1]
	v_lshlrev_b32_e32 v3, 3, v3
	v_add_lshl_u32 v3, v3, v6, 2
	ds_bpermute_b32 v5, v3, v5
	v_cmp_gt_u32_e64 s[0:1], 60, v8
	s_waitcnt lgkmcnt(0)
	v_add_f16_e32 v7, v4, v5
	v_cndmask_b32_e64 v4, 0, 1, s[0:1]
	v_lshlrev_b32_e32 v4, 2, v4
	v_and_or_b32 v5, v5, s4, v7
	v_add_lshl_u32 v4, v4, v6, 2
	ds_bpermute_b32 v5, v4, v5
	v_cmp_gt_u32_e64 s[0:1], 62, v8
	s_waitcnt lgkmcnt(0)
	v_add_f16_e32 v7, v7, v5
	v_and_or_b32 v9, v5, s4, v7
	v_cndmask_b32_e64 v5, 0, 1, s[0:1]
	v_lshlrev_b32_e32 v5, 1, v5
	v_add_lshl_u32 v5, v5, v6, 2
	ds_bpermute_b32 v9, v5, v9
	v_cmp_ne_u32_e64 s[0:1], 63, v8
	v_addc_co_u32_e64 v6, s[0:1], 0, v6, s[0:1]
	v_lshlrev_b32_e32 v6, 2, v6
	s_waitcnt lgkmcnt(0)
	v_add_f16_e32 v7, v7, v9
	v_and_or_b32 v9, v9, s4, v7
	ds_bpermute_b32 v8, v6, v9
	v_cmp_eq_u32_e64 s[0:1], 0, v2
	s_and_saveexec_b64 s[4:5], s[0:1]
	s_cbranch_execz .LBB515_8
; %bb.7:
	s_waitcnt lgkmcnt(0)
	v_add_f16_e32 v2, v7, v8
	v_lshrrev_b32_e32 v7, 5, v0
	v_and_b32_e32 v7, 30, v7
	ds_write_b16 v7, v2
.LBB515_8:
	s_or_b64 exec, exec, s[4:5]
	v_cmp_gt_u32_e64 s[0:1], 16, v0
	v_mov_b32_e32 v2, 0
	s_waitcnt lgkmcnt(0)
	s_barrier
	s_and_saveexec_b64 s[4:5], s[0:1]
	s_cbranch_execnz .LBB515_12
; %bb.9:
	s_or_b64 exec, exec, s[4:5]
	s_and_saveexec_b64 s[0:1], vcc
	s_cbranch_execnz .LBB515_13
.LBB515_10:
	s_or_b64 exec, exec, s[0:1]
	v_cmp_eq_u32_e32 vcc, 0, v0
	s_and_saveexec_b64 s[0:1], vcc
	s_cbranch_execnz .LBB515_14
.LBB515_11:
	s_endpgm
.LBB515_12:
	ds_read_u16 v2, v1
	s_or_b64 exec, exec, s[4:5]
	s_and_saveexec_b64 s[0:1], vcc
	s_cbranch_execz .LBB515_10
.LBB515_13:
	s_waitcnt lgkmcnt(0)
	v_and_b32_e32 v1, 0xffff, v2
	ds_bpermute_b32 v1, v3, v1
	s_mov_b32 s4, 0xffff0000
	s_waitcnt lgkmcnt(0)
	v_add_f16_e32 v2, v2, v1
	v_and_or_b32 v1, v1, s4, v2
	ds_bpermute_b32 v1, v4, v1
	s_waitcnt lgkmcnt(0)
	v_add_f16_e32 v2, v2, v1
	v_and_or_b32 v1, v1, s4, v2
	ds_bpermute_b32 v1, v5, v1
	;; [unrolled: 4-line block ×3, first 2 shown]
	s_waitcnt lgkmcnt(0)
	v_add_f16_e32 v2, v2, v1
	s_or_b64 exec, exec, s[0:1]
	v_cmp_eq_u32_e32 vcc, 0, v0
	s_and_saveexec_b64 s[0:1], vcc
	s_cbranch_execz .LBB515_11
.LBB515_14:
	s_lshl_b64 s[0:1], s[2:3], 1
	s_add_u32 s0, s6, s0
	s_addc_u32 s1, s7, s1
	v_mov_b32_e32 v0, 0
	s_waitcnt lgkmcnt(0)
	global_store_short v0, v2, s[0:1]
	s_endpgm
	.section	.rodata,"a",@progbits
	.p2align	6, 0x0
	.amdhsa_kernel _ZL24rocblas_dot_kernel_magsqIiLb1ELi1024ELi32ELb1EDF16_PKPKDF16_DF16_EviT5_lT_liPT6_PT4_
		.amdhsa_group_segment_fixed_size 128
		.amdhsa_private_segment_fixed_size 0
		.amdhsa_kernarg_size 320
		.amdhsa_user_sgpr_count 6
		.amdhsa_user_sgpr_private_segment_buffer 1
		.amdhsa_user_sgpr_dispatch_ptr 0
		.amdhsa_user_sgpr_queue_ptr 0
		.amdhsa_user_sgpr_kernarg_segment_ptr 1
		.amdhsa_user_sgpr_dispatch_id 0
		.amdhsa_user_sgpr_flat_scratch_init 0
		.amdhsa_user_sgpr_kernarg_preload_length 0
		.amdhsa_user_sgpr_kernarg_preload_offset 0
		.amdhsa_user_sgpr_private_segment_size 0
		.amdhsa_uses_dynamic_stack 0
		.amdhsa_system_sgpr_private_segment_wavefront_offset 0
		.amdhsa_system_sgpr_workgroup_id_x 1
		.amdhsa_system_sgpr_workgroup_id_y 0
		.amdhsa_system_sgpr_workgroup_id_z 1
		.amdhsa_system_sgpr_workgroup_info 0
		.amdhsa_system_vgpr_workitem_id 0
		.amdhsa_next_free_vgpr 10
		.amdhsa_next_free_sgpr 20
		.amdhsa_accum_offset 12
		.amdhsa_reserve_vcc 1
		.amdhsa_reserve_flat_scratch 0
		.amdhsa_float_round_mode_32 0
		.amdhsa_float_round_mode_16_64 0
		.amdhsa_float_denorm_mode_32 3
		.amdhsa_float_denorm_mode_16_64 3
		.amdhsa_dx10_clamp 1
		.amdhsa_ieee_mode 1
		.amdhsa_fp16_overflow 0
		.amdhsa_tg_split 0
		.amdhsa_exception_fp_ieee_invalid_op 0
		.amdhsa_exception_fp_denorm_src 0
		.amdhsa_exception_fp_ieee_div_zero 0
		.amdhsa_exception_fp_ieee_overflow 0
		.amdhsa_exception_fp_ieee_underflow 0
		.amdhsa_exception_fp_ieee_inexact 0
		.amdhsa_exception_int_div_zero 0
	.end_amdhsa_kernel
	.section	.text._ZL24rocblas_dot_kernel_magsqIiLb1ELi1024ELi32ELb1EDF16_PKPKDF16_DF16_EviT5_lT_liPT6_PT4_,"axG",@progbits,_ZL24rocblas_dot_kernel_magsqIiLb1ELi1024ELi32ELb1EDF16_PKPKDF16_DF16_EviT5_lT_liPT6_PT4_,comdat
.Lfunc_end515:
	.size	_ZL24rocblas_dot_kernel_magsqIiLb1ELi1024ELi32ELb1EDF16_PKPKDF16_DF16_EviT5_lT_liPT6_PT4_, .Lfunc_end515-_ZL24rocblas_dot_kernel_magsqIiLb1ELi1024ELi32ELb1EDF16_PKPKDF16_DF16_EviT5_lT_liPT6_PT4_
                                        ; -- End function
	.section	.AMDGPU.csdata,"",@progbits
; Kernel info:
; codeLenInByte = 904
; NumSgprs: 24
; NumVgprs: 10
; NumAgprs: 0
; TotalNumVgprs: 10
; ScratchSize: 0
; MemoryBound: 0
; FloatMode: 240
; IeeeMode: 1
; LDSByteSize: 128 bytes/workgroup (compile time only)
; SGPRBlocks: 2
; VGPRBlocks: 1
; NumSGPRsForWavesPerEU: 24
; NumVGPRsForWavesPerEU: 10
; AccumOffset: 12
; Occupancy: 8
; WaveLimiterHint : 0
; COMPUTE_PGM_RSRC2:SCRATCH_EN: 0
; COMPUTE_PGM_RSRC2:USER_SGPR: 6
; COMPUTE_PGM_RSRC2:TRAP_HANDLER: 0
; COMPUTE_PGM_RSRC2:TGID_X_EN: 1
; COMPUTE_PGM_RSRC2:TGID_Y_EN: 0
; COMPUTE_PGM_RSRC2:TGID_Z_EN: 1
; COMPUTE_PGM_RSRC2:TIDIG_COMP_CNT: 0
; COMPUTE_PGM_RSRC3_GFX90A:ACCUM_OFFSET: 2
; COMPUTE_PGM_RSRC3_GFX90A:TG_SPLIT: 0
	.section	.text._ZL23rocblas_dot_kernel_inc1ILb0ELi512ELi8ELb1EDF16_PKPKDF16_DF16_EviT4_llS4_lliPT5_PT3_,"axG",@progbits,_ZL23rocblas_dot_kernel_inc1ILb0ELi512ELi8ELb1EDF16_PKPKDF16_DF16_EviT4_llS4_lliPT5_PT3_,comdat
	.globl	_ZL23rocblas_dot_kernel_inc1ILb0ELi512ELi8ELb1EDF16_PKPKDF16_DF16_EviT4_llS4_lliPT5_PT3_ ; -- Begin function _ZL23rocblas_dot_kernel_inc1ILb0ELi512ELi8ELb1EDF16_PKPKDF16_DF16_EviT4_llS4_lliPT5_PT3_
	.p2align	8
	.type	_ZL23rocblas_dot_kernel_inc1ILb0ELi512ELi8ELb1EDF16_PKPKDF16_DF16_EviT4_llS4_lliPT5_PT3_,@function
_ZL23rocblas_dot_kernel_inc1ILb0ELi512ELi8ELb1EDF16_PKPKDF16_DF16_EviT4_llS4_lliPT5_PT3_: ; @_ZL23rocblas_dot_kernel_inc1ILb0ELi512ELi8ELb1EDF16_PKPKDF16_DF16_EviT4_llS4_lliPT5_PT3_
; %bb.0:
	s_mov_b32 s2, s7
	s_load_dword s18, s[4:5], 0x50
	s_load_dword s7, s[4:5], 0x0
	s_load_dwordx4 s[8:11], s[4:5], 0x40
	v_lshl_or_b32 v4, s6, 9, v0
	s_mov_b32 s3, 0
	v_mov_b32_e32 v1, 0
	s_waitcnt lgkmcnt(0)
	v_cmp_gt_i32_e32 vcc, s7, v4
	s_and_saveexec_b64 s[12:13], vcc
	s_cbranch_execz .LBB516_4
; %bb.1:
	s_load_dwordx4 s[20:23], s[4:5], 0x8
	s_load_dwordx4 s[24:27], s[4:5], 0x20
	s_lshl_b64 s[0:1], s[2:3], 3
	v_ashrrev_i32_e32 v5, 31, v4
	v_lshlrev_b64 v[2:3], 1, v[4:5]
	s_waitcnt lgkmcnt(0)
	s_add_u32 s4, s20, s0
	s_addc_u32 s5, s21, s1
	s_load_dwordx2 s[14:15], s[4:5], 0x0
	s_lshl_b64 s[16:17], s[22:23], 1
	s_mov_b64 s[4:5], 0
	v_mov_b32_e32 v1, 0
	s_waitcnt lgkmcnt(0)
	s_add_u32 s19, s14, s16
	s_addc_u32 s14, s15, s17
	s_add_u32 s0, s24, s0
	s_addc_u32 s1, s25, s1
	s_load_dwordx2 s[0:1], s[0:1], 0x0
	v_mov_b32_e32 v5, s14
	s_lshl_b64 s[14:15], s[26:27], 1
	s_waitcnt lgkmcnt(0)
	s_add_u32 s20, s0, s14
	s_addc_u32 s0, s1, s15
	s_lshl_b32 s14, s18, 9
	s_ashr_i32 s15, s14, 31
	s_lshl_b64 s[16:17], s[14:15], 1
	v_add_u32_e32 v4, s14, v4
	v_mov_b32_e32 v6, s0
	v_mov_b32_e32 v7, s17
	s_mov_b32 s15, s3
.LBB516_2:                              ; =>This Inner Loop Header: Depth=1
	v_add_co_u32_e32 v8, vcc, s20, v2
	v_addc_co_u32_e32 v9, vcc, v6, v3, vcc
	v_add_co_u32_e32 v10, vcc, s19, v2
	v_addc_co_u32_e32 v11, vcc, v5, v3, vcc
	global_load_ushort v12, v[8:9], off
	global_load_ushort v13, v[10:11], off
	s_add_i32 s17, s15, 1
	v_add_co_u32_e64 v2, s[0:1], s16, v2
	v_addc_co_u32_e64 v3, s[0:1], v3, v7, s[0:1]
	s_cmp_gt_u32 s15, 6
	v_cmp_le_i32_e32 vcc, s7, v4
	s_cselect_b64 s[0:1], -1, 0
	s_or_b64 s[0:1], s[0:1], vcc
	s_and_b64 s[0:1], exec, s[0:1]
	v_add_u32_e32 v4, s14, v4
	s_mov_b32 s15, s17
	s_or_b64 s[4:5], s[0:1], s[4:5]
	s_waitcnt vmcnt(0)
	v_fma_f16 v1, v12, v13, v1
	s_andn2_b64 exec, exec, s[4:5]
	s_cbranch_execnz .LBB516_2
; %bb.3:
	s_or_b64 exec, exec, s[4:5]
.LBB516_4:
	s_or_b64 exec, exec, s[12:13]
	v_and_b32_e32 v3, 63, v0
	v_cmp_gt_u32_e32 vcc, 64, v0
	v_lshlrev_b32_e32 v2, 1, v3
	s_and_saveexec_b64 s[0:1], vcc
	s_cbranch_execz .LBB516_6
; %bb.5:
	v_mov_b32_e32 v4, 0
	ds_write_b16 v2, v4
.LBB516_6:
	s_or_b64 exec, exec, s[0:1]
	v_mbcnt_lo_u32_b32 v4, -1, 0
	v_mbcnt_hi_u32_b32 v6, -1, v4
	v_and_b32_e32 v7, 63, v6
	v_cmp_gt_u32_e64 s[0:1], 32, v7
	v_cndmask_b32_e64 v5, 0, 1, s[0:1]
	v_lshlrev_b32_e32 v5, 5, v5
	v_and_b32_e32 v4, 0xffff, v1
	v_add_lshl_u32 v5, v5, v6, 2
	ds_bpermute_b32 v4, v5, v4
	v_cmp_gt_u32_e64 s[0:1], 48, v7
	v_cndmask_b32_e64 v5, 0, 1, s[0:1]
	s_mov_b32 s4, 0xffff0000
	v_lshlrev_b32_e32 v5, 4, v5
	s_waitcnt lgkmcnt(0)
	v_add_f16_e32 v1, v1, v4
	v_and_or_b32 v4, v4, s4, v1
	v_add_lshl_u32 v5, v5, v6, 2
	ds_bpermute_b32 v4, v5, v4
	v_cmp_gt_u32_e64 s[0:1], 56, v7
	v_cndmask_b32_e64 v5, 0, 1, s[0:1]
	v_lshlrev_b32_e32 v5, 3, v5
	v_add_lshl_u32 v5, v5, v6, 2
	s_waitcnt lgkmcnt(0)
	v_add_f16_e32 v1, v1, v4
	v_and_or_b32 v4, v4, s4, v1
	ds_bpermute_b32 v4, v5, v4
	v_cmp_gt_u32_e64 s[0:1], 60, v7
	s_waitcnt lgkmcnt(0)
	s_barrier
	v_add_f16_e32 v1, v1, v4
	v_and_or_b32 v5, v4, s4, v1
	v_cndmask_b32_e64 v4, 0, 1, s[0:1]
	v_lshlrev_b32_e32 v4, 2, v4
	v_add_lshl_u32 v4, v4, v6, 2
	ds_bpermute_b32 v5, v4, v5
	v_cmp_gt_u32_e64 s[0:1], 62, v7
	s_waitcnt lgkmcnt(0)
	v_add_f16_e32 v1, v1, v5
	v_and_or_b32 v8, v5, s4, v1
	v_cndmask_b32_e64 v5, 0, 1, s[0:1]
	v_lshlrev_b32_e32 v5, 1, v5
	v_add_lshl_u32 v5, v5, v6, 2
	ds_bpermute_b32 v8, v5, v8
	v_cmp_ne_u32_e64 s[0:1], 63, v7
	v_addc_co_u32_e64 v6, s[0:1], 0, v6, s[0:1]
	v_lshlrev_b32_e32 v6, 2, v6
	s_waitcnt lgkmcnt(0)
	v_add_f16_e32 v1, v1, v8
	v_and_or_b32 v8, v8, s4, v1
	ds_bpermute_b32 v7, v6, v8
	v_cmp_eq_u32_e64 s[0:1], 0, v3
	s_and_saveexec_b64 s[4:5], s[0:1]
	s_cbranch_execz .LBB516_8
; %bb.7:
	v_lshrrev_b32_e32 v3, 5, v0
	s_waitcnt lgkmcnt(0)
	v_add_f16_e32 v1, v1, v7
	v_and_b32_e32 v3, 14, v3
	ds_write_b16 v3, v1
.LBB516_8:
	s_or_b64 exec, exec, s[4:5]
	v_cmp_gt_u32_e64 s[0:1], 8, v0
	v_mov_b32_e32 v1, 0
	s_waitcnt lgkmcnt(0)
	s_barrier
	s_and_saveexec_b64 s[4:5], s[0:1]
	s_cbranch_execnz .LBB516_12
; %bb.9:
	s_or_b64 exec, exec, s[4:5]
	s_and_saveexec_b64 s[0:1], vcc
	s_cbranch_execnz .LBB516_13
.LBB516_10:
	s_or_b64 exec, exec, s[0:1]
	v_cmp_eq_u32_e32 vcc, 0, v0
	s_and_saveexec_b64 s[0:1], vcc
	s_cbranch_execnz .LBB516_14
.LBB516_11:
	s_endpgm
.LBB516_12:
	ds_read_u16 v1, v2
	s_or_b64 exec, exec, s[4:5]
	s_and_saveexec_b64 s[0:1], vcc
	s_cbranch_execz .LBB516_10
.LBB516_13:
	s_waitcnt lgkmcnt(0)
	v_and_b32_e32 v2, 0xffff, v1
	ds_bpermute_b32 v2, v4, v2
	s_mov_b32 s4, 0xffff0000
	s_waitcnt lgkmcnt(0)
	v_add_f16_e32 v1, v1, v2
	v_and_or_b32 v2, v2, s4, v1
	ds_bpermute_b32 v2, v5, v2
	s_waitcnt lgkmcnt(0)
	v_add_f16_e32 v1, v1, v2
	v_and_or_b32 v2, v2, s4, v1
	ds_bpermute_b32 v2, v6, v2
	s_waitcnt lgkmcnt(0)
	v_add_f16_e32 v1, v1, v2
	s_or_b64 exec, exec, s[0:1]
	v_cmp_eq_u32_e32 vcc, 0, v0
	s_and_saveexec_b64 s[0:1], vcc
	s_cbranch_execz .LBB516_11
.LBB516_14:
	s_cmp_lg_u32 s18, 1
	s_cbranch_scc0 .LBB516_16
; %bb.15:
	s_mul_hi_u32 s1, s18, s2
	s_mul_i32 s0, s18, s2
	s_lshl_b64 s[0:1], s[0:1], 1
	s_mov_b32 s7, 0
	s_add_u32 s4, s8, s0
	s_addc_u32 s5, s9, s1
	s_lshl_b64 s[0:1], s[6:7], 1
	s_add_u32 s0, s4, s0
	s_addc_u32 s1, s5, s1
	s_cbranch_execz .LBB516_17
	s_branch .LBB516_18
.LBB516_16:
                                        ; implicit-def: $sgpr0_sgpr1
.LBB516_17:
	s_lshl_b64 s[0:1], s[2:3], 1
	s_add_u32 s0, s10, s0
	s_addc_u32 s1, s11, s1
.LBB516_18:
	v_mov_b32_e32 v0, 0
	s_waitcnt lgkmcnt(0)
	global_store_short v0, v1, s[0:1]
	s_endpgm
	.section	.rodata,"a",@progbits
	.p2align	6, 0x0
	.amdhsa_kernel _ZL23rocblas_dot_kernel_inc1ILb0ELi512ELi8ELb1EDF16_PKPKDF16_DF16_EviT4_llS4_lliPT5_PT3_
		.amdhsa_group_segment_fixed_size 128
		.amdhsa_private_segment_fixed_size 0
		.amdhsa_kernarg_size 336
		.amdhsa_user_sgpr_count 6
		.amdhsa_user_sgpr_private_segment_buffer 1
		.amdhsa_user_sgpr_dispatch_ptr 0
		.amdhsa_user_sgpr_queue_ptr 0
		.amdhsa_user_sgpr_kernarg_segment_ptr 1
		.amdhsa_user_sgpr_dispatch_id 0
		.amdhsa_user_sgpr_flat_scratch_init 0
		.amdhsa_user_sgpr_kernarg_preload_length 0
		.amdhsa_user_sgpr_kernarg_preload_offset 0
		.amdhsa_user_sgpr_private_segment_size 0
		.amdhsa_uses_dynamic_stack 0
		.amdhsa_system_sgpr_private_segment_wavefront_offset 0
		.amdhsa_system_sgpr_workgroup_id_x 1
		.amdhsa_system_sgpr_workgroup_id_y 0
		.amdhsa_system_sgpr_workgroup_id_z 1
		.amdhsa_system_sgpr_workgroup_info 0
		.amdhsa_system_vgpr_workitem_id 0
		.amdhsa_next_free_vgpr 14
		.amdhsa_next_free_sgpr 28
		.amdhsa_accum_offset 16
		.amdhsa_reserve_vcc 1
		.amdhsa_reserve_flat_scratch 0
		.amdhsa_float_round_mode_32 0
		.amdhsa_float_round_mode_16_64 0
		.amdhsa_float_denorm_mode_32 3
		.amdhsa_float_denorm_mode_16_64 3
		.amdhsa_dx10_clamp 1
		.amdhsa_ieee_mode 1
		.amdhsa_fp16_overflow 0
		.amdhsa_tg_split 0
		.amdhsa_exception_fp_ieee_invalid_op 0
		.amdhsa_exception_fp_denorm_src 0
		.amdhsa_exception_fp_ieee_div_zero 0
		.amdhsa_exception_fp_ieee_overflow 0
		.amdhsa_exception_fp_ieee_underflow 0
		.amdhsa_exception_fp_ieee_inexact 0
		.amdhsa_exception_int_div_zero 0
	.end_amdhsa_kernel
	.section	.text._ZL23rocblas_dot_kernel_inc1ILb0ELi512ELi8ELb1EDF16_PKPKDF16_DF16_EviT4_llS4_lliPT5_PT3_,"axG",@progbits,_ZL23rocblas_dot_kernel_inc1ILb0ELi512ELi8ELb1EDF16_PKPKDF16_DF16_EviT4_llS4_lliPT5_PT3_,comdat
.Lfunc_end516:
	.size	_ZL23rocblas_dot_kernel_inc1ILb0ELi512ELi8ELb1EDF16_PKPKDF16_DF16_EviT4_llS4_lliPT5_PT3_, .Lfunc_end516-_ZL23rocblas_dot_kernel_inc1ILb0ELi512ELi8ELb1EDF16_PKPKDF16_DF16_EviT4_llS4_lliPT5_PT3_
                                        ; -- End function
	.section	.AMDGPU.csdata,"",@progbits
; Kernel info:
; codeLenInByte = 984
; NumSgprs: 32
; NumVgprs: 14
; NumAgprs: 0
; TotalNumVgprs: 14
; ScratchSize: 0
; MemoryBound: 0
; FloatMode: 240
; IeeeMode: 1
; LDSByteSize: 128 bytes/workgroup (compile time only)
; SGPRBlocks: 3
; VGPRBlocks: 1
; NumSGPRsForWavesPerEU: 32
; NumVGPRsForWavesPerEU: 14
; AccumOffset: 16
; Occupancy: 8
; WaveLimiterHint : 1
; COMPUTE_PGM_RSRC2:SCRATCH_EN: 0
; COMPUTE_PGM_RSRC2:USER_SGPR: 6
; COMPUTE_PGM_RSRC2:TRAP_HANDLER: 0
; COMPUTE_PGM_RSRC2:TGID_X_EN: 1
; COMPUTE_PGM_RSRC2:TGID_Y_EN: 0
; COMPUTE_PGM_RSRC2:TGID_Z_EN: 1
; COMPUTE_PGM_RSRC2:TIDIG_COMP_CNT: 0
; COMPUTE_PGM_RSRC3_GFX90A:ACCUM_OFFSET: 3
; COMPUTE_PGM_RSRC3_GFX90A:TG_SPLIT: 0
	.section	.text._ZL18rocblas_dot_kernelIiLb0ELi512ELi8ELb1EDF16_PKPKDF16_DF16_EviT5_lT_lS4_lS5_liPT6_PT4_,"axG",@progbits,_ZL18rocblas_dot_kernelIiLb0ELi512ELi8ELb1EDF16_PKPKDF16_DF16_EviT5_lT_lS4_lS5_liPT6_PT4_,comdat
	.globl	_ZL18rocblas_dot_kernelIiLb0ELi512ELi8ELb1EDF16_PKPKDF16_DF16_EviT5_lT_lS4_lS5_liPT6_PT4_ ; -- Begin function _ZL18rocblas_dot_kernelIiLb0ELi512ELi8ELb1EDF16_PKPKDF16_DF16_EviT5_lT_lS4_lS5_liPT6_PT4_
	.p2align	8
	.type	_ZL18rocblas_dot_kernelIiLb0ELi512ELi8ELb1EDF16_PKPKDF16_DF16_EviT5_lT_lS4_lS5_liPT6_PT4_,@function
_ZL18rocblas_dot_kernelIiLb0ELi512ELi8ELb1EDF16_PKPKDF16_DF16_EviT5_lT_lS4_lS5_liPT6_PT4_: ; @_ZL18rocblas_dot_kernelIiLb0ELi512ELi8ELb1EDF16_PKPKDF16_DF16_EviT5_lT_lS4_lS5_liPT6_PT4_
; %bb.0:
	s_mov_b32 s2, s7
	s_load_dword s18, s[4:5], 0x60
	s_load_dword s7, s[4:5], 0x0
	s_load_dwordx4 s[8:11], s[4:5], 0x50
	v_lshl_or_b32 v4, s6, 9, v0
	s_mov_b32 s3, 0
	v_mov_b32_e32 v1, 0
	s_waitcnt lgkmcnt(0)
	v_cmp_gt_i32_e32 vcc, s7, v4
	s_and_saveexec_b64 s[12:13], vcc
	s_cbranch_execz .LBB517_4
; %bb.1:
	s_load_dwordx4 s[20:23], s[4:5], 0x8
	s_load_dword s16, s[4:5], 0x18
	s_load_dwordx4 s[24:27], s[4:5], 0x28
	s_load_dword s17, s[4:5], 0x38
	s_lshl_b64 s[0:1], s[2:3], 3
	s_waitcnt lgkmcnt(0)
	s_add_u32 s4, s20, s0
	s_addc_u32 s5, s21, s1
	s_load_dwordx2 s[4:5], s[4:5], 0x0
	s_add_u32 s0, s24, s0
	s_addc_u32 s1, s25, s1
	v_mad_i64_i32 v[2:3], s[14:15], s16, v4, 0
	s_load_dwordx2 s[0:1], s[0:1], 0x0
	s_lshl_b32 s19, s18, 9
	s_lshl_b64 s[14:15], s[22:23], 1
	s_waitcnt lgkmcnt(0)
	s_add_u32 s4, s4, s14
	v_lshlrev_b64 v[2:3], 1, v[2:3]
	s_addc_u32 s5, s5, s15
	v_add_u32_e32 v6, s19, v4
	v_mov_b32_e32 v1, s5
	v_add_co_u32_e32 v2, vcc, s4, v2
	s_mul_hi_i32 s5, s16, s19
	s_mul_i32 s4, s16, s19
	v_mad_i64_i32 v[4:5], s[14:15], s17, v4, 0
	s_lshl_b64 s[4:5], s[4:5], 1
	s_lshl_b64 s[14:15], s[26:27], 1
	s_add_u32 s0, s0, s14
	v_addc_co_u32_e32 v3, vcc, v1, v3, vcc
	v_lshlrev_b64 v[4:5], 1, v[4:5]
	s_addc_u32 s1, s1, s15
	v_mov_b32_e32 v1, s1
	v_add_co_u32_e32 v4, vcc, s0, v4
	s_mul_hi_i32 s1, s17, s19
	s_mul_i32 s0, s17, s19
	s_lshl_b64 s[16:17], s[0:1], 1
	v_addc_co_u32_e32 v5, vcc, v1, v5, vcc
	s_mov_b64 s[14:15], 0
	v_mov_b32_e32 v1, 0
	v_mov_b32_e32 v7, s5
	;; [unrolled: 1-line block ×3, first 2 shown]
	s_mov_b32 s5, s3
.LBB517_2:                              ; =>This Inner Loop Header: Depth=1
	global_load_ushort v9, v[4:5], off
	global_load_ushort v10, v[2:3], off
	v_add_co_u32_e64 v2, s[0:1], s4, v2
	v_addc_co_u32_e64 v3, s[0:1], v3, v7, s[0:1]
	s_add_i32 s17, s5, 1
	v_add_co_u32_e64 v4, s[0:1], s16, v4
	v_addc_co_u32_e64 v5, s[0:1], v5, v8, s[0:1]
	s_cmp_gt_u32 s5, 6
	v_cmp_le_i32_e32 vcc, s7, v6
	s_cselect_b64 s[0:1], -1, 0
	s_or_b64 s[0:1], s[0:1], vcc
	s_and_b64 s[0:1], exec, s[0:1]
	v_add_u32_e32 v6, s19, v6
	s_mov_b32 s5, s17
	s_or_b64 s[14:15], s[0:1], s[14:15]
	s_waitcnt vmcnt(0)
	v_fma_f16 v1, v9, v10, v1
	s_andn2_b64 exec, exec, s[14:15]
	s_cbranch_execnz .LBB517_2
; %bb.3:
	s_or_b64 exec, exec, s[14:15]
.LBB517_4:
	s_or_b64 exec, exec, s[12:13]
	v_and_b32_e32 v3, 63, v0
	v_cmp_gt_u32_e32 vcc, 64, v0
	v_lshlrev_b32_e32 v2, 1, v3
	s_and_saveexec_b64 s[0:1], vcc
	s_cbranch_execz .LBB517_6
; %bb.5:
	v_mov_b32_e32 v4, 0
	ds_write_b16 v2, v4
.LBB517_6:
	s_or_b64 exec, exec, s[0:1]
	v_mbcnt_lo_u32_b32 v4, -1, 0
	v_mbcnt_hi_u32_b32 v6, -1, v4
	v_and_b32_e32 v7, 63, v6
	v_cmp_gt_u32_e64 s[0:1], 32, v7
	v_cndmask_b32_e64 v5, 0, 1, s[0:1]
	v_lshlrev_b32_e32 v5, 5, v5
	v_and_b32_e32 v4, 0xffff, v1
	v_add_lshl_u32 v5, v5, v6, 2
	ds_bpermute_b32 v4, v5, v4
	v_cmp_gt_u32_e64 s[0:1], 48, v7
	v_cndmask_b32_e64 v5, 0, 1, s[0:1]
	s_mov_b32 s4, 0xffff0000
	v_lshlrev_b32_e32 v5, 4, v5
	s_waitcnt lgkmcnt(0)
	v_add_f16_e32 v1, v1, v4
	v_and_or_b32 v4, v4, s4, v1
	v_add_lshl_u32 v5, v5, v6, 2
	ds_bpermute_b32 v4, v5, v4
	v_cmp_gt_u32_e64 s[0:1], 56, v7
	v_cndmask_b32_e64 v5, 0, 1, s[0:1]
	v_lshlrev_b32_e32 v5, 3, v5
	v_add_lshl_u32 v5, v5, v6, 2
	s_waitcnt lgkmcnt(0)
	v_add_f16_e32 v1, v1, v4
	v_and_or_b32 v4, v4, s4, v1
	ds_bpermute_b32 v4, v5, v4
	v_cmp_gt_u32_e64 s[0:1], 60, v7
	s_waitcnt lgkmcnt(0)
	s_barrier
	v_add_f16_e32 v1, v1, v4
	v_and_or_b32 v5, v4, s4, v1
	v_cndmask_b32_e64 v4, 0, 1, s[0:1]
	v_lshlrev_b32_e32 v4, 2, v4
	v_add_lshl_u32 v4, v4, v6, 2
	ds_bpermute_b32 v5, v4, v5
	v_cmp_gt_u32_e64 s[0:1], 62, v7
	s_waitcnt lgkmcnt(0)
	v_add_f16_e32 v1, v1, v5
	v_and_or_b32 v8, v5, s4, v1
	v_cndmask_b32_e64 v5, 0, 1, s[0:1]
	v_lshlrev_b32_e32 v5, 1, v5
	v_add_lshl_u32 v5, v5, v6, 2
	ds_bpermute_b32 v8, v5, v8
	v_cmp_ne_u32_e64 s[0:1], 63, v7
	v_addc_co_u32_e64 v6, s[0:1], 0, v6, s[0:1]
	v_lshlrev_b32_e32 v6, 2, v6
	s_waitcnt lgkmcnt(0)
	v_add_f16_e32 v1, v1, v8
	v_and_or_b32 v8, v8, s4, v1
	ds_bpermute_b32 v7, v6, v8
	v_cmp_eq_u32_e64 s[0:1], 0, v3
	s_and_saveexec_b64 s[4:5], s[0:1]
	s_cbranch_execz .LBB517_8
; %bb.7:
	v_lshrrev_b32_e32 v3, 5, v0
	s_waitcnt lgkmcnt(0)
	v_add_f16_e32 v1, v1, v7
	v_and_b32_e32 v3, 14, v3
	ds_write_b16 v3, v1
.LBB517_8:
	s_or_b64 exec, exec, s[4:5]
	v_cmp_gt_u32_e64 s[0:1], 8, v0
	v_mov_b32_e32 v1, 0
	s_waitcnt lgkmcnt(0)
	s_barrier
	s_and_saveexec_b64 s[4:5], s[0:1]
	s_cbranch_execnz .LBB517_12
; %bb.9:
	s_or_b64 exec, exec, s[4:5]
	s_and_saveexec_b64 s[0:1], vcc
	s_cbranch_execnz .LBB517_13
.LBB517_10:
	s_or_b64 exec, exec, s[0:1]
	v_cmp_eq_u32_e32 vcc, 0, v0
	s_and_saveexec_b64 s[0:1], vcc
	s_cbranch_execnz .LBB517_14
.LBB517_11:
	s_endpgm
.LBB517_12:
	ds_read_u16 v1, v2
	s_or_b64 exec, exec, s[4:5]
	s_and_saveexec_b64 s[0:1], vcc
	s_cbranch_execz .LBB517_10
.LBB517_13:
	s_waitcnt lgkmcnt(0)
	v_and_b32_e32 v2, 0xffff, v1
	ds_bpermute_b32 v2, v4, v2
	s_mov_b32 s4, 0xffff0000
	s_waitcnt lgkmcnt(0)
	v_add_f16_e32 v1, v1, v2
	v_and_or_b32 v2, v2, s4, v1
	ds_bpermute_b32 v2, v5, v2
	s_waitcnt lgkmcnt(0)
	v_add_f16_e32 v1, v1, v2
	v_and_or_b32 v2, v2, s4, v1
	ds_bpermute_b32 v2, v6, v2
	s_waitcnt lgkmcnt(0)
	v_add_f16_e32 v1, v1, v2
	s_or_b64 exec, exec, s[0:1]
	v_cmp_eq_u32_e32 vcc, 0, v0
	s_and_saveexec_b64 s[0:1], vcc
	s_cbranch_execz .LBB517_11
.LBB517_14:
	s_cmp_lg_u32 s18, 1
	s_cbranch_scc0 .LBB517_16
; %bb.15:
	s_mul_hi_u32 s1, s18, s2
	s_mul_i32 s0, s18, s2
	s_lshl_b64 s[0:1], s[0:1], 1
	s_mov_b32 s7, 0
	s_add_u32 s4, s8, s0
	s_addc_u32 s5, s9, s1
	s_lshl_b64 s[0:1], s[6:7], 1
	s_add_u32 s0, s4, s0
	s_addc_u32 s1, s5, s1
	s_cbranch_execz .LBB517_17
	s_branch .LBB517_18
.LBB517_16:
                                        ; implicit-def: $sgpr0_sgpr1
.LBB517_17:
	s_lshl_b64 s[0:1], s[2:3], 1
	s_add_u32 s0, s10, s0
	s_addc_u32 s1, s11, s1
.LBB517_18:
	v_mov_b32_e32 v0, 0
	s_waitcnt lgkmcnt(0)
	global_store_short v0, v1, s[0:1]
	s_endpgm
	.section	.rodata,"a",@progbits
	.p2align	6, 0x0
	.amdhsa_kernel _ZL18rocblas_dot_kernelIiLb0ELi512ELi8ELb1EDF16_PKPKDF16_DF16_EviT5_lT_lS4_lS5_liPT6_PT4_
		.amdhsa_group_segment_fixed_size 128
		.amdhsa_private_segment_fixed_size 0
		.amdhsa_kernarg_size 352
		.amdhsa_user_sgpr_count 6
		.amdhsa_user_sgpr_private_segment_buffer 1
		.amdhsa_user_sgpr_dispatch_ptr 0
		.amdhsa_user_sgpr_queue_ptr 0
		.amdhsa_user_sgpr_kernarg_segment_ptr 1
		.amdhsa_user_sgpr_dispatch_id 0
		.amdhsa_user_sgpr_flat_scratch_init 0
		.amdhsa_user_sgpr_kernarg_preload_length 0
		.amdhsa_user_sgpr_kernarg_preload_offset 0
		.amdhsa_user_sgpr_private_segment_size 0
		.amdhsa_uses_dynamic_stack 0
		.amdhsa_system_sgpr_private_segment_wavefront_offset 0
		.amdhsa_system_sgpr_workgroup_id_x 1
		.amdhsa_system_sgpr_workgroup_id_y 0
		.amdhsa_system_sgpr_workgroup_id_z 1
		.amdhsa_system_sgpr_workgroup_info 0
		.amdhsa_system_vgpr_workitem_id 0
		.amdhsa_next_free_vgpr 11
		.amdhsa_next_free_sgpr 28
		.amdhsa_accum_offset 12
		.amdhsa_reserve_vcc 1
		.amdhsa_reserve_flat_scratch 0
		.amdhsa_float_round_mode_32 0
		.amdhsa_float_round_mode_16_64 0
		.amdhsa_float_denorm_mode_32 3
		.amdhsa_float_denorm_mode_16_64 3
		.amdhsa_dx10_clamp 1
		.amdhsa_ieee_mode 1
		.amdhsa_fp16_overflow 0
		.amdhsa_tg_split 0
		.amdhsa_exception_fp_ieee_invalid_op 0
		.amdhsa_exception_fp_denorm_src 0
		.amdhsa_exception_fp_ieee_div_zero 0
		.amdhsa_exception_fp_ieee_overflow 0
		.amdhsa_exception_fp_ieee_underflow 0
		.amdhsa_exception_fp_ieee_inexact 0
		.amdhsa_exception_int_div_zero 0
	.end_amdhsa_kernel
	.section	.text._ZL18rocblas_dot_kernelIiLb0ELi512ELi8ELb1EDF16_PKPKDF16_DF16_EviT5_lT_lS4_lS5_liPT6_PT4_,"axG",@progbits,_ZL18rocblas_dot_kernelIiLb0ELi512ELi8ELb1EDF16_PKPKDF16_DF16_EviT5_lT_lS4_lS5_liPT6_PT4_,comdat
.Lfunc_end517:
	.size	_ZL18rocblas_dot_kernelIiLb0ELi512ELi8ELb1EDF16_PKPKDF16_DF16_EviT5_lT_lS4_lS5_liPT6_PT4_, .Lfunc_end517-_ZL18rocblas_dot_kernelIiLb0ELi512ELi8ELb1EDF16_PKPKDF16_DF16_EviT5_lT_lS4_lS5_liPT6_PT4_
                                        ; -- End function
	.section	.AMDGPU.csdata,"",@progbits
; Kernel info:
; codeLenInByte = 1052
; NumSgprs: 32
; NumVgprs: 11
; NumAgprs: 0
; TotalNumVgprs: 11
; ScratchSize: 0
; MemoryBound: 0
; FloatMode: 240
; IeeeMode: 1
; LDSByteSize: 128 bytes/workgroup (compile time only)
; SGPRBlocks: 3
; VGPRBlocks: 1
; NumSGPRsForWavesPerEU: 32
; NumVGPRsForWavesPerEU: 11
; AccumOffset: 12
; Occupancy: 8
; WaveLimiterHint : 0
; COMPUTE_PGM_RSRC2:SCRATCH_EN: 0
; COMPUTE_PGM_RSRC2:USER_SGPR: 6
; COMPUTE_PGM_RSRC2:TRAP_HANDLER: 0
; COMPUTE_PGM_RSRC2:TGID_X_EN: 1
; COMPUTE_PGM_RSRC2:TGID_Y_EN: 0
; COMPUTE_PGM_RSRC2:TGID_Z_EN: 1
; COMPUTE_PGM_RSRC2:TIDIG_COMP_CNT: 0
; COMPUTE_PGM_RSRC3_GFX90A:ACCUM_OFFSET: 2
; COMPUTE_PGM_RSRC3_GFX90A:TG_SPLIT: 0
	.section	.text._ZL24rocblas_dot_kernel_magsqIiLb0ELi512ELi8ELb1EDF16_PKPKDF16_DF16_EviT5_lT_liPT6_PT4_,"axG",@progbits,_ZL24rocblas_dot_kernel_magsqIiLb0ELi512ELi8ELb1EDF16_PKPKDF16_DF16_EviT5_lT_liPT6_PT4_,comdat
	.globl	_ZL24rocblas_dot_kernel_magsqIiLb0ELi512ELi8ELb1EDF16_PKPKDF16_DF16_EviT5_lT_liPT6_PT4_ ; -- Begin function _ZL24rocblas_dot_kernel_magsqIiLb0ELi512ELi8ELb1EDF16_PKPKDF16_DF16_EviT5_lT_liPT6_PT4_
	.p2align	8
	.type	_ZL24rocblas_dot_kernel_magsqIiLb0ELi512ELi8ELb1EDF16_PKPKDF16_DF16_EviT5_lT_liPT6_PT4_,@function
_ZL24rocblas_dot_kernel_magsqIiLb0ELi512ELi8ELb1EDF16_PKPKDF16_DF16_EviT5_lT_liPT6_PT4_: ; @_ZL24rocblas_dot_kernel_magsqIiLb0ELi512ELi8ELb1EDF16_PKPKDF16_DF16_EviT5_lT_liPT6_PT4_
; %bb.0:
	s_mov_b32 s2, s7
	s_load_dword s7, s[4:5], 0x0
	s_load_dwordx4 s[8:11], s[4:5], 0x30
	s_load_dword s16, s[4:5], 0x40
	v_lshl_or_b32 v1, s6, 9, v0
	s_mov_b32 s3, 0
	s_waitcnt lgkmcnt(0)
	v_cmp_gt_i32_e32 vcc, s7, v1
	v_mov_b32_e32 v4, 0
	s_and_saveexec_b64 s[12:13], vcc
	s_cbranch_execz .LBB518_4
; %bb.1:
	s_load_dwordx4 s[20:23], s[4:5], 0x8
	s_load_dword s14, s[4:5], 0x18
	s_lshl_b64 s[0:1], s[2:3], 3
	s_waitcnt lgkmcnt(0)
	s_add_u32 s0, s20, s0
	s_addc_u32 s1, s21, s1
	s_load_dwordx2 s[0:1], s[0:1], 0x0
	v_mad_i64_i32 v[2:3], s[4:5], s14, v1, 0
	s_lshl_b32 s17, s16, 9
	s_lshl_b64 s[4:5], s[22:23], 1
	s_waitcnt lgkmcnt(0)
	s_add_u32 s0, s0, s4
	v_lshlrev_b64 v[2:3], 1, v[2:3]
	s_addc_u32 s1, s1, s5
	v_mov_b32_e32 v4, s1
	v_add_co_u32_e32 v2, vcc, s0, v2
	s_mul_hi_i32 s1, s14, s17
	s_mul_i32 s0, s14, s17
	s_lshl_b64 s[14:15], s[0:1], 1
	v_add_u32_e32 v1, s17, v1
	v_addc_co_u32_e32 v3, vcc, v4, v3, vcc
	s_mov_b64 s[4:5], 0
	v_mov_b32_e32 v4, 0
	v_mov_b32_e32 v5, s15
	s_mov_b32 s15, s3
.LBB518_2:                              ; =>This Inner Loop Header: Depth=1
	global_load_ushort v6, v[2:3], off
	s_add_i32 s18, s15, 1
	v_add_co_u32_e64 v2, s[0:1], s14, v2
	v_addc_co_u32_e64 v3, s[0:1], v3, v5, s[0:1]
	s_cmp_gt_u32 s15, 6
	v_cmp_le_i32_e32 vcc, s7, v1
	s_cselect_b64 s[0:1], -1, 0
	s_or_b64 s[0:1], s[0:1], vcc
	s_and_b64 s[0:1], exec, s[0:1]
	v_add_u32_e32 v1, s17, v1
	s_mov_b32 s15, s18
	s_or_b64 s[4:5], s[0:1], s[4:5]
	s_waitcnt vmcnt(0)
	v_fma_f16 v4, v6, v6, v4
	s_andn2_b64 exec, exec, s[4:5]
	s_cbranch_execnz .LBB518_2
; %bb.3:
	s_or_b64 exec, exec, s[4:5]
.LBB518_4:
	s_or_b64 exec, exec, s[12:13]
	v_and_b32_e32 v2, 63, v0
	v_cmp_gt_u32_e32 vcc, 64, v0
	v_lshlrev_b32_e32 v1, 1, v2
	s_and_saveexec_b64 s[0:1], vcc
	s_cbranch_execz .LBB518_6
; %bb.5:
	v_mov_b32_e32 v3, 0
	ds_write_b16 v1, v3
.LBB518_6:
	s_or_b64 exec, exec, s[0:1]
	v_mbcnt_lo_u32_b32 v3, -1, 0
	v_mbcnt_hi_u32_b32 v5, -1, v3
	v_and_b32_e32 v7, 63, v5
	v_cmp_gt_u32_e64 s[0:1], 32, v7
	v_cndmask_b32_e64 v6, 0, 1, s[0:1]
	v_lshlrev_b32_e32 v6, 5, v6
	v_and_b32_e32 v3, 0xffff, v4
	v_add_lshl_u32 v6, v6, v5, 2
	ds_bpermute_b32 v3, v6, v3
	v_cmp_gt_u32_e64 s[0:1], 48, v7
	v_cndmask_b32_e64 v6, 0, 1, s[0:1]
	s_mov_b32 s4, 0xffff0000
	v_lshlrev_b32_e32 v6, 4, v6
	s_waitcnt lgkmcnt(0)
	v_add_f16_e32 v4, v4, v3
	v_and_or_b32 v3, v3, s4, v4
	v_add_lshl_u32 v6, v6, v5, 2
	ds_bpermute_b32 v3, v6, v3
	v_cmp_gt_u32_e64 s[0:1], 56, v7
	v_cndmask_b32_e64 v6, 0, 1, s[0:1]
	v_lshlrev_b32_e32 v6, 3, v6
	v_add_lshl_u32 v6, v6, v5, 2
	s_waitcnt lgkmcnt(0)
	v_add_f16_e32 v4, v4, v3
	v_and_or_b32 v3, v3, s4, v4
	ds_bpermute_b32 v3, v6, v3
	v_cmp_gt_u32_e64 s[0:1], 60, v7
	s_waitcnt lgkmcnt(0)
	s_barrier
	v_add_f16_e32 v4, v4, v3
	v_and_or_b32 v6, v3, s4, v4
	v_cndmask_b32_e64 v3, 0, 1, s[0:1]
	v_lshlrev_b32_e32 v3, 2, v3
	v_add_lshl_u32 v3, v3, v5, 2
	ds_bpermute_b32 v6, v3, v6
	v_cmp_gt_u32_e64 s[0:1], 62, v7
	s_waitcnt lgkmcnt(0)
	v_add_f16_e32 v8, v4, v6
	v_cndmask_b32_e64 v4, 0, 1, s[0:1]
	v_lshlrev_b32_e32 v4, 1, v4
	v_and_or_b32 v6, v6, s4, v8
	v_add_lshl_u32 v4, v4, v5, 2
	ds_bpermute_b32 v9, v4, v6
	v_cmp_ne_u32_e64 s[0:1], 63, v7
	v_addc_co_u32_e64 v5, s[0:1], 0, v5, s[0:1]
	v_lshlrev_b32_e32 v5, 2, v5
	s_waitcnt lgkmcnt(0)
	v_add_f16_e32 v6, v8, v9
	v_and_or_b32 v8, v9, s4, v6
	ds_bpermute_b32 v7, v5, v8
	v_cmp_eq_u32_e64 s[0:1], 0, v2
	s_and_saveexec_b64 s[4:5], s[0:1]
	s_cbranch_execz .LBB518_8
; %bb.7:
	s_waitcnt lgkmcnt(0)
	v_add_f16_e32 v2, v6, v7
	v_lshrrev_b32_e32 v6, 5, v0
	v_and_b32_e32 v6, 14, v6
	ds_write_b16 v6, v2
.LBB518_8:
	s_or_b64 exec, exec, s[4:5]
	v_cmp_gt_u32_e64 s[0:1], 8, v0
	v_mov_b32_e32 v2, 0
	s_waitcnt lgkmcnt(0)
	s_barrier
	s_and_saveexec_b64 s[4:5], s[0:1]
	s_cbranch_execnz .LBB518_12
; %bb.9:
	s_or_b64 exec, exec, s[4:5]
	s_and_saveexec_b64 s[0:1], vcc
	s_cbranch_execnz .LBB518_13
.LBB518_10:
	s_or_b64 exec, exec, s[0:1]
	v_cmp_eq_u32_e32 vcc, 0, v0
	s_and_saveexec_b64 s[0:1], vcc
	s_cbranch_execnz .LBB518_14
.LBB518_11:
	s_endpgm
.LBB518_12:
	ds_read_u16 v2, v1
	s_or_b64 exec, exec, s[4:5]
	s_and_saveexec_b64 s[0:1], vcc
	s_cbranch_execz .LBB518_10
.LBB518_13:
	s_waitcnt lgkmcnt(0)
	v_and_b32_e32 v1, 0xffff, v2
	ds_bpermute_b32 v1, v3, v1
	s_mov_b32 s4, 0xffff0000
	s_waitcnt lgkmcnt(0)
	v_add_f16_e32 v2, v2, v1
	v_and_or_b32 v1, v1, s4, v2
	ds_bpermute_b32 v1, v4, v1
	s_waitcnt lgkmcnt(0)
	v_add_f16_e32 v2, v2, v1
	v_and_or_b32 v1, v1, s4, v2
	ds_bpermute_b32 v1, v5, v1
	s_waitcnt lgkmcnt(0)
	v_add_f16_e32 v2, v2, v1
	s_or_b64 exec, exec, s[0:1]
	v_cmp_eq_u32_e32 vcc, 0, v0
	s_and_saveexec_b64 s[0:1], vcc
	s_cbranch_execz .LBB518_11
.LBB518_14:
	s_cmp_lg_u32 s16, 1
	s_cbranch_scc0 .LBB518_16
; %bb.15:
	s_mul_hi_u32 s1, s16, s2
	s_mul_i32 s0, s16, s2
	s_lshl_b64 s[0:1], s[0:1], 1
	s_mov_b32 s7, 0
	s_add_u32 s4, s8, s0
	s_addc_u32 s5, s9, s1
	s_lshl_b64 s[0:1], s[6:7], 1
	s_add_u32 s0, s4, s0
	s_addc_u32 s1, s5, s1
	s_cbranch_execz .LBB518_17
	s_branch .LBB518_18
.LBB518_16:
                                        ; implicit-def: $sgpr0_sgpr1
.LBB518_17:
	s_lshl_b64 s[0:1], s[2:3], 1
	s_add_u32 s0, s10, s0
	s_addc_u32 s1, s11, s1
.LBB518_18:
	v_mov_b32_e32 v0, 0
	s_waitcnt lgkmcnt(0)
	global_store_short v0, v2, s[0:1]
	s_endpgm
	.section	.rodata,"a",@progbits
	.p2align	6, 0x0
	.amdhsa_kernel _ZL24rocblas_dot_kernel_magsqIiLb0ELi512ELi8ELb1EDF16_PKPKDF16_DF16_EviT5_lT_liPT6_PT4_
		.amdhsa_group_segment_fixed_size 128
		.amdhsa_private_segment_fixed_size 0
		.amdhsa_kernarg_size 320
		.amdhsa_user_sgpr_count 6
		.amdhsa_user_sgpr_private_segment_buffer 1
		.amdhsa_user_sgpr_dispatch_ptr 0
		.amdhsa_user_sgpr_queue_ptr 0
		.amdhsa_user_sgpr_kernarg_segment_ptr 1
		.amdhsa_user_sgpr_dispatch_id 0
		.amdhsa_user_sgpr_flat_scratch_init 0
		.amdhsa_user_sgpr_kernarg_preload_length 0
		.amdhsa_user_sgpr_kernarg_preload_offset 0
		.amdhsa_user_sgpr_private_segment_size 0
		.amdhsa_uses_dynamic_stack 0
		.amdhsa_system_sgpr_private_segment_wavefront_offset 0
		.amdhsa_system_sgpr_workgroup_id_x 1
		.amdhsa_system_sgpr_workgroup_id_y 0
		.amdhsa_system_sgpr_workgroup_id_z 1
		.amdhsa_system_sgpr_workgroup_info 0
		.amdhsa_system_vgpr_workitem_id 0
		.amdhsa_next_free_vgpr 10
		.amdhsa_next_free_sgpr 24
		.amdhsa_accum_offset 12
		.amdhsa_reserve_vcc 1
		.amdhsa_reserve_flat_scratch 0
		.amdhsa_float_round_mode_32 0
		.amdhsa_float_round_mode_16_64 0
		.amdhsa_float_denorm_mode_32 3
		.amdhsa_float_denorm_mode_16_64 3
		.amdhsa_dx10_clamp 1
		.amdhsa_ieee_mode 1
		.amdhsa_fp16_overflow 0
		.amdhsa_tg_split 0
		.amdhsa_exception_fp_ieee_invalid_op 0
		.amdhsa_exception_fp_denorm_src 0
		.amdhsa_exception_fp_ieee_div_zero 0
		.amdhsa_exception_fp_ieee_overflow 0
		.amdhsa_exception_fp_ieee_underflow 0
		.amdhsa_exception_fp_ieee_inexact 0
		.amdhsa_exception_int_div_zero 0
	.end_amdhsa_kernel
	.section	.text._ZL24rocblas_dot_kernel_magsqIiLb0ELi512ELi8ELb1EDF16_PKPKDF16_DF16_EviT5_lT_liPT6_PT4_,"axG",@progbits,_ZL24rocblas_dot_kernel_magsqIiLb0ELi512ELi8ELb1EDF16_PKPKDF16_DF16_EviT5_lT_liPT6_PT4_,comdat
.Lfunc_end518:
	.size	_ZL24rocblas_dot_kernel_magsqIiLb0ELi512ELi8ELb1EDF16_PKPKDF16_DF16_EviT5_lT_liPT6_PT4_, .Lfunc_end518-_ZL24rocblas_dot_kernel_magsqIiLb0ELi512ELi8ELb1EDF16_PKPKDF16_DF16_EviT5_lT_liPT6_PT4_
                                        ; -- End function
	.section	.AMDGPU.csdata,"",@progbits
; Kernel info:
; codeLenInByte = 940
; NumSgprs: 28
; NumVgprs: 10
; NumAgprs: 0
; TotalNumVgprs: 10
; ScratchSize: 0
; MemoryBound: 0
; FloatMode: 240
; IeeeMode: 1
; LDSByteSize: 128 bytes/workgroup (compile time only)
; SGPRBlocks: 3
; VGPRBlocks: 1
; NumSGPRsForWavesPerEU: 28
; NumVGPRsForWavesPerEU: 10
; AccumOffset: 12
; Occupancy: 8
; WaveLimiterHint : 0
; COMPUTE_PGM_RSRC2:SCRATCH_EN: 0
; COMPUTE_PGM_RSRC2:USER_SGPR: 6
; COMPUTE_PGM_RSRC2:TRAP_HANDLER: 0
; COMPUTE_PGM_RSRC2:TGID_X_EN: 1
; COMPUTE_PGM_RSRC2:TGID_Y_EN: 0
; COMPUTE_PGM_RSRC2:TGID_Z_EN: 1
; COMPUTE_PGM_RSRC2:TIDIG_COMP_CNT: 0
; COMPUTE_PGM_RSRC3_GFX90A:ACCUM_OFFSET: 2
; COMPUTE_PGM_RSRC3_GFX90A:TG_SPLIT: 0
	.section	.text._ZL28rocblas_dot_batched_4_kernelIlLi32ELi4ELb1EDF16_DF16_PKPKDF16_EviT5_lT_lS4_lS5_liPT4_,"axG",@progbits,_ZL28rocblas_dot_batched_4_kernelIlLi32ELi4ELb1EDF16_DF16_PKPKDF16_EviT5_lT_lS4_lS5_liPT4_,comdat
	.globl	_ZL28rocblas_dot_batched_4_kernelIlLi32ELi4ELb1EDF16_DF16_PKPKDF16_EviT5_lT_lS4_lS5_liPT4_ ; -- Begin function _ZL28rocblas_dot_batched_4_kernelIlLi32ELi4ELb1EDF16_DF16_PKPKDF16_EviT5_lT_lS4_lS5_liPT4_
	.p2align	8
	.type	_ZL28rocblas_dot_batched_4_kernelIlLi32ELi4ELb1EDF16_DF16_PKPKDF16_EviT5_lT_lS4_lS5_liPT4_,@function
_ZL28rocblas_dot_batched_4_kernelIlLi32ELi4ELb1EDF16_DF16_PKPKDF16_EviT5_lT_lS4_lS5_liPT4_: ; @_ZL28rocblas_dot_batched_4_kernelIlLi32ELi4ELb1EDF16_DF16_PKPKDF16_EviT5_lT_lS4_lS5_liPT4_
; %bb.0:
	s_load_dword s0, s[4:5], 0x48
	v_bfe_u32 v1, v0, 10, 10
	v_lshl_add_u32 v2, s6, 2, v1
	s_waitcnt lgkmcnt(0)
	v_cmp_gt_u32_e32 vcc, s0, v2
	s_and_saveexec_b64 s[0:1], vcc
	s_cbranch_execz .LBB519_7
; %bb.1:
	s_load_dword s14, s[4:5], 0x0
	s_load_dwordx2 s[8:9], s[4:5], 0x50
	v_mov_b32_e32 v3, 0
	v_and_b32_e32 v6, 0x3ff, v0
	v_mov_b32_e32 v7, v3
	s_waitcnt lgkmcnt(0)
	v_cmp_gt_i32_e32 vcc, s14, v6
	s_and_saveexec_b64 s[10:11], vcc
	s_cbranch_execz .LBB519_5
; %bb.2:
	s_load_dwordx2 s[6:7], s[4:5], 0x8
	s_load_dwordx2 s[12:13], s[4:5], 0x28
	v_lshlrev_b64 v[0:1], 3, v[2:3]
	s_load_dwordx4 s[0:3], s[4:5], 0x10
	s_waitcnt lgkmcnt(0)
	v_mov_b32_e32 v5, s7
	v_add_co_u32_e32 v4, vcc, s6, v0
	v_addc_co_u32_e32 v5, vcc, v5, v1, vcc
	global_load_dwordx2 v[4:5], v[4:5], off
	v_mov_b32_e32 v7, s13
	v_add_co_u32_e32 v0, vcc, s12, v0
	v_addc_co_u32_e32 v1, vcc, v7, v1, vcc
	global_load_dwordx2 v[10:11], v[0:1], off
	s_load_dwordx4 s[4:7], s[4:5], 0x30
	v_mad_u64_u32 v[0:1], s[16:17], s2, v6, 0
	v_mov_b32_e32 v14, v1
	s_lshl_b64 s[16:17], s[0:1], 1
	s_lshl_b64 s[0:1], s[2:3], 6
	s_waitcnt lgkmcnt(0)
	v_mad_u64_u32 v[12:13], s[18:19], s6, v6, 0
	v_mad_u64_u32 v[14:15], s[2:3], s3, v6, v[14:15]
	v_mov_b32_e32 v16, v13
	v_mov_b32_e32 v1, v14
	v_mad_u64_u32 v[16:17], s[2:3], s7, v6, v[16:17]
	v_lshlrev_b64 v[0:1], 1, v[0:1]
	v_mov_b32_e32 v18, s17
	v_mov_b32_e32 v13, v16
	v_add_co_u32_e32 v0, vcc, s16, v0
	s_lshl_b64 s[18:19], s[4:5], 1
	v_lshlrev_b64 v[12:13], 1, v[12:13]
	v_addc_co_u32_e32 v1, vcc, v1, v18, vcc
	v_mov_b32_e32 v19, s19
	v_add_co_u32_e32 v12, vcc, s18, v12
	v_addc_co_u32_e32 v13, vcc, v13, v19, vcc
	s_lshl_b64 s[4:5], s[6:7], 6
	s_mov_b64 s[12:13], 0
	v_mov_b32_e32 v7, 0
	v_mov_b32_e32 v8, s1
	;; [unrolled: 1-line block ×3, first 2 shown]
	s_waitcnt vmcnt(1)
	v_add_co_u32_e32 v0, vcc, v4, v0
	v_addc_co_u32_e32 v1, vcc, v5, v1, vcc
	s_waitcnt vmcnt(0)
	v_add_co_u32_e32 v4, vcc, v10, v12
	v_addc_co_u32_e32 v5, vcc, v11, v13, vcc
	v_mov_b32_e32 v10, v6
.LBB519_3:                              ; =>This Inner Loop Header: Depth=1
	global_load_ushort v11, v[0:1], off
	global_load_ushort v12, v[4:5], off
	v_add_co_u32_e32 v0, vcc, s0, v0
	v_addc_co_u32_e32 v1, vcc, v1, v8, vcc
	v_add_co_u32_e32 v4, vcc, s4, v4
	v_add_u32_e32 v10, 32, v10
	v_addc_co_u32_e32 v5, vcc, v5, v9, vcc
	v_cmp_le_i32_e32 vcc, s14, v10
	s_or_b64 s[12:13], vcc, s[12:13]
	s_waitcnt vmcnt(0)
	v_fma_f16 v7, v11, v12, v7
	s_andn2_b64 exec, exec, s[12:13]
	s_cbranch_execnz .LBB519_3
; %bb.4:
	s_or_b64 exec, exec, s[12:13]
.LBB519_5:
	s_or_b64 exec, exec, s[10:11]
	v_mbcnt_lo_u32_b32 v0, -1, 0
	v_mbcnt_hi_u32_b32 v1, -1, v0
	v_and_b32_e32 v4, 63, v1
	v_cmp_gt_u32_e32 vcc, 48, v4
	v_cndmask_b32_e64 v5, 0, 1, vcc
	v_lshlrev_b32_e32 v5, 4, v5
	v_and_b32_e32 v0, 0xffff, v7
	v_add_lshl_u32 v5, v5, v1, 2
	ds_bpermute_b32 v0, v5, v0
	v_cmp_gt_u32_e32 vcc, 56, v4
	s_mov_b32 s0, 0xffff0000
	s_waitcnt lgkmcnt(0)
	s_barrier
	v_add_f16_e32 v5, v7, v0
	v_cndmask_b32_e64 v7, 0, 1, vcc
	v_lshlrev_b32_e32 v7, 3, v7
	v_and_or_b32 v0, v0, s0, v5
	v_add_lshl_u32 v7, v7, v1, 2
	ds_bpermute_b32 v0, v7, v0
	v_cmp_gt_u32_e32 vcc, 60, v4
	v_cndmask_b32_e64 v7, 0, 1, vcc
	v_lshlrev_b32_e32 v7, 2, v7
	v_add_lshl_u32 v7, v7, v1, 2
	s_waitcnt lgkmcnt(0)
	v_add_f16_e32 v5, v5, v0
	v_and_or_b32 v0, v0, s0, v5
	ds_bpermute_b32 v0, v7, v0
	v_cmp_gt_u32_e32 vcc, 62, v4
	v_cndmask_b32_e64 v7, 0, 1, vcc
	v_lshlrev_b32_e32 v7, 1, v7
	v_add_lshl_u32 v7, v7, v1, 2
	s_waitcnt lgkmcnt(0)
	v_add_f16_e32 v5, v5, v0
	v_and_or_b32 v0, v0, s0, v5
	ds_bpermute_b32 v7, v7, v0
	v_cmp_ne_u32_e32 vcc, 63, v4
	v_addc_co_u32_e32 v1, vcc, 0, v1, vcc
	v_lshlrev_b32_e32 v1, 2, v1
	s_waitcnt lgkmcnt(0)
	v_add_f16_e32 v0, v5, v7
	v_and_or_b32 v5, v7, s0, v0
	ds_bpermute_b32 v1, v1, v5
	v_cmp_eq_u32_e32 vcc, 0, v6
	s_waitcnt lgkmcnt(0)
	s_and_b64 exec, exec, vcc
	s_cbranch_execz .LBB519_7
; %bb.6:
	v_lshlrev_b64 v[2:3], 1, v[2:3]
	v_mov_b32_e32 v4, s9
	v_add_co_u32_e32 v2, vcc, s8, v2
	v_addc_co_u32_e32 v3, vcc, v4, v3, vcc
	v_add_f16_e32 v0, v0, v1
	global_store_short v[2:3], v0, off
.LBB519_7:
	s_endpgm
	.section	.rodata,"a",@progbits
	.p2align	6, 0x0
	.amdhsa_kernel _ZL28rocblas_dot_batched_4_kernelIlLi32ELi4ELb1EDF16_DF16_PKPKDF16_EviT5_lT_lS4_lS5_liPT4_
		.amdhsa_group_segment_fixed_size 0
		.amdhsa_private_segment_fixed_size 0
		.amdhsa_kernarg_size 88
		.amdhsa_user_sgpr_count 6
		.amdhsa_user_sgpr_private_segment_buffer 1
		.amdhsa_user_sgpr_dispatch_ptr 0
		.amdhsa_user_sgpr_queue_ptr 0
		.amdhsa_user_sgpr_kernarg_segment_ptr 1
		.amdhsa_user_sgpr_dispatch_id 0
		.amdhsa_user_sgpr_flat_scratch_init 0
		.amdhsa_user_sgpr_kernarg_preload_length 0
		.amdhsa_user_sgpr_kernarg_preload_offset 0
		.amdhsa_user_sgpr_private_segment_size 0
		.amdhsa_uses_dynamic_stack 0
		.amdhsa_system_sgpr_private_segment_wavefront_offset 0
		.amdhsa_system_sgpr_workgroup_id_x 1
		.amdhsa_system_sgpr_workgroup_id_y 0
		.amdhsa_system_sgpr_workgroup_id_z 0
		.amdhsa_system_sgpr_workgroup_info 0
		.amdhsa_system_vgpr_workitem_id 1
		.amdhsa_next_free_vgpr 20
		.amdhsa_next_free_sgpr 20
		.amdhsa_accum_offset 20
		.amdhsa_reserve_vcc 1
		.amdhsa_reserve_flat_scratch 0
		.amdhsa_float_round_mode_32 0
		.amdhsa_float_round_mode_16_64 0
		.amdhsa_float_denorm_mode_32 3
		.amdhsa_float_denorm_mode_16_64 3
		.amdhsa_dx10_clamp 1
		.amdhsa_ieee_mode 1
		.amdhsa_fp16_overflow 0
		.amdhsa_tg_split 0
		.amdhsa_exception_fp_ieee_invalid_op 0
		.amdhsa_exception_fp_denorm_src 0
		.amdhsa_exception_fp_ieee_div_zero 0
		.amdhsa_exception_fp_ieee_overflow 0
		.amdhsa_exception_fp_ieee_underflow 0
		.amdhsa_exception_fp_ieee_inexact 0
		.amdhsa_exception_int_div_zero 0
	.end_amdhsa_kernel
	.section	.text._ZL28rocblas_dot_batched_4_kernelIlLi32ELi4ELb1EDF16_DF16_PKPKDF16_EviT5_lT_lS4_lS5_liPT4_,"axG",@progbits,_ZL28rocblas_dot_batched_4_kernelIlLi32ELi4ELb1EDF16_DF16_PKPKDF16_EviT5_lT_lS4_lS5_liPT4_,comdat
.Lfunc_end519:
	.size	_ZL28rocblas_dot_batched_4_kernelIlLi32ELi4ELb1EDF16_DF16_PKPKDF16_EviT5_lT_lS4_lS5_liPT4_, .Lfunc_end519-_ZL28rocblas_dot_batched_4_kernelIlLi32ELi4ELb1EDF16_DF16_PKPKDF16_EviT5_lT_lS4_lS5_liPT4_
                                        ; -- End function
	.section	.AMDGPU.csdata,"",@progbits
; Kernel info:
; codeLenInByte = 700
; NumSgprs: 24
; NumVgprs: 20
; NumAgprs: 0
; TotalNumVgprs: 20
; ScratchSize: 0
; MemoryBound: 0
; FloatMode: 240
; IeeeMode: 1
; LDSByteSize: 0 bytes/workgroup (compile time only)
; SGPRBlocks: 2
; VGPRBlocks: 2
; NumSGPRsForWavesPerEU: 24
; NumVGPRsForWavesPerEU: 20
; AccumOffset: 20
; Occupancy: 8
; WaveLimiterHint : 0
; COMPUTE_PGM_RSRC2:SCRATCH_EN: 0
; COMPUTE_PGM_RSRC2:USER_SGPR: 6
; COMPUTE_PGM_RSRC2:TRAP_HANDLER: 0
; COMPUTE_PGM_RSRC2:TGID_X_EN: 1
; COMPUTE_PGM_RSRC2:TGID_Y_EN: 0
; COMPUTE_PGM_RSRC2:TGID_Z_EN: 0
; COMPUTE_PGM_RSRC2:TIDIG_COMP_CNT: 1
; COMPUTE_PGM_RSRC3_GFX90A:ACCUM_OFFSET: 4
; COMPUTE_PGM_RSRC3_GFX90A:TG_SPLIT: 0
	.section	.text._ZL28rocblas_dot_batched_4_kernelIlLi64ELi4ELb1EDF16_DF16_PKPKDF16_EviT5_lT_lS4_lS5_liPT4_,"axG",@progbits,_ZL28rocblas_dot_batched_4_kernelIlLi64ELi4ELb1EDF16_DF16_PKPKDF16_EviT5_lT_lS4_lS5_liPT4_,comdat
	.globl	_ZL28rocblas_dot_batched_4_kernelIlLi64ELi4ELb1EDF16_DF16_PKPKDF16_EviT5_lT_lS4_lS5_liPT4_ ; -- Begin function _ZL28rocblas_dot_batched_4_kernelIlLi64ELi4ELb1EDF16_DF16_PKPKDF16_EviT5_lT_lS4_lS5_liPT4_
	.p2align	8
	.type	_ZL28rocblas_dot_batched_4_kernelIlLi64ELi4ELb1EDF16_DF16_PKPKDF16_EviT5_lT_lS4_lS5_liPT4_,@function
_ZL28rocblas_dot_batched_4_kernelIlLi64ELi4ELb1EDF16_DF16_PKPKDF16_EviT5_lT_lS4_lS5_liPT4_: ; @_ZL28rocblas_dot_batched_4_kernelIlLi64ELi4ELb1EDF16_DF16_PKPKDF16_EviT5_lT_lS4_lS5_liPT4_
; %bb.0:
	s_load_dword s0, s[4:5], 0x48
	v_bfe_u32 v1, v0, 10, 10
	v_lshl_add_u32 v2, s6, 2, v1
	s_waitcnt lgkmcnt(0)
	v_cmp_gt_u32_e32 vcc, s0, v2
	s_and_saveexec_b64 s[0:1], vcc
	s_cbranch_execz .LBB520_7
; %bb.1:
	s_load_dword s14, s[4:5], 0x0
	s_load_dwordx2 s[8:9], s[4:5], 0x50
	v_mov_b32_e32 v3, 0
	v_and_b32_e32 v6, 0x3ff, v0
	v_mov_b32_e32 v7, v3
	s_waitcnt lgkmcnt(0)
	v_cmp_gt_i32_e32 vcc, s14, v6
	s_and_saveexec_b64 s[10:11], vcc
	s_cbranch_execz .LBB520_5
; %bb.2:
	s_load_dwordx2 s[6:7], s[4:5], 0x8
	s_load_dwordx2 s[12:13], s[4:5], 0x28
	v_lshlrev_b64 v[0:1], 3, v[2:3]
	s_load_dwordx4 s[0:3], s[4:5], 0x10
	s_waitcnt lgkmcnt(0)
	v_mov_b32_e32 v5, s7
	v_add_co_u32_e32 v4, vcc, s6, v0
	v_addc_co_u32_e32 v5, vcc, v5, v1, vcc
	global_load_dwordx2 v[4:5], v[4:5], off
	v_mov_b32_e32 v7, s13
	v_add_co_u32_e32 v0, vcc, s12, v0
	v_addc_co_u32_e32 v1, vcc, v7, v1, vcc
	global_load_dwordx2 v[10:11], v[0:1], off
	s_load_dwordx4 s[4:7], s[4:5], 0x30
	v_mad_u64_u32 v[0:1], s[16:17], s2, v6, 0
	v_mov_b32_e32 v14, v1
	s_lshl_b64 s[16:17], s[0:1], 1
	s_lshl_b64 s[0:1], s[2:3], 7
	s_waitcnt lgkmcnt(0)
	v_mad_u64_u32 v[12:13], s[18:19], s6, v6, 0
	v_mad_u64_u32 v[14:15], s[2:3], s3, v6, v[14:15]
	v_mov_b32_e32 v16, v13
	v_mov_b32_e32 v1, v14
	v_mad_u64_u32 v[16:17], s[2:3], s7, v6, v[16:17]
	v_lshlrev_b64 v[0:1], 1, v[0:1]
	v_mov_b32_e32 v18, s17
	v_mov_b32_e32 v13, v16
	v_add_co_u32_e32 v0, vcc, s16, v0
	s_lshl_b64 s[18:19], s[4:5], 1
	v_lshlrev_b64 v[12:13], 1, v[12:13]
	v_addc_co_u32_e32 v1, vcc, v1, v18, vcc
	v_mov_b32_e32 v19, s19
	v_add_co_u32_e32 v12, vcc, s18, v12
	v_addc_co_u32_e32 v13, vcc, v13, v19, vcc
	s_lshl_b64 s[4:5], s[6:7], 7
	s_mov_b64 s[12:13], 0
	v_mov_b32_e32 v7, 0
	v_mov_b32_e32 v8, s1
	;; [unrolled: 1-line block ×3, first 2 shown]
	s_waitcnt vmcnt(1)
	v_add_co_u32_e32 v0, vcc, v4, v0
	v_addc_co_u32_e32 v1, vcc, v5, v1, vcc
	s_waitcnt vmcnt(0)
	v_add_co_u32_e32 v4, vcc, v10, v12
	v_addc_co_u32_e32 v5, vcc, v11, v13, vcc
	v_mov_b32_e32 v10, v6
.LBB520_3:                              ; =>This Inner Loop Header: Depth=1
	global_load_ushort v11, v[0:1], off
	global_load_ushort v12, v[4:5], off
	v_add_co_u32_e32 v0, vcc, s0, v0
	v_addc_co_u32_e32 v1, vcc, v1, v8, vcc
	v_add_co_u32_e32 v4, vcc, s4, v4
	v_add_u32_e32 v10, 64, v10
	v_addc_co_u32_e32 v5, vcc, v5, v9, vcc
	v_cmp_le_i32_e32 vcc, s14, v10
	s_or_b64 s[12:13], vcc, s[12:13]
	s_waitcnt vmcnt(0)
	v_fma_f16 v7, v11, v12, v7
	s_andn2_b64 exec, exec, s[12:13]
	s_cbranch_execnz .LBB520_3
; %bb.4:
	s_or_b64 exec, exec, s[12:13]
.LBB520_5:
	s_or_b64 exec, exec, s[10:11]
	v_mbcnt_lo_u32_b32 v0, -1, 0
	v_mbcnt_hi_u32_b32 v1, -1, v0
	v_and_b32_e32 v4, 63, v1
	v_cmp_gt_u32_e32 vcc, 32, v4
	v_cndmask_b32_e64 v5, 0, 1, vcc
	v_lshlrev_b32_e32 v5, 5, v5
	v_and_b32_e32 v0, 0xffff, v7
	v_add_lshl_u32 v5, v5, v1, 2
	ds_bpermute_b32 v0, v5, v0
	v_cmp_gt_u32_e32 vcc, 48, v4
	s_mov_b32 s0, 0xffff0000
	s_waitcnt lgkmcnt(0)
	s_barrier
	v_add_f16_e32 v5, v7, v0
	v_cndmask_b32_e64 v7, 0, 1, vcc
	v_lshlrev_b32_e32 v7, 4, v7
	v_and_or_b32 v0, v0, s0, v5
	v_add_lshl_u32 v7, v7, v1, 2
	ds_bpermute_b32 v0, v7, v0
	v_cmp_gt_u32_e32 vcc, 56, v4
	v_cndmask_b32_e64 v7, 0, 1, vcc
	v_lshlrev_b32_e32 v7, 3, v7
	v_add_lshl_u32 v7, v7, v1, 2
	s_waitcnt lgkmcnt(0)
	v_add_f16_e32 v5, v5, v0
	v_and_or_b32 v0, v0, s0, v5
	ds_bpermute_b32 v0, v7, v0
	v_cmp_gt_u32_e32 vcc, 60, v4
	v_cndmask_b32_e64 v7, 0, 1, vcc
	v_lshlrev_b32_e32 v7, 2, v7
	v_add_lshl_u32 v7, v7, v1, 2
	s_waitcnt lgkmcnt(0)
	v_add_f16_e32 v5, v5, v0
	v_and_or_b32 v0, v0, s0, v5
	;; [unrolled: 8-line block ×3, first 2 shown]
	ds_bpermute_b32 v7, v7, v0
	v_cmp_ne_u32_e32 vcc, 63, v4
	v_addc_co_u32_e32 v1, vcc, 0, v1, vcc
	v_lshlrev_b32_e32 v1, 2, v1
	s_waitcnt lgkmcnt(0)
	v_add_f16_e32 v0, v5, v7
	v_and_or_b32 v5, v7, s0, v0
	ds_bpermute_b32 v1, v1, v5
	v_cmp_eq_u32_e32 vcc, 0, v6
	s_waitcnt lgkmcnt(0)
	s_and_b64 exec, exec, vcc
	s_cbranch_execz .LBB520_7
; %bb.6:
	v_lshlrev_b64 v[2:3], 1, v[2:3]
	v_mov_b32_e32 v4, s9
	v_add_co_u32_e32 v2, vcc, s8, v2
	v_addc_co_u32_e32 v3, vcc, v4, v3, vcc
	v_add_f16_e32 v0, v0, v1
	global_store_short v[2:3], v0, off
.LBB520_7:
	s_endpgm
	.section	.rodata,"a",@progbits
	.p2align	6, 0x0
	.amdhsa_kernel _ZL28rocblas_dot_batched_4_kernelIlLi64ELi4ELb1EDF16_DF16_PKPKDF16_EviT5_lT_lS4_lS5_liPT4_
		.amdhsa_group_segment_fixed_size 0
		.amdhsa_private_segment_fixed_size 0
		.amdhsa_kernarg_size 88
		.amdhsa_user_sgpr_count 6
		.amdhsa_user_sgpr_private_segment_buffer 1
		.amdhsa_user_sgpr_dispatch_ptr 0
		.amdhsa_user_sgpr_queue_ptr 0
		.amdhsa_user_sgpr_kernarg_segment_ptr 1
		.amdhsa_user_sgpr_dispatch_id 0
		.amdhsa_user_sgpr_flat_scratch_init 0
		.amdhsa_user_sgpr_kernarg_preload_length 0
		.amdhsa_user_sgpr_kernarg_preload_offset 0
		.amdhsa_user_sgpr_private_segment_size 0
		.amdhsa_uses_dynamic_stack 0
		.amdhsa_system_sgpr_private_segment_wavefront_offset 0
		.amdhsa_system_sgpr_workgroup_id_x 1
		.amdhsa_system_sgpr_workgroup_id_y 0
		.amdhsa_system_sgpr_workgroup_id_z 0
		.amdhsa_system_sgpr_workgroup_info 0
		.amdhsa_system_vgpr_workitem_id 1
		.amdhsa_next_free_vgpr 20
		.amdhsa_next_free_sgpr 20
		.amdhsa_accum_offset 20
		.amdhsa_reserve_vcc 1
		.amdhsa_reserve_flat_scratch 0
		.amdhsa_float_round_mode_32 0
		.amdhsa_float_round_mode_16_64 0
		.amdhsa_float_denorm_mode_32 3
		.amdhsa_float_denorm_mode_16_64 3
		.amdhsa_dx10_clamp 1
		.amdhsa_ieee_mode 1
		.amdhsa_fp16_overflow 0
		.amdhsa_tg_split 0
		.amdhsa_exception_fp_ieee_invalid_op 0
		.amdhsa_exception_fp_denorm_src 0
		.amdhsa_exception_fp_ieee_div_zero 0
		.amdhsa_exception_fp_ieee_overflow 0
		.amdhsa_exception_fp_ieee_underflow 0
		.amdhsa_exception_fp_ieee_inexact 0
		.amdhsa_exception_int_div_zero 0
	.end_amdhsa_kernel
	.section	.text._ZL28rocblas_dot_batched_4_kernelIlLi64ELi4ELb1EDF16_DF16_PKPKDF16_EviT5_lT_lS4_lS5_liPT4_,"axG",@progbits,_ZL28rocblas_dot_batched_4_kernelIlLi64ELi4ELb1EDF16_DF16_PKPKDF16_EviT5_lT_lS4_lS5_liPT4_,comdat
.Lfunc_end520:
	.size	_ZL28rocblas_dot_batched_4_kernelIlLi64ELi4ELb1EDF16_DF16_PKPKDF16_EviT5_lT_lS4_lS5_liPT4_, .Lfunc_end520-_ZL28rocblas_dot_batched_4_kernelIlLi64ELi4ELb1EDF16_DF16_PKPKDF16_EviT5_lT_lS4_lS5_liPT4_
                                        ; -- End function
	.section	.AMDGPU.csdata,"",@progbits
; Kernel info:
; codeLenInByte = 748
; NumSgprs: 24
; NumVgprs: 20
; NumAgprs: 0
; TotalNumVgprs: 20
; ScratchSize: 0
; MemoryBound: 0
; FloatMode: 240
; IeeeMode: 1
; LDSByteSize: 0 bytes/workgroup (compile time only)
; SGPRBlocks: 2
; VGPRBlocks: 2
; NumSGPRsForWavesPerEU: 24
; NumVGPRsForWavesPerEU: 20
; AccumOffset: 20
; Occupancy: 8
; WaveLimiterHint : 0
; COMPUTE_PGM_RSRC2:SCRATCH_EN: 0
; COMPUTE_PGM_RSRC2:USER_SGPR: 6
; COMPUTE_PGM_RSRC2:TRAP_HANDLER: 0
; COMPUTE_PGM_RSRC2:TGID_X_EN: 1
; COMPUTE_PGM_RSRC2:TGID_Y_EN: 0
; COMPUTE_PGM_RSRC2:TGID_Z_EN: 0
; COMPUTE_PGM_RSRC2:TIDIG_COMP_CNT: 1
; COMPUTE_PGM_RSRC3_GFX90A:ACCUM_OFFSET: 4
; COMPUTE_PGM_RSRC3_GFX90A:TG_SPLIT: 0
	.section	.text._ZL18rocblas_dot_kernelIlLb1ELi1024ELi32ELb1EDF16_PKPKDF16_DF16_EviT5_lT_lS4_lS5_liPT6_PT4_,"axG",@progbits,_ZL18rocblas_dot_kernelIlLb1ELi1024ELi32ELb1EDF16_PKPKDF16_DF16_EviT5_lT_lS4_lS5_liPT6_PT4_,comdat
	.globl	_ZL18rocblas_dot_kernelIlLb1ELi1024ELi32ELb1EDF16_PKPKDF16_DF16_EviT5_lT_lS4_lS5_liPT6_PT4_ ; -- Begin function _ZL18rocblas_dot_kernelIlLb1ELi1024ELi32ELb1EDF16_PKPKDF16_DF16_EviT5_lT_lS4_lS5_liPT6_PT4_
	.p2align	8
	.type	_ZL18rocblas_dot_kernelIlLb1ELi1024ELi32ELb1EDF16_PKPKDF16_DF16_EviT5_lT_lS4_lS5_liPT6_PT4_,@function
_ZL18rocblas_dot_kernelIlLb1ELi1024ELi32ELb1EDF16_PKPKDF16_DF16_EviT5_lT_lS4_lS5_liPT6_PT4_: ; @_ZL18rocblas_dot_kernelIlLb1ELi1024ELi32ELb1EDF16_PKPKDF16_DF16_EviT5_lT_lS4_lS5_liPT6_PT4_
; %bb.0:
	s_load_dword s16, s[4:5], 0x0
	s_load_dwordx2 s[12:13], s[4:5], 0x58
	s_mov_b32 s6, s7
	s_mov_b32 s7, 0
	v_mov_b32_e32 v6, 0
	s_waitcnt lgkmcnt(0)
	v_cmp_gt_i32_e32 vcc, s16, v0
	s_and_saveexec_b64 s[14:15], vcc
	s_cbranch_execz .LBB521_4
; %bb.1:
	s_load_dwordx2 s[18:19], s[4:5], 0x8
	s_load_dwordx4 s[8:11], s[4:5], 0x10
	s_load_dwordx2 s[20:21], s[4:5], 0x28
	s_load_dwordx4 s[0:3], s[4:5], 0x30
	s_lshl_b64 s[22:23], s[6:7], 3
	s_waitcnt lgkmcnt(0)
	s_add_u32 s18, s18, s22
	s_addc_u32 s19, s19, s23
	s_load_dword s17, s[4:5], 0x60
	s_load_dwordx2 s[24:25], s[18:19], 0x0
	s_add_u32 s4, s20, s22
	s_addc_u32 s5, s21, s23
	s_load_dwordx2 s[18:19], s[4:5], 0x0
	v_mad_u64_u32 v[2:3], s[4:5], s10, v0, 0
	v_mov_b32_e32 v4, v3
	v_mad_u64_u32 v[4:5], s[4:5], s11, v0, v[4:5]
	s_waitcnt lgkmcnt(0)
	s_lshl_b32 s17, s17, 10
	s_lshl_b64 s[4:5], s[8:9], 1
	v_mov_b32_e32 v3, v4
	s_add_u32 s4, s24, s4
	v_lshlrev_b64 v[2:3], 1, v[2:3]
	s_addc_u32 s5, s25, s5
	s_ashr_i32 s20, s17, 31
	v_mov_b32_e32 v4, s5
	v_add_co_u32_e32 v2, vcc, s4, v2
	s_mul_i32 s4, s10, s20
	s_mul_hi_u32 s5, s10, s17
	v_addc_co_u32_e32 v3, vcc, v4, v3, vcc
	s_add_i32 s4, s5, s4
	s_mul_i32 s5, s11, s17
	v_mad_u64_u32 v[4:5], s[8:9], s2, v0, 0
	s_add_i32 s5, s4, s5
	s_mul_i32 s4, s10, s17
	v_mov_b32_e32 v6, v5
	s_lshl_b64 s[4:5], s[4:5], 1
	v_mad_u64_u32 v[6:7], s[8:9], s3, v0, v[6:7]
	s_lshl_b64 s[0:1], s[0:1], 1
	v_mov_b32_e32 v5, v6
	s_add_u32 s0, s18, s0
	v_lshlrev_b64 v[4:5], 1, v[4:5]
	s_addc_u32 s1, s19, s1
	v_mov_b32_e32 v6, s1
	v_add_co_u32_e32 v4, vcc, s0, v4
	s_mul_i32 s0, s2, s20
	s_mul_hi_u32 s1, s2, s17
	s_add_i32 s0, s1, s0
	s_mul_i32 s1, s3, s17
	s_add_i32 s1, s0, s1
	s_mul_i32 s0, s2, s17
	s_lshl_b64 s[8:9], s[0:1], 1
	v_or_b32_e32 v1, s17, v0
	v_addc_co_u32_e32 v5, vcc, v6, v5, vcc
	s_mov_b64 s[2:3], 0
	v_mov_b32_e32 v6, 0
	v_mov_b32_e32 v7, s5
	;; [unrolled: 1-line block ×3, first 2 shown]
	s_mov_b32 s5, s7
.LBB521_2:                              ; =>This Inner Loop Header: Depth=1
	global_load_ushort v9, v[4:5], off
	global_load_ushort v10, v[2:3], off
	v_add_co_u32_e64 v2, s[0:1], s4, v2
	v_addc_co_u32_e64 v3, s[0:1], v3, v7, s[0:1]
	s_add_i32 s9, s5, 1
	v_add_co_u32_e64 v4, s[0:1], s8, v4
	v_addc_co_u32_e64 v5, s[0:1], v5, v8, s[0:1]
	s_cmp_gt_u32 s5, 30
	v_cmp_le_i32_e32 vcc, s16, v1
	s_cselect_b64 s[0:1], -1, 0
	s_or_b64 s[0:1], s[0:1], vcc
	s_and_b64 s[0:1], exec, s[0:1]
	v_add_u32_e32 v1, s17, v1
	s_mov_b32 s5, s9
	s_or_b64 s[2:3], s[0:1], s[2:3]
	s_waitcnt vmcnt(0)
	v_fma_f16 v6, v9, v10, v6
	s_andn2_b64 exec, exec, s[2:3]
	s_cbranch_execnz .LBB521_2
; %bb.3:
	s_or_b64 exec, exec, s[2:3]
.LBB521_4:
	s_or_b64 exec, exec, s[14:15]
	v_and_b32_e32 v2, 63, v0
	v_cmp_gt_u32_e32 vcc, 64, v0
	v_lshlrev_b32_e32 v1, 1, v2
	s_and_saveexec_b64 s[0:1], vcc
	s_cbranch_execz .LBB521_6
; %bb.5:
	v_mov_b32_e32 v3, 0
	ds_write_b16 v1, v3
.LBB521_6:
	s_or_b64 exec, exec, s[0:1]
	v_mbcnt_lo_u32_b32 v3, -1, 0
	v_mbcnt_hi_u32_b32 v8, -1, v3
	v_and_b32_e32 v9, 63, v8
	v_cmp_gt_u32_e64 s[0:1], 32, v9
	v_cndmask_b32_e64 v4, 0, 1, s[0:1]
	v_lshlrev_b32_e32 v4, 5, v4
	v_and_b32_e32 v3, 0xffff, v6
	v_add_lshl_u32 v4, v4, v8, 2
	ds_bpermute_b32 v3, v4, v3
	v_cmp_gt_u32_e64 s[0:1], 48, v9
	v_cndmask_b32_e64 v5, 0, 1, s[0:1]
	s_mov_b32 s2, 0xffff0000
	v_lshlrev_b32_e32 v5, 4, v5
	s_waitcnt lgkmcnt(0)
	v_add_f16_e32 v4, v6, v3
	v_and_or_b32 v3, v3, s2, v4
	v_add_lshl_u32 v5, v5, v8, 2
	ds_bpermute_b32 v3, v5, v3
	v_cmp_gt_u32_e64 s[0:1], 56, v9
	s_waitcnt lgkmcnt(0)
	s_barrier
	v_add_f16_e32 v4, v4, v3
	v_and_or_b32 v5, v3, s2, v4
	v_cndmask_b32_e64 v3, 0, 1, s[0:1]
	v_lshlrev_b32_e32 v3, 3, v3
	v_add_lshl_u32 v3, v3, v8, 2
	ds_bpermute_b32 v5, v3, v5
	v_cmp_gt_u32_e64 s[0:1], 60, v9
	s_waitcnt lgkmcnt(0)
	v_add_f16_e32 v6, v4, v5
	v_cndmask_b32_e64 v4, 0, 1, s[0:1]
	v_lshlrev_b32_e32 v4, 2, v4
	v_and_or_b32 v5, v5, s2, v6
	v_add_lshl_u32 v4, v4, v8, 2
	ds_bpermute_b32 v5, v4, v5
	v_cmp_gt_u32_e64 s[0:1], 62, v9
	s_waitcnt lgkmcnt(0)
	v_add_f16_e32 v6, v6, v5
	v_and_or_b32 v7, v5, s2, v6
	v_cndmask_b32_e64 v5, 0, 1, s[0:1]
	v_lshlrev_b32_e32 v5, 1, v5
	v_add_lshl_u32 v5, v5, v8, 2
	ds_bpermute_b32 v10, v5, v7
	v_cmp_ne_u32_e64 s[0:1], 63, v9
	s_waitcnt lgkmcnt(0)
	v_add_f16_e32 v7, v6, v10
	v_addc_co_u32_e64 v6, s[0:1], 0, v8, s[0:1]
	v_and_or_b32 v10, v10, s2, v7
	v_lshlrev_b32_e32 v6, 2, v6
	ds_bpermute_b32 v8, v6, v10
	v_cmp_eq_u32_e64 s[0:1], 0, v2
	s_and_saveexec_b64 s[2:3], s[0:1]
	s_cbranch_execz .LBB521_8
; %bb.7:
	s_waitcnt lgkmcnt(0)
	v_add_f16_e32 v2, v7, v8
	v_lshrrev_b32_e32 v7, 5, v0
	v_and_b32_e32 v7, 30, v7
	ds_write_b16 v7, v2
.LBB521_8:
	s_or_b64 exec, exec, s[2:3]
	v_cmp_gt_u32_e64 s[0:1], 16, v0
	v_mov_b32_e32 v2, 0
	s_waitcnt lgkmcnt(0)
	s_barrier
	s_and_saveexec_b64 s[2:3], s[0:1]
	s_cbranch_execnz .LBB521_12
; %bb.9:
	s_or_b64 exec, exec, s[2:3]
	s_and_saveexec_b64 s[0:1], vcc
	s_cbranch_execnz .LBB521_13
.LBB521_10:
	s_or_b64 exec, exec, s[0:1]
	v_cmp_eq_u32_e32 vcc, 0, v0
	s_and_saveexec_b64 s[0:1], vcc
	s_cbranch_execnz .LBB521_14
.LBB521_11:
	s_endpgm
.LBB521_12:
	ds_read_u16 v2, v1
	s_or_b64 exec, exec, s[2:3]
	s_and_saveexec_b64 s[0:1], vcc
	s_cbranch_execz .LBB521_10
.LBB521_13:
	s_waitcnt lgkmcnt(0)
	v_and_b32_e32 v1, 0xffff, v2
	ds_bpermute_b32 v1, v3, v1
	s_mov_b32 s2, 0xffff0000
	s_waitcnt lgkmcnt(0)
	v_add_f16_e32 v2, v2, v1
	v_and_or_b32 v1, v1, s2, v2
	ds_bpermute_b32 v1, v4, v1
	s_waitcnt lgkmcnt(0)
	v_add_f16_e32 v2, v2, v1
	v_and_or_b32 v1, v1, s2, v2
	ds_bpermute_b32 v1, v5, v1
	;; [unrolled: 4-line block ×3, first 2 shown]
	s_waitcnt lgkmcnt(0)
	v_add_f16_e32 v2, v2, v1
	s_or_b64 exec, exec, s[0:1]
	v_cmp_eq_u32_e32 vcc, 0, v0
	s_and_saveexec_b64 s[0:1], vcc
	s_cbranch_execz .LBB521_11
.LBB521_14:
	s_lshl_b64 s[0:1], s[6:7], 1
	s_add_u32 s0, s12, s0
	s_addc_u32 s1, s13, s1
	v_mov_b32_e32 v0, 0
	s_waitcnt lgkmcnt(0)
	global_store_short v0, v2, s[0:1]
	s_endpgm
	.section	.rodata,"a",@progbits
	.p2align	6, 0x0
	.amdhsa_kernel _ZL18rocblas_dot_kernelIlLb1ELi1024ELi32ELb1EDF16_PKPKDF16_DF16_EviT5_lT_lS4_lS5_liPT6_PT4_
		.amdhsa_group_segment_fixed_size 128
		.amdhsa_private_segment_fixed_size 0
		.amdhsa_kernarg_size 352
		.amdhsa_user_sgpr_count 6
		.amdhsa_user_sgpr_private_segment_buffer 1
		.amdhsa_user_sgpr_dispatch_ptr 0
		.amdhsa_user_sgpr_queue_ptr 0
		.amdhsa_user_sgpr_kernarg_segment_ptr 1
		.amdhsa_user_sgpr_dispatch_id 0
		.amdhsa_user_sgpr_flat_scratch_init 0
		.amdhsa_user_sgpr_kernarg_preload_length 0
		.amdhsa_user_sgpr_kernarg_preload_offset 0
		.amdhsa_user_sgpr_private_segment_size 0
		.amdhsa_uses_dynamic_stack 0
		.amdhsa_system_sgpr_private_segment_wavefront_offset 0
		.amdhsa_system_sgpr_workgroup_id_x 1
		.amdhsa_system_sgpr_workgroup_id_y 0
		.amdhsa_system_sgpr_workgroup_id_z 1
		.amdhsa_system_sgpr_workgroup_info 0
		.amdhsa_system_vgpr_workitem_id 0
		.amdhsa_next_free_vgpr 11
		.amdhsa_next_free_sgpr 26
		.amdhsa_accum_offset 12
		.amdhsa_reserve_vcc 1
		.amdhsa_reserve_flat_scratch 0
		.amdhsa_float_round_mode_32 0
		.amdhsa_float_round_mode_16_64 0
		.amdhsa_float_denorm_mode_32 3
		.amdhsa_float_denorm_mode_16_64 3
		.amdhsa_dx10_clamp 1
		.amdhsa_ieee_mode 1
		.amdhsa_fp16_overflow 0
		.amdhsa_tg_split 0
		.amdhsa_exception_fp_ieee_invalid_op 0
		.amdhsa_exception_fp_denorm_src 0
		.amdhsa_exception_fp_ieee_div_zero 0
		.amdhsa_exception_fp_ieee_overflow 0
		.amdhsa_exception_fp_ieee_underflow 0
		.amdhsa_exception_fp_ieee_inexact 0
		.amdhsa_exception_int_div_zero 0
	.end_amdhsa_kernel
	.section	.text._ZL18rocblas_dot_kernelIlLb1ELi1024ELi32ELb1EDF16_PKPKDF16_DF16_EviT5_lT_lS4_lS5_liPT6_PT4_,"axG",@progbits,_ZL18rocblas_dot_kernelIlLb1ELi1024ELi32ELb1EDF16_PKPKDF16_DF16_EviT5_lT_lS4_lS5_liPT6_PT4_,comdat
.Lfunc_end521:
	.size	_ZL18rocblas_dot_kernelIlLb1ELi1024ELi32ELb1EDF16_PKPKDF16_DF16_EviT5_lT_lS4_lS5_liPT6_PT4_, .Lfunc_end521-_ZL18rocblas_dot_kernelIlLb1ELi1024ELi32ELb1EDF16_PKPKDF16_DF16_EviT5_lT_lS4_lS5_liPT6_PT4_
                                        ; -- End function
	.section	.AMDGPU.csdata,"",@progbits
; Kernel info:
; codeLenInByte = 1084
; NumSgprs: 30
; NumVgprs: 11
; NumAgprs: 0
; TotalNumVgprs: 11
; ScratchSize: 0
; MemoryBound: 0
; FloatMode: 240
; IeeeMode: 1
; LDSByteSize: 128 bytes/workgroup (compile time only)
; SGPRBlocks: 3
; VGPRBlocks: 1
; NumSGPRsForWavesPerEU: 30
; NumVGPRsForWavesPerEU: 11
; AccumOffset: 12
; Occupancy: 8
; WaveLimiterHint : 0
; COMPUTE_PGM_RSRC2:SCRATCH_EN: 0
; COMPUTE_PGM_RSRC2:USER_SGPR: 6
; COMPUTE_PGM_RSRC2:TRAP_HANDLER: 0
; COMPUTE_PGM_RSRC2:TGID_X_EN: 1
; COMPUTE_PGM_RSRC2:TGID_Y_EN: 0
; COMPUTE_PGM_RSRC2:TGID_Z_EN: 1
; COMPUTE_PGM_RSRC2:TIDIG_COMP_CNT: 0
; COMPUTE_PGM_RSRC3_GFX90A:ACCUM_OFFSET: 2
; COMPUTE_PGM_RSRC3_GFX90A:TG_SPLIT: 0
	.section	.text._ZL24rocblas_dot_kernel_magsqIlLb1ELi1024ELi32ELb1EDF16_PKPKDF16_DF16_EviT5_lT_liPT6_PT4_,"axG",@progbits,_ZL24rocblas_dot_kernel_magsqIlLb1ELi1024ELi32ELb1EDF16_PKPKDF16_DF16_EviT5_lT_liPT6_PT4_,comdat
	.globl	_ZL24rocblas_dot_kernel_magsqIlLb1ELi1024ELi32ELb1EDF16_PKPKDF16_DF16_EviT5_lT_liPT6_PT4_ ; -- Begin function _ZL24rocblas_dot_kernel_magsqIlLb1ELi1024ELi32ELb1EDF16_PKPKDF16_DF16_EviT5_lT_liPT6_PT4_
	.p2align	8
	.type	_ZL24rocblas_dot_kernel_magsqIlLb1ELi1024ELi32ELb1EDF16_PKPKDF16_DF16_EviT5_lT_liPT6_PT4_,@function
_ZL24rocblas_dot_kernel_magsqIlLb1ELi1024ELi32ELb1EDF16_PKPKDF16_DF16_EviT5_lT_liPT6_PT4_: ; @_ZL24rocblas_dot_kernel_magsqIlLb1ELi1024ELi32ELb1EDF16_PKPKDF16_DF16_EviT5_lT_liPT6_PT4_
; %bb.0:
	s_mov_b32 s2, s7
	s_load_dword s12, s[4:5], 0x0
	s_load_dwordx2 s[6:7], s[4:5], 0x38
	s_mov_b32 s3, 0
	v_mov_b32_e32 v4, 0
	s_waitcnt lgkmcnt(0)
	v_cmp_gt_i32_e32 vcc, s12, v0
	s_and_saveexec_b64 s[8:9], vcc
	s_cbranch_execz .LBB522_4
; %bb.1:
	s_load_dwordx2 s[0:1], s[4:5], 0x8
	s_load_dword s10, s[4:5], 0x40
	s_load_dwordx4 s[16:19], s[4:5], 0x10
	s_lshl_b64 s[4:5], s[2:3], 3
	s_waitcnt lgkmcnt(0)
	s_add_u32 s0, s0, s4
	s_addc_u32 s1, s1, s5
	s_load_dwordx2 s[0:1], s[0:1], 0x0
	v_mad_u64_u32 v[2:3], s[4:5], s18, v0, 0
	v_mov_b32_e32 v4, v3
	v_mad_u64_u32 v[4:5], s[4:5], s19, v0, v[4:5]
	s_lshl_b32 s13, s10, 10
	v_mov_b32_e32 v3, v4
	s_lshl_b64 s[4:5], s[16:17], 1
	v_lshlrev_b64 v[2:3], 1, v[2:3]
	s_waitcnt lgkmcnt(0)
	s_add_u32 s0, s0, s4
	s_addc_u32 s1, s1, s5
	v_add_co_u32_e32 v2, vcc, s0, v2
	s_ashr_i32 s0, s13, 31
	v_mov_b32_e32 v4, s1
	s_mul_i32 s0, s18, s0
	s_mul_hi_u32 s1, s18, s13
	s_add_i32 s0, s1, s0
	s_mul_i32 s1, s19, s13
	s_add_i32 s1, s0, s1
	s_mul_i32 s0, s18, s13
	s_lshl_b64 s[10:11], s[0:1], 1
	v_or_b32_e32 v1, s13, v0
	v_addc_co_u32_e32 v3, vcc, v4, v3, vcc
	s_mov_b64 s[4:5], 0
	v_mov_b32_e32 v4, 0
	v_mov_b32_e32 v5, s11
	s_mov_b32 s11, s3
.LBB522_2:                              ; =>This Inner Loop Header: Depth=1
	global_load_ushort v6, v[2:3], off
	s_add_i32 s14, s11, 1
	v_add_co_u32_e64 v2, s[0:1], s10, v2
	v_addc_co_u32_e64 v3, s[0:1], v3, v5, s[0:1]
	s_cmp_gt_u32 s11, 30
	v_cmp_le_i32_e32 vcc, s12, v1
	s_cselect_b64 s[0:1], -1, 0
	s_or_b64 s[0:1], s[0:1], vcc
	s_and_b64 s[0:1], exec, s[0:1]
	v_add_u32_e32 v1, s13, v1
	s_mov_b32 s11, s14
	s_or_b64 s[4:5], s[0:1], s[4:5]
	s_waitcnt vmcnt(0)
	v_fma_f16 v4, v6, v6, v4
	s_andn2_b64 exec, exec, s[4:5]
	s_cbranch_execnz .LBB522_2
; %bb.3:
	s_or_b64 exec, exec, s[4:5]
.LBB522_4:
	s_or_b64 exec, exec, s[8:9]
	v_and_b32_e32 v2, 63, v0
	v_cmp_gt_u32_e32 vcc, 64, v0
	v_lshlrev_b32_e32 v1, 1, v2
	s_and_saveexec_b64 s[0:1], vcc
	s_cbranch_execz .LBB522_6
; %bb.5:
	v_mov_b32_e32 v3, 0
	ds_write_b16 v1, v3
.LBB522_6:
	s_or_b64 exec, exec, s[0:1]
	v_mbcnt_lo_u32_b32 v3, -1, 0
	v_mbcnt_hi_u32_b32 v6, -1, v3
	v_and_b32_e32 v8, 63, v6
	v_cmp_gt_u32_e64 s[0:1], 32, v8
	v_cndmask_b32_e64 v5, 0, 1, s[0:1]
	v_lshlrev_b32_e32 v5, 5, v5
	v_and_b32_e32 v3, 0xffff, v4
	v_add_lshl_u32 v5, v5, v6, 2
	ds_bpermute_b32 v3, v5, v3
	v_cmp_gt_u32_e64 s[0:1], 48, v8
	v_cndmask_b32_e64 v5, 0, 1, s[0:1]
	s_mov_b32 s4, 0xffff0000
	v_lshlrev_b32_e32 v5, 4, v5
	s_waitcnt lgkmcnt(0)
	v_add_f16_e32 v4, v4, v3
	v_and_or_b32 v3, v3, s4, v4
	v_add_lshl_u32 v5, v5, v6, 2
	ds_bpermute_b32 v3, v5, v3
	v_cmp_gt_u32_e64 s[0:1], 56, v8
	s_waitcnt lgkmcnt(0)
	s_barrier
	v_add_f16_e32 v4, v4, v3
	v_and_or_b32 v5, v3, s4, v4
	v_cndmask_b32_e64 v3, 0, 1, s[0:1]
	v_lshlrev_b32_e32 v3, 3, v3
	v_add_lshl_u32 v3, v3, v6, 2
	ds_bpermute_b32 v5, v3, v5
	v_cmp_gt_u32_e64 s[0:1], 60, v8
	s_waitcnt lgkmcnt(0)
	v_add_f16_e32 v7, v4, v5
	v_cndmask_b32_e64 v4, 0, 1, s[0:1]
	v_lshlrev_b32_e32 v4, 2, v4
	v_and_or_b32 v5, v5, s4, v7
	v_add_lshl_u32 v4, v4, v6, 2
	ds_bpermute_b32 v5, v4, v5
	v_cmp_gt_u32_e64 s[0:1], 62, v8
	s_waitcnt lgkmcnt(0)
	v_add_f16_e32 v7, v7, v5
	v_and_or_b32 v9, v5, s4, v7
	v_cndmask_b32_e64 v5, 0, 1, s[0:1]
	v_lshlrev_b32_e32 v5, 1, v5
	v_add_lshl_u32 v5, v5, v6, 2
	ds_bpermute_b32 v9, v5, v9
	v_cmp_ne_u32_e64 s[0:1], 63, v8
	v_addc_co_u32_e64 v6, s[0:1], 0, v6, s[0:1]
	v_lshlrev_b32_e32 v6, 2, v6
	s_waitcnt lgkmcnt(0)
	v_add_f16_e32 v7, v7, v9
	v_and_or_b32 v9, v9, s4, v7
	ds_bpermute_b32 v8, v6, v9
	v_cmp_eq_u32_e64 s[0:1], 0, v2
	s_and_saveexec_b64 s[4:5], s[0:1]
	s_cbranch_execz .LBB522_8
; %bb.7:
	s_waitcnt lgkmcnt(0)
	v_add_f16_e32 v2, v7, v8
	v_lshrrev_b32_e32 v7, 5, v0
	v_and_b32_e32 v7, 30, v7
	ds_write_b16 v7, v2
.LBB522_8:
	s_or_b64 exec, exec, s[4:5]
	v_cmp_gt_u32_e64 s[0:1], 16, v0
	v_mov_b32_e32 v2, 0
	s_waitcnt lgkmcnt(0)
	s_barrier
	s_and_saveexec_b64 s[4:5], s[0:1]
	s_cbranch_execnz .LBB522_12
; %bb.9:
	s_or_b64 exec, exec, s[4:5]
	s_and_saveexec_b64 s[0:1], vcc
	s_cbranch_execnz .LBB522_13
.LBB522_10:
	s_or_b64 exec, exec, s[0:1]
	v_cmp_eq_u32_e32 vcc, 0, v0
	s_and_saveexec_b64 s[0:1], vcc
	s_cbranch_execnz .LBB522_14
.LBB522_11:
	s_endpgm
.LBB522_12:
	ds_read_u16 v2, v1
	s_or_b64 exec, exec, s[4:5]
	s_and_saveexec_b64 s[0:1], vcc
	s_cbranch_execz .LBB522_10
.LBB522_13:
	s_waitcnt lgkmcnt(0)
	v_and_b32_e32 v1, 0xffff, v2
	ds_bpermute_b32 v1, v3, v1
	s_mov_b32 s4, 0xffff0000
	s_waitcnt lgkmcnt(0)
	v_add_f16_e32 v2, v2, v1
	v_and_or_b32 v1, v1, s4, v2
	ds_bpermute_b32 v1, v4, v1
	s_waitcnt lgkmcnt(0)
	v_add_f16_e32 v2, v2, v1
	v_and_or_b32 v1, v1, s4, v2
	ds_bpermute_b32 v1, v5, v1
	;; [unrolled: 4-line block ×3, first 2 shown]
	s_waitcnt lgkmcnt(0)
	v_add_f16_e32 v2, v2, v1
	s_or_b64 exec, exec, s[0:1]
	v_cmp_eq_u32_e32 vcc, 0, v0
	s_and_saveexec_b64 s[0:1], vcc
	s_cbranch_execz .LBB522_11
.LBB522_14:
	s_lshl_b64 s[0:1], s[2:3], 1
	s_add_u32 s0, s6, s0
	s_addc_u32 s1, s7, s1
	v_mov_b32_e32 v0, 0
	s_waitcnt lgkmcnt(0)
	global_store_short v0, v2, s[0:1]
	s_endpgm
	.section	.rodata,"a",@progbits
	.p2align	6, 0x0
	.amdhsa_kernel _ZL24rocblas_dot_kernel_magsqIlLb1ELi1024ELi32ELb1EDF16_PKPKDF16_DF16_EviT5_lT_liPT6_PT4_
		.amdhsa_group_segment_fixed_size 128
		.amdhsa_private_segment_fixed_size 0
		.amdhsa_kernarg_size 320
		.amdhsa_user_sgpr_count 6
		.amdhsa_user_sgpr_private_segment_buffer 1
		.amdhsa_user_sgpr_dispatch_ptr 0
		.amdhsa_user_sgpr_queue_ptr 0
		.amdhsa_user_sgpr_kernarg_segment_ptr 1
		.amdhsa_user_sgpr_dispatch_id 0
		.amdhsa_user_sgpr_flat_scratch_init 0
		.amdhsa_user_sgpr_kernarg_preload_length 0
		.amdhsa_user_sgpr_kernarg_preload_offset 0
		.amdhsa_user_sgpr_private_segment_size 0
		.amdhsa_uses_dynamic_stack 0
		.amdhsa_system_sgpr_private_segment_wavefront_offset 0
		.amdhsa_system_sgpr_workgroup_id_x 1
		.amdhsa_system_sgpr_workgroup_id_y 0
		.amdhsa_system_sgpr_workgroup_id_z 1
		.amdhsa_system_sgpr_workgroup_info 0
		.amdhsa_system_vgpr_workitem_id 0
		.amdhsa_next_free_vgpr 10
		.amdhsa_next_free_sgpr 20
		.amdhsa_accum_offset 12
		.amdhsa_reserve_vcc 1
		.amdhsa_reserve_flat_scratch 0
		.amdhsa_float_round_mode_32 0
		.amdhsa_float_round_mode_16_64 0
		.amdhsa_float_denorm_mode_32 3
		.amdhsa_float_denorm_mode_16_64 3
		.amdhsa_dx10_clamp 1
		.amdhsa_ieee_mode 1
		.amdhsa_fp16_overflow 0
		.amdhsa_tg_split 0
		.amdhsa_exception_fp_ieee_invalid_op 0
		.amdhsa_exception_fp_denorm_src 0
		.amdhsa_exception_fp_ieee_div_zero 0
		.amdhsa_exception_fp_ieee_overflow 0
		.amdhsa_exception_fp_ieee_underflow 0
		.amdhsa_exception_fp_ieee_inexact 0
		.amdhsa_exception_int_div_zero 0
	.end_amdhsa_kernel
	.section	.text._ZL24rocblas_dot_kernel_magsqIlLb1ELi1024ELi32ELb1EDF16_PKPKDF16_DF16_EviT5_lT_liPT6_PT4_,"axG",@progbits,_ZL24rocblas_dot_kernel_magsqIlLb1ELi1024ELi32ELb1EDF16_PKPKDF16_DF16_EviT5_lT_liPT6_PT4_,comdat
.Lfunc_end522:
	.size	_ZL24rocblas_dot_kernel_magsqIlLb1ELi1024ELi32ELb1EDF16_PKPKDF16_DF16_EviT5_lT_liPT6_PT4_, .Lfunc_end522-_ZL24rocblas_dot_kernel_magsqIlLb1ELi1024ELi32ELb1EDF16_PKPKDF16_DF16_EviT5_lT_liPT6_PT4_
                                        ; -- End function
	.section	.AMDGPU.csdata,"",@progbits
; Kernel info:
; codeLenInByte = 940
; NumSgprs: 24
; NumVgprs: 10
; NumAgprs: 0
; TotalNumVgprs: 10
; ScratchSize: 0
; MemoryBound: 0
; FloatMode: 240
; IeeeMode: 1
; LDSByteSize: 128 bytes/workgroup (compile time only)
; SGPRBlocks: 2
; VGPRBlocks: 1
; NumSGPRsForWavesPerEU: 24
; NumVGPRsForWavesPerEU: 10
; AccumOffset: 12
; Occupancy: 8
; WaveLimiterHint : 0
; COMPUTE_PGM_RSRC2:SCRATCH_EN: 0
; COMPUTE_PGM_RSRC2:USER_SGPR: 6
; COMPUTE_PGM_RSRC2:TRAP_HANDLER: 0
; COMPUTE_PGM_RSRC2:TGID_X_EN: 1
; COMPUTE_PGM_RSRC2:TGID_Y_EN: 0
; COMPUTE_PGM_RSRC2:TGID_Z_EN: 1
; COMPUTE_PGM_RSRC2:TIDIG_COMP_CNT: 0
; COMPUTE_PGM_RSRC3_GFX90A:ACCUM_OFFSET: 2
; COMPUTE_PGM_RSRC3_GFX90A:TG_SPLIT: 0
	.section	.text._ZL18rocblas_dot_kernelIlLb0ELi512ELi8ELb1EDF16_PKPKDF16_DF16_EviT5_lT_lS4_lS5_liPT6_PT4_,"axG",@progbits,_ZL18rocblas_dot_kernelIlLb0ELi512ELi8ELb1EDF16_PKPKDF16_DF16_EviT5_lT_lS4_lS5_liPT6_PT4_,comdat
	.globl	_ZL18rocblas_dot_kernelIlLb0ELi512ELi8ELb1EDF16_PKPKDF16_DF16_EviT5_lT_lS4_lS5_liPT6_PT4_ ; -- Begin function _ZL18rocblas_dot_kernelIlLb0ELi512ELi8ELb1EDF16_PKPKDF16_DF16_EviT5_lT_lS4_lS5_liPT6_PT4_
	.p2align	8
	.type	_ZL18rocblas_dot_kernelIlLb0ELi512ELi8ELb1EDF16_PKPKDF16_DF16_EviT5_lT_lS4_lS5_liPT6_PT4_,@function
_ZL18rocblas_dot_kernelIlLb0ELi512ELi8ELb1EDF16_PKPKDF16_DF16_EviT5_lT_lS4_lS5_liPT6_PT4_: ; @_ZL18rocblas_dot_kernelIlLb0ELi512ELi8ELb1EDF16_PKPKDF16_DF16_EviT5_lT_lS4_lS5_liPT6_PT4_
; %bb.0:
	s_mov_b32 s16, s7
	s_load_dword s20, s[4:5], 0x60
	s_load_dword s7, s[4:5], 0x0
	s_load_dwordx4 s[8:11], s[4:5], 0x50
	v_lshl_or_b32 v4, s6, 9, v0
	s_mov_b32 s17, 0
	v_mov_b32_e32 v6, 0
	s_waitcnt lgkmcnt(0)
	v_cmp_gt_i32_e32 vcc, s7, v4
	s_and_saveexec_b64 s[18:19], vcc
	s_cbranch_execz .LBB523_4
; %bb.1:
	s_load_dwordx2 s[22:23], s[4:5], 0x8
	s_load_dwordx4 s[12:15], s[4:5], 0x10
	s_load_dwordx2 s[24:25], s[4:5], 0x28
	s_load_dwordx4 s[0:3], s[4:5], 0x30
	s_lshl_b64 s[4:5], s[16:17], 3
	s_waitcnt lgkmcnt(0)
	s_add_u32 s22, s22, s4
	s_addc_u32 s23, s23, s5
	s_load_dwordx2 s[22:23], s[22:23], 0x0
	s_add_u32 s4, s24, s4
	s_addc_u32 s5, s25, s5
	s_load_dwordx2 s[24:25], s[4:5], 0x0
	v_ashrrev_i32_e32 v5, 31, v4
	v_mad_u64_u32 v[2:3], s[4:5], s14, v4, 0
	s_lshl_b32 s21, s20, 9
	v_mul_lo_u32 v6, s15, v4
	v_mul_lo_u32 v7, s14, v5
	s_lshl_b64 s[4:5], s[12:13], 1
	v_add3_u32 v3, v3, v7, v6
	s_waitcnt lgkmcnt(0)
	s_add_u32 s4, s22, s4
	v_lshlrev_b64 v[2:3], 1, v[2:3]
	s_addc_u32 s5, s23, s5
	s_ashr_i32 s22, s21, 31
	v_mov_b32_e32 v6, s5
	v_add_co_u32_e32 v2, vcc, s4, v2
	s_mul_i32 s4, s14, s22
	s_mul_hi_u32 s5, s14, s21
	s_add_i32 s4, s5, s4
	s_mul_i32 s5, s15, s21
	s_add_i32 s5, s4, s5
	s_mul_i32 s4, s14, s21
	v_add_u32_e32 v1, s21, v4
	v_addc_co_u32_e32 v3, vcc, v6, v3, vcc
	s_lshl_b64 s[4:5], s[4:5], 1
	v_mul_lo_u32 v6, s3, v4
	v_mul_lo_u32 v7, s2, v5
	v_mad_u64_u32 v[4:5], s[12:13], s2, v4, 0
	s_lshl_b64 s[0:1], s[0:1], 1
	v_add3_u32 v5, v5, v7, v6
	s_add_u32 s0, s24, s0
	v_lshlrev_b64 v[4:5], 1, v[4:5]
	s_addc_u32 s1, s25, s1
	v_mov_b32_e32 v6, s1
	v_add_co_u32_e32 v4, vcc, s0, v4
	s_mul_i32 s0, s2, s22
	s_mul_hi_u32 s1, s2, s21
	s_add_i32 s0, s1, s0
	s_mul_i32 s1, s3, s21
	s_add_i32 s1, s0, s1
	s_mul_i32 s0, s2, s21
	s_lshl_b64 s[12:13], s[0:1], 1
	v_addc_co_u32_e32 v5, vcc, v6, v5, vcc
	s_mov_b64 s[2:3], 0
	v_mov_b32_e32 v6, 0
	v_mov_b32_e32 v7, s5
	;; [unrolled: 1-line block ×3, first 2 shown]
	s_mov_b32 s5, s17
.LBB523_2:                              ; =>This Inner Loop Header: Depth=1
	global_load_ushort v9, v[4:5], off
	global_load_ushort v10, v[2:3], off
	v_add_co_u32_e64 v2, s[0:1], s4, v2
	v_addc_co_u32_e64 v3, s[0:1], v3, v7, s[0:1]
	s_add_i32 s13, s5, 1
	v_add_co_u32_e64 v4, s[0:1], s12, v4
	v_addc_co_u32_e64 v5, s[0:1], v5, v8, s[0:1]
	s_cmp_gt_u32 s5, 6
	v_cmp_le_i32_e32 vcc, s7, v1
	s_cselect_b64 s[0:1], -1, 0
	s_or_b64 s[0:1], s[0:1], vcc
	s_and_b64 s[0:1], exec, s[0:1]
	v_add_u32_e32 v1, s21, v1
	s_mov_b32 s5, s13
	s_or_b64 s[2:3], s[0:1], s[2:3]
	s_waitcnt vmcnt(0)
	v_fma_f16 v6, v9, v10, v6
	s_andn2_b64 exec, exec, s[2:3]
	s_cbranch_execnz .LBB523_2
; %bb.3:
	s_or_b64 exec, exec, s[2:3]
.LBB523_4:
	s_or_b64 exec, exec, s[18:19]
	v_and_b32_e32 v2, 63, v0
	v_cmp_gt_u32_e32 vcc, 64, v0
	v_lshlrev_b32_e32 v1, 1, v2
	s_and_saveexec_b64 s[0:1], vcc
	s_cbranch_execz .LBB523_6
; %bb.5:
	v_mov_b32_e32 v3, 0
	ds_write_b16 v1, v3
.LBB523_6:
	s_or_b64 exec, exec, s[0:1]
	v_mbcnt_lo_u32_b32 v3, -1, 0
	v_mbcnt_hi_u32_b32 v5, -1, v3
	v_and_b32_e32 v7, 63, v5
	v_cmp_gt_u32_e64 s[0:1], 32, v7
	v_cndmask_b32_e64 v4, 0, 1, s[0:1]
	v_lshlrev_b32_e32 v4, 5, v4
	v_and_b32_e32 v3, 0xffff, v6
	v_add_lshl_u32 v4, v4, v5, 2
	ds_bpermute_b32 v3, v4, v3
	v_cmp_gt_u32_e64 s[0:1], 48, v7
	s_mov_b32 s2, 0xffff0000
	s_waitcnt lgkmcnt(0)
	s_barrier
	v_add_f16_e32 v4, v6, v3
	v_cndmask_b32_e64 v6, 0, 1, s[0:1]
	v_lshlrev_b32_e32 v6, 4, v6
	v_and_or_b32 v3, v3, s2, v4
	v_add_lshl_u32 v6, v6, v5, 2
	ds_bpermute_b32 v3, v6, v3
	v_cmp_gt_u32_e64 s[0:1], 56, v7
	v_cndmask_b32_e64 v6, 0, 1, s[0:1]
	v_lshlrev_b32_e32 v6, 3, v6
	v_add_lshl_u32 v6, v6, v5, 2
	s_waitcnt lgkmcnt(0)
	v_add_f16_e32 v4, v4, v3
	v_and_or_b32 v3, v3, s2, v4
	ds_bpermute_b32 v3, v6, v3
	v_cmp_gt_u32_e64 s[0:1], 60, v7
	s_waitcnt lgkmcnt(0)
	v_add_f16_e32 v4, v4, v3
	v_and_or_b32 v6, v3, s2, v4
	v_cndmask_b32_e64 v3, 0, 1, s[0:1]
	v_lshlrev_b32_e32 v3, 2, v3
	v_add_lshl_u32 v3, v3, v5, 2
	ds_bpermute_b32 v6, v3, v6
	v_cmp_gt_u32_e64 s[0:1], 62, v7
	s_waitcnt lgkmcnt(0)
	v_add_f16_e32 v8, v4, v6
	v_cndmask_b32_e64 v4, 0, 1, s[0:1]
	v_lshlrev_b32_e32 v4, 1, v4
	v_and_or_b32 v6, v6, s2, v8
	v_add_lshl_u32 v4, v4, v5, 2
	ds_bpermute_b32 v9, v4, v6
	v_cmp_ne_u32_e64 s[0:1], 63, v7
	v_addc_co_u32_e64 v5, s[0:1], 0, v5, s[0:1]
	v_lshlrev_b32_e32 v5, 2, v5
	s_waitcnt lgkmcnt(0)
	v_add_f16_e32 v6, v8, v9
	v_and_or_b32 v8, v9, s2, v6
	ds_bpermute_b32 v7, v5, v8
	v_cmp_eq_u32_e64 s[0:1], 0, v2
	s_and_saveexec_b64 s[2:3], s[0:1]
	s_cbranch_execz .LBB523_8
; %bb.7:
	s_waitcnt lgkmcnt(0)
	v_add_f16_e32 v2, v6, v7
	v_lshrrev_b32_e32 v6, 5, v0
	v_and_b32_e32 v6, 14, v6
	ds_write_b16 v6, v2
.LBB523_8:
	s_or_b64 exec, exec, s[2:3]
	v_cmp_gt_u32_e64 s[0:1], 8, v0
	v_mov_b32_e32 v2, 0
	s_waitcnt lgkmcnt(0)
	s_barrier
	s_and_saveexec_b64 s[2:3], s[0:1]
	s_cbranch_execnz .LBB523_12
; %bb.9:
	s_or_b64 exec, exec, s[2:3]
	s_and_saveexec_b64 s[0:1], vcc
	s_cbranch_execnz .LBB523_13
.LBB523_10:
	s_or_b64 exec, exec, s[0:1]
	v_cmp_eq_u32_e32 vcc, 0, v0
	s_and_saveexec_b64 s[0:1], vcc
	s_cbranch_execnz .LBB523_14
.LBB523_11:
	s_endpgm
.LBB523_12:
	ds_read_u16 v2, v1
	s_or_b64 exec, exec, s[2:3]
	s_and_saveexec_b64 s[0:1], vcc
	s_cbranch_execz .LBB523_10
.LBB523_13:
	s_waitcnt lgkmcnt(0)
	v_and_b32_e32 v1, 0xffff, v2
	ds_bpermute_b32 v1, v3, v1
	s_mov_b32 s2, 0xffff0000
	s_waitcnt lgkmcnt(0)
	v_add_f16_e32 v2, v2, v1
	v_and_or_b32 v1, v1, s2, v2
	ds_bpermute_b32 v1, v4, v1
	s_waitcnt lgkmcnt(0)
	v_add_f16_e32 v2, v2, v1
	v_and_or_b32 v1, v1, s2, v2
	ds_bpermute_b32 v1, v5, v1
	s_waitcnt lgkmcnt(0)
	v_add_f16_e32 v2, v2, v1
	s_or_b64 exec, exec, s[0:1]
	v_cmp_eq_u32_e32 vcc, 0, v0
	s_and_saveexec_b64 s[0:1], vcc
	s_cbranch_execz .LBB523_11
.LBB523_14:
	s_cmp_lg_u32 s20, 1
	s_cbranch_scc0 .LBB523_16
; %bb.15:
	s_mul_hi_u32 s1, s20, s16
	s_mul_i32 s0, s20, s16
	s_lshl_b64 s[0:1], s[0:1], 1
	s_mov_b32 s7, 0
	s_add_u32 s2, s8, s0
	s_addc_u32 s3, s9, s1
	s_lshl_b64 s[0:1], s[6:7], 1
	s_add_u32 s0, s2, s0
	s_addc_u32 s1, s3, s1
	s_cbranch_execz .LBB523_17
	s_branch .LBB523_18
.LBB523_16:
                                        ; implicit-def: $sgpr0_sgpr1
.LBB523_17:
	s_lshl_b64 s[0:1], s[16:17], 1
	s_add_u32 s0, s10, s0
	s_addc_u32 s1, s11, s1
.LBB523_18:
	v_mov_b32_e32 v0, 0
	s_waitcnt lgkmcnt(0)
	global_store_short v0, v2, s[0:1]
	s_endpgm
	.section	.rodata,"a",@progbits
	.p2align	6, 0x0
	.amdhsa_kernel _ZL18rocblas_dot_kernelIlLb0ELi512ELi8ELb1EDF16_PKPKDF16_DF16_EviT5_lT_lS4_lS5_liPT6_PT4_
		.amdhsa_group_segment_fixed_size 128
		.amdhsa_private_segment_fixed_size 0
		.amdhsa_kernarg_size 352
		.amdhsa_user_sgpr_count 6
		.amdhsa_user_sgpr_private_segment_buffer 1
		.amdhsa_user_sgpr_dispatch_ptr 0
		.amdhsa_user_sgpr_queue_ptr 0
		.amdhsa_user_sgpr_kernarg_segment_ptr 1
		.amdhsa_user_sgpr_dispatch_id 0
		.amdhsa_user_sgpr_flat_scratch_init 0
		.amdhsa_user_sgpr_kernarg_preload_length 0
		.amdhsa_user_sgpr_kernarg_preload_offset 0
		.amdhsa_user_sgpr_private_segment_size 0
		.amdhsa_uses_dynamic_stack 0
		.amdhsa_system_sgpr_private_segment_wavefront_offset 0
		.amdhsa_system_sgpr_workgroup_id_x 1
		.amdhsa_system_sgpr_workgroup_id_y 0
		.amdhsa_system_sgpr_workgroup_id_z 1
		.amdhsa_system_sgpr_workgroup_info 0
		.amdhsa_system_vgpr_workitem_id 0
		.amdhsa_next_free_vgpr 11
		.amdhsa_next_free_sgpr 26
		.amdhsa_accum_offset 12
		.amdhsa_reserve_vcc 1
		.amdhsa_reserve_flat_scratch 0
		.amdhsa_float_round_mode_32 0
		.amdhsa_float_round_mode_16_64 0
		.amdhsa_float_denorm_mode_32 3
		.amdhsa_float_denorm_mode_16_64 3
		.amdhsa_dx10_clamp 1
		.amdhsa_ieee_mode 1
		.amdhsa_fp16_overflow 0
		.amdhsa_tg_split 0
		.amdhsa_exception_fp_ieee_invalid_op 0
		.amdhsa_exception_fp_denorm_src 0
		.amdhsa_exception_fp_ieee_div_zero 0
		.amdhsa_exception_fp_ieee_overflow 0
		.amdhsa_exception_fp_ieee_underflow 0
		.amdhsa_exception_fp_ieee_inexact 0
		.amdhsa_exception_int_div_zero 0
	.end_amdhsa_kernel
	.section	.text._ZL18rocblas_dot_kernelIlLb0ELi512ELi8ELb1EDF16_PKPKDF16_DF16_EviT5_lT_lS4_lS5_liPT6_PT4_,"axG",@progbits,_ZL18rocblas_dot_kernelIlLb0ELi512ELi8ELb1EDF16_PKPKDF16_DF16_EviT5_lT_lS4_lS5_liPT6_PT4_,comdat
.Lfunc_end523:
	.size	_ZL18rocblas_dot_kernelIlLb0ELi512ELi8ELb1EDF16_PKPKDF16_DF16_EviT5_lT_lS4_lS5_liPT6_PT4_, .Lfunc_end523-_ZL18rocblas_dot_kernelIlLb0ELi512ELi8ELb1EDF16_PKPKDF16_DF16_EviT5_lT_lS4_lS5_liPT6_PT4_
                                        ; -- End function
	.section	.AMDGPU.csdata,"",@progbits
; Kernel info:
; codeLenInByte = 1140
; NumSgprs: 30
; NumVgprs: 11
; NumAgprs: 0
; TotalNumVgprs: 11
; ScratchSize: 0
; MemoryBound: 0
; FloatMode: 240
; IeeeMode: 1
; LDSByteSize: 128 bytes/workgroup (compile time only)
; SGPRBlocks: 3
; VGPRBlocks: 1
; NumSGPRsForWavesPerEU: 30
; NumVGPRsForWavesPerEU: 11
; AccumOffset: 12
; Occupancy: 8
; WaveLimiterHint : 0
; COMPUTE_PGM_RSRC2:SCRATCH_EN: 0
; COMPUTE_PGM_RSRC2:USER_SGPR: 6
; COMPUTE_PGM_RSRC2:TRAP_HANDLER: 0
; COMPUTE_PGM_RSRC2:TGID_X_EN: 1
; COMPUTE_PGM_RSRC2:TGID_Y_EN: 0
; COMPUTE_PGM_RSRC2:TGID_Z_EN: 1
; COMPUTE_PGM_RSRC2:TIDIG_COMP_CNT: 0
; COMPUTE_PGM_RSRC3_GFX90A:ACCUM_OFFSET: 2
; COMPUTE_PGM_RSRC3_GFX90A:TG_SPLIT: 0
	.section	.text._ZL24rocblas_dot_kernel_magsqIlLb0ELi512ELi8ELb1EDF16_PKPKDF16_DF16_EviT5_lT_liPT6_PT4_,"axG",@progbits,_ZL24rocblas_dot_kernel_magsqIlLb0ELi512ELi8ELb1EDF16_PKPKDF16_DF16_EviT5_lT_liPT6_PT4_,comdat
	.globl	_ZL24rocblas_dot_kernel_magsqIlLb0ELi512ELi8ELb1EDF16_PKPKDF16_DF16_EviT5_lT_liPT6_PT4_ ; -- Begin function _ZL24rocblas_dot_kernel_magsqIlLb0ELi512ELi8ELb1EDF16_PKPKDF16_DF16_EviT5_lT_liPT6_PT4_
	.p2align	8
	.type	_ZL24rocblas_dot_kernel_magsqIlLb0ELi512ELi8ELb1EDF16_PKPKDF16_DF16_EviT5_lT_liPT6_PT4_,@function
_ZL24rocblas_dot_kernel_magsqIlLb0ELi512ELi8ELb1EDF16_PKPKDF16_DF16_EviT5_lT_liPT6_PT4_: ; @_ZL24rocblas_dot_kernel_magsqIlLb0ELi512ELi8ELb1EDF16_PKPKDF16_DF16_EviT5_lT_liPT6_PT4_
; %bb.0:
	s_mov_b32 s2, s7
	s_load_dword s7, s[4:5], 0x0
	s_load_dwordx4 s[8:11], s[4:5], 0x30
	s_load_dword s16, s[4:5], 0x40
	v_lshl_or_b32 v2, s6, 9, v0
	s_mov_b32 s3, 0
	s_waitcnt lgkmcnt(0)
	v_cmp_gt_i32_e32 vcc, s7, v2
	v_mov_b32_e32 v4, 0
	s_and_saveexec_b64 s[12:13], vcc
	s_cbranch_execz .LBB524_4
; %bb.1:
	s_load_dwordx2 s[0:1], s[4:5], 0x8
	s_load_dwordx4 s[20:23], s[4:5], 0x10
	s_lshl_b64 s[4:5], s[2:3], 3
	v_ashrrev_i32_e32 v3, 31, v2
	s_waitcnt lgkmcnt(0)
	s_add_u32 s0, s0, s4
	s_addc_u32 s1, s1, s5
	s_load_dwordx2 s[0:1], s[0:1], 0x0
	s_lshl_b32 s17, s16, 9
	v_add_u32_e32 v1, s17, v2
	v_mul_lo_u32 v4, s23, v2
	v_mul_lo_u32 v5, s22, v3
	v_mad_u64_u32 v[2:3], s[4:5], s22, v2, 0
	v_add3_u32 v3, v3, v5, v4
	s_lshl_b64 s[4:5], s[20:21], 1
	v_lshlrev_b64 v[2:3], 1, v[2:3]
	s_waitcnt lgkmcnt(0)
	s_add_u32 s0, s0, s4
	s_addc_u32 s1, s1, s5
	v_add_co_u32_e32 v2, vcc, s0, v2
	s_ashr_i32 s0, s17, 31
	v_mov_b32_e32 v4, s1
	s_mul_i32 s0, s22, s0
	s_mul_hi_u32 s1, s22, s17
	s_add_i32 s0, s1, s0
	s_mul_i32 s1, s23, s17
	s_add_i32 s1, s0, s1
	s_mul_i32 s0, s22, s17
	s_lshl_b64 s[14:15], s[0:1], 1
	v_addc_co_u32_e32 v3, vcc, v4, v3, vcc
	s_mov_b64 s[4:5], 0
	v_mov_b32_e32 v4, 0
	v_mov_b32_e32 v5, s15
	s_mov_b32 s15, s3
.LBB524_2:                              ; =>This Inner Loop Header: Depth=1
	global_load_ushort v6, v[2:3], off
	s_add_i32 s18, s15, 1
	v_add_co_u32_e64 v2, s[0:1], s14, v2
	v_addc_co_u32_e64 v3, s[0:1], v3, v5, s[0:1]
	s_cmp_gt_u32 s15, 6
	v_cmp_le_i32_e32 vcc, s7, v1
	s_cselect_b64 s[0:1], -1, 0
	s_or_b64 s[0:1], s[0:1], vcc
	s_and_b64 s[0:1], exec, s[0:1]
	v_add_u32_e32 v1, s17, v1
	s_mov_b32 s15, s18
	s_or_b64 s[4:5], s[0:1], s[4:5]
	s_waitcnt vmcnt(0)
	v_fma_f16 v4, v6, v6, v4
	s_andn2_b64 exec, exec, s[4:5]
	s_cbranch_execnz .LBB524_2
; %bb.3:
	s_or_b64 exec, exec, s[4:5]
.LBB524_4:
	s_or_b64 exec, exec, s[12:13]
	v_and_b32_e32 v2, 63, v0
	v_cmp_gt_u32_e32 vcc, 64, v0
	v_lshlrev_b32_e32 v1, 1, v2
	s_and_saveexec_b64 s[0:1], vcc
	s_cbranch_execz .LBB524_6
; %bb.5:
	v_mov_b32_e32 v3, 0
	ds_write_b16 v1, v3
.LBB524_6:
	s_or_b64 exec, exec, s[0:1]
	v_mbcnt_lo_u32_b32 v3, -1, 0
	v_mbcnt_hi_u32_b32 v5, -1, v3
	v_and_b32_e32 v7, 63, v5
	v_cmp_gt_u32_e64 s[0:1], 32, v7
	v_cndmask_b32_e64 v6, 0, 1, s[0:1]
	v_lshlrev_b32_e32 v6, 5, v6
	v_and_b32_e32 v3, 0xffff, v4
	v_add_lshl_u32 v6, v6, v5, 2
	ds_bpermute_b32 v3, v6, v3
	v_cmp_gt_u32_e64 s[0:1], 48, v7
	v_cndmask_b32_e64 v6, 0, 1, s[0:1]
	s_mov_b32 s4, 0xffff0000
	v_lshlrev_b32_e32 v6, 4, v6
	s_waitcnt lgkmcnt(0)
	v_add_f16_e32 v4, v4, v3
	v_and_or_b32 v3, v3, s4, v4
	v_add_lshl_u32 v6, v6, v5, 2
	ds_bpermute_b32 v3, v6, v3
	v_cmp_gt_u32_e64 s[0:1], 56, v7
	v_cndmask_b32_e64 v6, 0, 1, s[0:1]
	v_lshlrev_b32_e32 v6, 3, v6
	v_add_lshl_u32 v6, v6, v5, 2
	s_waitcnt lgkmcnt(0)
	v_add_f16_e32 v4, v4, v3
	v_and_or_b32 v3, v3, s4, v4
	ds_bpermute_b32 v3, v6, v3
	v_cmp_gt_u32_e64 s[0:1], 60, v7
	s_waitcnt lgkmcnt(0)
	s_barrier
	v_add_f16_e32 v4, v4, v3
	v_and_or_b32 v6, v3, s4, v4
	v_cndmask_b32_e64 v3, 0, 1, s[0:1]
	v_lshlrev_b32_e32 v3, 2, v3
	v_add_lshl_u32 v3, v3, v5, 2
	ds_bpermute_b32 v6, v3, v6
	v_cmp_gt_u32_e64 s[0:1], 62, v7
	s_waitcnt lgkmcnt(0)
	v_add_f16_e32 v8, v4, v6
	v_cndmask_b32_e64 v4, 0, 1, s[0:1]
	v_lshlrev_b32_e32 v4, 1, v4
	v_and_or_b32 v6, v6, s4, v8
	v_add_lshl_u32 v4, v4, v5, 2
	ds_bpermute_b32 v9, v4, v6
	v_cmp_ne_u32_e64 s[0:1], 63, v7
	v_addc_co_u32_e64 v5, s[0:1], 0, v5, s[0:1]
	v_lshlrev_b32_e32 v5, 2, v5
	s_waitcnt lgkmcnt(0)
	v_add_f16_e32 v6, v8, v9
	v_and_or_b32 v8, v9, s4, v6
	ds_bpermute_b32 v7, v5, v8
	v_cmp_eq_u32_e64 s[0:1], 0, v2
	s_and_saveexec_b64 s[4:5], s[0:1]
	s_cbranch_execz .LBB524_8
; %bb.7:
	s_waitcnt lgkmcnt(0)
	v_add_f16_e32 v2, v6, v7
	v_lshrrev_b32_e32 v6, 5, v0
	v_and_b32_e32 v6, 14, v6
	ds_write_b16 v6, v2
.LBB524_8:
	s_or_b64 exec, exec, s[4:5]
	v_cmp_gt_u32_e64 s[0:1], 8, v0
	v_mov_b32_e32 v2, 0
	s_waitcnt lgkmcnt(0)
	s_barrier
	s_and_saveexec_b64 s[4:5], s[0:1]
	s_cbranch_execnz .LBB524_12
; %bb.9:
	s_or_b64 exec, exec, s[4:5]
	s_and_saveexec_b64 s[0:1], vcc
	s_cbranch_execnz .LBB524_13
.LBB524_10:
	s_or_b64 exec, exec, s[0:1]
	v_cmp_eq_u32_e32 vcc, 0, v0
	s_and_saveexec_b64 s[0:1], vcc
	s_cbranch_execnz .LBB524_14
.LBB524_11:
	s_endpgm
.LBB524_12:
	ds_read_u16 v2, v1
	s_or_b64 exec, exec, s[4:5]
	s_and_saveexec_b64 s[0:1], vcc
	s_cbranch_execz .LBB524_10
.LBB524_13:
	s_waitcnt lgkmcnt(0)
	v_and_b32_e32 v1, 0xffff, v2
	ds_bpermute_b32 v1, v3, v1
	s_mov_b32 s4, 0xffff0000
	s_waitcnt lgkmcnt(0)
	v_add_f16_e32 v2, v2, v1
	v_and_or_b32 v1, v1, s4, v2
	ds_bpermute_b32 v1, v4, v1
	s_waitcnt lgkmcnt(0)
	v_add_f16_e32 v2, v2, v1
	v_and_or_b32 v1, v1, s4, v2
	ds_bpermute_b32 v1, v5, v1
	s_waitcnt lgkmcnt(0)
	v_add_f16_e32 v2, v2, v1
	s_or_b64 exec, exec, s[0:1]
	v_cmp_eq_u32_e32 vcc, 0, v0
	s_and_saveexec_b64 s[0:1], vcc
	s_cbranch_execz .LBB524_11
.LBB524_14:
	s_cmp_lg_u32 s16, 1
	s_cbranch_scc0 .LBB524_16
; %bb.15:
	s_mul_hi_u32 s1, s16, s2
	s_mul_i32 s0, s16, s2
	s_lshl_b64 s[0:1], s[0:1], 1
	s_mov_b32 s7, 0
	s_add_u32 s4, s8, s0
	s_addc_u32 s5, s9, s1
	s_lshl_b64 s[0:1], s[6:7], 1
	s_add_u32 s0, s4, s0
	s_addc_u32 s1, s5, s1
	s_cbranch_execz .LBB524_17
	s_branch .LBB524_18
.LBB524_16:
                                        ; implicit-def: $sgpr0_sgpr1
.LBB524_17:
	s_lshl_b64 s[0:1], s[2:3], 1
	s_add_u32 s0, s10, s0
	s_addc_u32 s1, s11, s1
.LBB524_18:
	v_mov_b32_e32 v0, 0
	s_waitcnt lgkmcnt(0)
	global_store_short v0, v2, s[0:1]
	s_endpgm
	.section	.rodata,"a",@progbits
	.p2align	6, 0x0
	.amdhsa_kernel _ZL24rocblas_dot_kernel_magsqIlLb0ELi512ELi8ELb1EDF16_PKPKDF16_DF16_EviT5_lT_liPT6_PT4_
		.amdhsa_group_segment_fixed_size 128
		.amdhsa_private_segment_fixed_size 0
		.amdhsa_kernarg_size 320
		.amdhsa_user_sgpr_count 6
		.amdhsa_user_sgpr_private_segment_buffer 1
		.amdhsa_user_sgpr_dispatch_ptr 0
		.amdhsa_user_sgpr_queue_ptr 0
		.amdhsa_user_sgpr_kernarg_segment_ptr 1
		.amdhsa_user_sgpr_dispatch_id 0
		.amdhsa_user_sgpr_flat_scratch_init 0
		.amdhsa_user_sgpr_kernarg_preload_length 0
		.amdhsa_user_sgpr_kernarg_preload_offset 0
		.amdhsa_user_sgpr_private_segment_size 0
		.amdhsa_uses_dynamic_stack 0
		.amdhsa_system_sgpr_private_segment_wavefront_offset 0
		.amdhsa_system_sgpr_workgroup_id_x 1
		.amdhsa_system_sgpr_workgroup_id_y 0
		.amdhsa_system_sgpr_workgroup_id_z 1
		.amdhsa_system_sgpr_workgroup_info 0
		.amdhsa_system_vgpr_workitem_id 0
		.amdhsa_next_free_vgpr 10
		.amdhsa_next_free_sgpr 24
		.amdhsa_accum_offset 12
		.amdhsa_reserve_vcc 1
		.amdhsa_reserve_flat_scratch 0
		.amdhsa_float_round_mode_32 0
		.amdhsa_float_round_mode_16_64 0
		.amdhsa_float_denorm_mode_32 3
		.amdhsa_float_denorm_mode_16_64 3
		.amdhsa_dx10_clamp 1
		.amdhsa_ieee_mode 1
		.amdhsa_fp16_overflow 0
		.amdhsa_tg_split 0
		.amdhsa_exception_fp_ieee_invalid_op 0
		.amdhsa_exception_fp_denorm_src 0
		.amdhsa_exception_fp_ieee_div_zero 0
		.amdhsa_exception_fp_ieee_overflow 0
		.amdhsa_exception_fp_ieee_underflow 0
		.amdhsa_exception_fp_ieee_inexact 0
		.amdhsa_exception_int_div_zero 0
	.end_amdhsa_kernel
	.section	.text._ZL24rocblas_dot_kernel_magsqIlLb0ELi512ELi8ELb1EDF16_PKPKDF16_DF16_EviT5_lT_liPT6_PT4_,"axG",@progbits,_ZL24rocblas_dot_kernel_magsqIlLb0ELi512ELi8ELb1EDF16_PKPKDF16_DF16_EviT5_lT_liPT6_PT4_,comdat
.Lfunc_end524:
	.size	_ZL24rocblas_dot_kernel_magsqIlLb0ELi512ELi8ELb1EDF16_PKPKDF16_DF16_EviT5_lT_liPT6_PT4_, .Lfunc_end524-_ZL24rocblas_dot_kernel_magsqIlLb0ELi512ELi8ELb1EDF16_PKPKDF16_DF16_EviT5_lT_liPT6_PT4_
                                        ; -- End function
	.section	.AMDGPU.csdata,"",@progbits
; Kernel info:
; codeLenInByte = 988
; NumSgprs: 28
; NumVgprs: 10
; NumAgprs: 0
; TotalNumVgprs: 10
; ScratchSize: 0
; MemoryBound: 0
; FloatMode: 240
; IeeeMode: 1
; LDSByteSize: 128 bytes/workgroup (compile time only)
; SGPRBlocks: 3
; VGPRBlocks: 1
; NumSGPRsForWavesPerEU: 28
; NumVGPRsForWavesPerEU: 10
; AccumOffset: 12
; Occupancy: 8
; WaveLimiterHint : 0
; COMPUTE_PGM_RSRC2:SCRATCH_EN: 0
; COMPUTE_PGM_RSRC2:USER_SGPR: 6
; COMPUTE_PGM_RSRC2:TRAP_HANDLER: 0
; COMPUTE_PGM_RSRC2:TGID_X_EN: 1
; COMPUTE_PGM_RSRC2:TGID_Y_EN: 0
; COMPUTE_PGM_RSRC2:TGID_Z_EN: 1
; COMPUTE_PGM_RSRC2:TIDIG_COMP_CNT: 0
; COMPUTE_PGM_RSRC3_GFX90A:ACCUM_OFFSET: 2
; COMPUTE_PGM_RSRC3_GFX90A:TG_SPLIT: 0
	.section	.text._ZL28rocblas_dot_batched_4_kernelIiLi32ELi4ELb1Ef16rocblas_bfloat16PKS0_EviT5_lT_lS3_lS4_liPT4_,"axG",@progbits,_ZL28rocblas_dot_batched_4_kernelIiLi32ELi4ELb1Ef16rocblas_bfloat16PKS0_EviT5_lT_lS3_lS4_liPT4_,comdat
	.globl	_ZL28rocblas_dot_batched_4_kernelIiLi32ELi4ELb1Ef16rocblas_bfloat16PKS0_EviT5_lT_lS3_lS4_liPT4_ ; -- Begin function _ZL28rocblas_dot_batched_4_kernelIiLi32ELi4ELb1Ef16rocblas_bfloat16PKS0_EviT5_lT_lS3_lS4_liPT4_
	.p2align	8
	.type	_ZL28rocblas_dot_batched_4_kernelIiLi32ELi4ELb1Ef16rocblas_bfloat16PKS0_EviT5_lT_lS3_lS4_liPT4_,@function
_ZL28rocblas_dot_batched_4_kernelIiLi32ELi4ELb1Ef16rocblas_bfloat16PKS0_EviT5_lT_lS3_lS4_liPT4_: ; @_ZL28rocblas_dot_batched_4_kernelIiLi32ELi4ELb1Ef16rocblas_bfloat16PKS0_EviT5_lT_lS3_lS4_liPT4_
; %bb.0:
	s_load_dword s0, s[4:5], 0x48
	v_bfe_u32 v1, v0, 10, 10
	v_lshl_add_u32 v2, s6, 2, v1
	s_waitcnt lgkmcnt(0)
	v_cmp_gt_u32_e32 vcc, s0, v2
	s_and_saveexec_b64 s[0:1], vcc
	s_cbranch_execz .LBB525_11
; %bb.1:
	s_load_dword s10, s[4:5], 0x0
	s_load_dwordx2 s[0:1], s[4:5], 0x50
	v_mov_b32_e32 v3, 0
	v_and_b32_e32 v6, 0x3ff, v0
	v_mov_b32_e32 v7, v3
	s_waitcnt lgkmcnt(0)
	v_cmp_gt_i32_e32 vcc, s10, v6
	s_and_saveexec_b64 s[2:3], vcc
	s_cbranch_execz .LBB525_5
; %bb.2:
	s_load_dwordx4 s[12:15], s[4:5], 0x8
	s_load_dword s6, s[4:5], 0x18
	s_load_dword s8, s[4:5], 0x38
	s_load_dwordx4 s[16:19], s[4:5], 0x20
	s_load_dwordx2 s[20:21], s[4:5], 0x30
	s_load_dwordx2 s[22:23], s[4:5], 0x40
	s_waitcnt lgkmcnt(0)
	v_mad_i64_i32 v[0:1], s[4:5], s6, v6, 0
	v_mad_u64_u32 v[4:5], s[4:5], s16, v2, 0
	v_mov_b32_e32 v8, v5
	v_mad_u64_u32 v[8:9], s[4:5], s17, v2, v[8:9]
	v_mov_b32_e32 v5, v8
	s_ashr_i32 s7, s6, 31
	s_ashr_i32 s9, s8, 31
	v_lshlrev_b64 v[0:1], 1, v[0:1]
	v_lshlrev_b64 v[4:5], 1, v[4:5]
	s_lshl_b64 s[4:5], s[14:15], 1
	v_add_co_u32_e32 v0, vcc, v0, v4
	s_add_u32 s4, s12, s4
	v_addc_co_u32_e32 v1, vcc, v1, v5, vcc
	s_addc_u32 s5, s13, s5
	v_mov_b32_e32 v4, s5
	v_add_co_u32_e32 v0, vcc, s4, v0
	s_lshl_b64 s[4:5], s[6:7], 6
	v_mad_u64_u32 v[8:9], s[6:7], s22, v2, 0
	v_mov_b32_e32 v10, v9
	v_mad_u64_u32 v[10:11], s[6:7], s23, v2, v[10:11]
	v_addc_co_u32_e32 v1, vcc, v4, v1, vcc
	v_mad_i64_i32 v[4:5], s[6:7], s8, v6, 0
	v_mov_b32_e32 v9, v10
	v_lshlrev_b64 v[4:5], 1, v[4:5]
	v_lshlrev_b64 v[8:9], 1, v[8:9]
	s_lshl_b64 s[6:7], s[20:21], 1
	v_add_co_u32_e32 v4, vcc, v4, v8
	s_add_u32 s6, s18, s6
	v_addc_co_u32_e32 v5, vcc, v5, v9, vcc
	s_addc_u32 s7, s19, s7
	v_mov_b32_e32 v7, s7
	v_add_co_u32_e32 v4, vcc, s6, v4
	s_lshl_b64 s[8:9], s[8:9], 6
	v_addc_co_u32_e32 v5, vcc, v7, v5, vcc
	s_mov_b64 s[6:7], 0
	v_mov_b32_e32 v7, 0
	v_mov_b32_e32 v8, s5
	;; [unrolled: 1-line block ×4, first 2 shown]
.LBB525_3:                              ; =>This Inner Loop Header: Depth=1
	global_load_ushort v11, v[0:1], off
	global_load_ushort v12, v[4:5], off
	v_add_co_u32_e32 v0, vcc, s4, v0
	v_addc_co_u32_e32 v1, vcc, v1, v8, vcc
	v_add_co_u32_e32 v4, vcc, s8, v4
	v_add_u32_e32 v10, 32, v10
	v_addc_co_u32_e32 v5, vcc, v5, v9, vcc
	v_cmp_le_i32_e32 vcc, s10, v10
	s_or_b64 s[6:7], vcc, s[6:7]
	s_waitcnt vmcnt(1)
	v_lshlrev_b32_e32 v11, 16, v11
	s_waitcnt vmcnt(0)
	v_lshlrev_b32_e32 v12, 16, v12
	v_fmac_f32_e32 v7, v12, v11
	s_andn2_b64 exec, exec, s[6:7]
	s_cbranch_execnz .LBB525_3
; %bb.4:
	s_or_b64 exec, exec, s[6:7]
.LBB525_5:
	s_or_b64 exec, exec, s[2:3]
	v_mbcnt_lo_u32_b32 v0, -1, 0
	v_mbcnt_hi_u32_b32 v0, -1, v0
	v_and_b32_e32 v1, 63, v0
	v_cmp_gt_u32_e32 vcc, 48, v1
	v_cndmask_b32_e64 v4, 0, 1, vcc
	v_lshlrev_b32_e32 v4, 4, v4
	v_add_lshl_u32 v4, v4, v0, 2
	ds_bpermute_b32 v4, v4, v7
	v_cmp_gt_u32_e32 vcc, 56, v1
	v_cndmask_b32_e64 v5, 0, 1, vcc
	v_lshlrev_b32_e32 v5, 3, v5
	v_add_lshl_u32 v5, v5, v0, 2
	s_waitcnt lgkmcnt(0)
	v_add_f32_e32 v4, v7, v4
	ds_bpermute_b32 v5, v5, v4
	v_cmp_gt_u32_e32 vcc, 60, v1
	v_cndmask_b32_e64 v7, 0, 1, vcc
	v_lshlrev_b32_e32 v7, 2, v7
	v_cmp_gt_u32_e32 vcc, 62, v1
	s_waitcnt lgkmcnt(0)
	v_add_f32_e32 v4, v4, v5
	v_add_lshl_u32 v5, v7, v0, 2
	ds_bpermute_b32 v5, v5, v4
	v_cndmask_b32_e64 v7, 0, 1, vcc
	v_lshlrev_b32_e32 v7, 1, v7
	v_cmp_ne_u32_e32 vcc, 63, v1
	v_addc_co_u32_e32 v1, vcc, 0, v0, vcc
	s_waitcnt lgkmcnt(0)
	v_add_f32_e32 v4, v4, v5
	v_add_lshl_u32 v5, v7, v0, 2
	ds_bpermute_b32 v5, v5, v4
	v_lshlrev_b32_e32 v1, 2, v1
	v_cmp_eq_u32_e32 vcc, 0, v6
	s_waitcnt lgkmcnt(0)
	s_barrier
	v_add_f32_e32 v0, v4, v5
	ds_bpermute_b32 v1, v1, v0
	s_waitcnt lgkmcnt(0)
	s_and_b64 exec, exec, vcc
	s_cbranch_execz .LBB525_11
; %bb.6:
	v_add_f32_e32 v1, v0, v1
	s_mov_b32 s2, 0x7f800000
	v_and_b32_e32 v0, 0x7f800000, v1
	v_cmp_ne_u32_e32 vcc, s2, v0
                                        ; implicit-def: $vgpr0
	s_and_saveexec_b64 s[2:3], vcc
	s_xor_b64 s[2:3], exec, s[2:3]
; %bb.7:
	v_bfe_u32 v0, v1, 16, 1
	s_movk_i32 s4, 0x7fff
	v_add3_u32 v0, v1, v0, s4
                                        ; implicit-def: $vgpr1
; %bb.8:
	s_andn2_saveexec_b64 s[2:3], s[2:3]
; %bb.9:
	v_mov_b32_e32 v0, 0
	v_or_b32_e32 v4, 0x10000, v1
	v_cmp_eq_u32_sdwa vcc, v1, v0 src0_sel:WORD_0 src1_sel:DWORD
	v_cndmask_b32_e32 v0, v4, v1, vcc
; %bb.10:
	s_or_b64 exec, exec, s[2:3]
	v_lshlrev_b64 v[2:3], 1, v[2:3]
	v_mov_b32_e32 v1, s1
	v_add_co_u32_e32 v2, vcc, s0, v2
	v_addc_co_u32_e32 v3, vcc, v1, v3, vcc
	global_store_short_d16_hi v[2:3], v0, off
.LBB525_11:
	s_endpgm
	.section	.rodata,"a",@progbits
	.p2align	6, 0x0
	.amdhsa_kernel _ZL28rocblas_dot_batched_4_kernelIiLi32ELi4ELb1Ef16rocblas_bfloat16PKS0_EviT5_lT_lS3_lS4_liPT4_
		.amdhsa_group_segment_fixed_size 0
		.amdhsa_private_segment_fixed_size 0
		.amdhsa_kernarg_size 88
		.amdhsa_user_sgpr_count 6
		.amdhsa_user_sgpr_private_segment_buffer 1
		.amdhsa_user_sgpr_dispatch_ptr 0
		.amdhsa_user_sgpr_queue_ptr 0
		.amdhsa_user_sgpr_kernarg_segment_ptr 1
		.amdhsa_user_sgpr_dispatch_id 0
		.amdhsa_user_sgpr_flat_scratch_init 0
		.amdhsa_user_sgpr_kernarg_preload_length 0
		.amdhsa_user_sgpr_kernarg_preload_offset 0
		.amdhsa_user_sgpr_private_segment_size 0
		.amdhsa_uses_dynamic_stack 0
		.amdhsa_system_sgpr_private_segment_wavefront_offset 0
		.amdhsa_system_sgpr_workgroup_id_x 1
		.amdhsa_system_sgpr_workgroup_id_y 0
		.amdhsa_system_sgpr_workgroup_id_z 0
		.amdhsa_system_sgpr_workgroup_info 0
		.amdhsa_system_vgpr_workitem_id 1
		.amdhsa_next_free_vgpr 13
		.amdhsa_next_free_sgpr 24
		.amdhsa_accum_offset 16
		.amdhsa_reserve_vcc 1
		.amdhsa_reserve_flat_scratch 0
		.amdhsa_float_round_mode_32 0
		.amdhsa_float_round_mode_16_64 0
		.amdhsa_float_denorm_mode_32 3
		.amdhsa_float_denorm_mode_16_64 3
		.amdhsa_dx10_clamp 1
		.amdhsa_ieee_mode 1
		.amdhsa_fp16_overflow 0
		.amdhsa_tg_split 0
		.amdhsa_exception_fp_ieee_invalid_op 0
		.amdhsa_exception_fp_denorm_src 0
		.amdhsa_exception_fp_ieee_div_zero 0
		.amdhsa_exception_fp_ieee_overflow 0
		.amdhsa_exception_fp_ieee_underflow 0
		.amdhsa_exception_fp_ieee_inexact 0
		.amdhsa_exception_int_div_zero 0
	.end_amdhsa_kernel
	.section	.text._ZL28rocblas_dot_batched_4_kernelIiLi32ELi4ELb1Ef16rocblas_bfloat16PKS0_EviT5_lT_lS3_lS4_liPT4_,"axG",@progbits,_ZL28rocblas_dot_batched_4_kernelIiLi32ELi4ELb1Ef16rocblas_bfloat16PKS0_EviT5_lT_lS3_lS4_liPT4_,comdat
.Lfunc_end525:
	.size	_ZL28rocblas_dot_batched_4_kernelIiLi32ELi4ELb1Ef16rocblas_bfloat16PKS0_EviT5_lT_lS3_lS4_liPT4_, .Lfunc_end525-_ZL28rocblas_dot_batched_4_kernelIiLi32ELi4ELb1Ef16rocblas_bfloat16PKS0_EviT5_lT_lS3_lS4_liPT4_
                                        ; -- End function
	.section	.AMDGPU.csdata,"",@progbits
; Kernel info:
; codeLenInByte = 752
; NumSgprs: 28
; NumVgprs: 13
; NumAgprs: 0
; TotalNumVgprs: 13
; ScratchSize: 0
; MemoryBound: 0
; FloatMode: 240
; IeeeMode: 1
; LDSByteSize: 0 bytes/workgroup (compile time only)
; SGPRBlocks: 3
; VGPRBlocks: 1
; NumSGPRsForWavesPerEU: 28
; NumVGPRsForWavesPerEU: 13
; AccumOffset: 16
; Occupancy: 8
; WaveLimiterHint : 0
; COMPUTE_PGM_RSRC2:SCRATCH_EN: 0
; COMPUTE_PGM_RSRC2:USER_SGPR: 6
; COMPUTE_PGM_RSRC2:TRAP_HANDLER: 0
; COMPUTE_PGM_RSRC2:TGID_X_EN: 1
; COMPUTE_PGM_RSRC2:TGID_Y_EN: 0
; COMPUTE_PGM_RSRC2:TGID_Z_EN: 0
; COMPUTE_PGM_RSRC2:TIDIG_COMP_CNT: 1
; COMPUTE_PGM_RSRC3_GFX90A:ACCUM_OFFSET: 3
; COMPUTE_PGM_RSRC3_GFX90A:TG_SPLIT: 0
	.section	.text._ZL28rocblas_dot_batched_4_kernelIiLi64ELi4ELb1Ef16rocblas_bfloat16PKS0_EviT5_lT_lS3_lS4_liPT4_,"axG",@progbits,_ZL28rocblas_dot_batched_4_kernelIiLi64ELi4ELb1Ef16rocblas_bfloat16PKS0_EviT5_lT_lS3_lS4_liPT4_,comdat
	.globl	_ZL28rocblas_dot_batched_4_kernelIiLi64ELi4ELb1Ef16rocblas_bfloat16PKS0_EviT5_lT_lS3_lS4_liPT4_ ; -- Begin function _ZL28rocblas_dot_batched_4_kernelIiLi64ELi4ELb1Ef16rocblas_bfloat16PKS0_EviT5_lT_lS3_lS4_liPT4_
	.p2align	8
	.type	_ZL28rocblas_dot_batched_4_kernelIiLi64ELi4ELb1Ef16rocblas_bfloat16PKS0_EviT5_lT_lS3_lS4_liPT4_,@function
_ZL28rocblas_dot_batched_4_kernelIiLi64ELi4ELb1Ef16rocblas_bfloat16PKS0_EviT5_lT_lS3_lS4_liPT4_: ; @_ZL28rocblas_dot_batched_4_kernelIiLi64ELi4ELb1Ef16rocblas_bfloat16PKS0_EviT5_lT_lS3_lS4_liPT4_
; %bb.0:
	s_load_dword s0, s[4:5], 0x48
	v_bfe_u32 v1, v0, 10, 10
	v_lshl_add_u32 v2, s6, 2, v1
	s_waitcnt lgkmcnt(0)
	v_cmp_gt_u32_e32 vcc, s0, v2
	s_and_saveexec_b64 s[0:1], vcc
	s_cbranch_execz .LBB526_11
; %bb.1:
	s_load_dword s10, s[4:5], 0x0
	s_load_dwordx2 s[0:1], s[4:5], 0x50
	v_mov_b32_e32 v3, 0
	v_and_b32_e32 v6, 0x3ff, v0
	v_mov_b32_e32 v7, v3
	s_waitcnt lgkmcnt(0)
	v_cmp_gt_i32_e32 vcc, s10, v6
	s_and_saveexec_b64 s[2:3], vcc
	s_cbranch_execz .LBB526_5
; %bb.2:
	s_load_dwordx4 s[12:15], s[4:5], 0x8
	s_load_dword s6, s[4:5], 0x18
	s_load_dword s8, s[4:5], 0x38
	s_load_dwordx4 s[16:19], s[4:5], 0x20
	s_load_dwordx2 s[20:21], s[4:5], 0x30
	s_load_dwordx2 s[22:23], s[4:5], 0x40
	s_waitcnt lgkmcnt(0)
	v_mad_i64_i32 v[0:1], s[4:5], s6, v6, 0
	v_mad_u64_u32 v[4:5], s[4:5], s16, v2, 0
	v_mov_b32_e32 v8, v5
	v_mad_u64_u32 v[8:9], s[4:5], s17, v2, v[8:9]
	v_mov_b32_e32 v5, v8
	s_ashr_i32 s7, s6, 31
	s_ashr_i32 s9, s8, 31
	v_lshlrev_b64 v[0:1], 1, v[0:1]
	v_lshlrev_b64 v[4:5], 1, v[4:5]
	s_lshl_b64 s[4:5], s[14:15], 1
	v_add_co_u32_e32 v0, vcc, v0, v4
	s_add_u32 s4, s12, s4
	v_addc_co_u32_e32 v1, vcc, v1, v5, vcc
	s_addc_u32 s5, s13, s5
	v_mov_b32_e32 v4, s5
	v_add_co_u32_e32 v0, vcc, s4, v0
	s_lshl_b64 s[4:5], s[6:7], 7
	v_mad_u64_u32 v[8:9], s[6:7], s22, v2, 0
	v_mov_b32_e32 v10, v9
	v_mad_u64_u32 v[10:11], s[6:7], s23, v2, v[10:11]
	v_addc_co_u32_e32 v1, vcc, v4, v1, vcc
	v_mad_i64_i32 v[4:5], s[6:7], s8, v6, 0
	v_mov_b32_e32 v9, v10
	v_lshlrev_b64 v[4:5], 1, v[4:5]
	v_lshlrev_b64 v[8:9], 1, v[8:9]
	s_lshl_b64 s[6:7], s[20:21], 1
	v_add_co_u32_e32 v4, vcc, v4, v8
	s_add_u32 s6, s18, s6
	v_addc_co_u32_e32 v5, vcc, v5, v9, vcc
	s_addc_u32 s7, s19, s7
	v_mov_b32_e32 v7, s7
	v_add_co_u32_e32 v4, vcc, s6, v4
	s_lshl_b64 s[8:9], s[8:9], 7
	v_addc_co_u32_e32 v5, vcc, v7, v5, vcc
	s_mov_b64 s[6:7], 0
	v_mov_b32_e32 v7, 0
	v_mov_b32_e32 v8, s5
	;; [unrolled: 1-line block ×4, first 2 shown]
.LBB526_3:                              ; =>This Inner Loop Header: Depth=1
	global_load_ushort v11, v[0:1], off
	global_load_ushort v12, v[4:5], off
	v_add_co_u32_e32 v0, vcc, s4, v0
	v_addc_co_u32_e32 v1, vcc, v1, v8, vcc
	v_add_co_u32_e32 v4, vcc, s8, v4
	v_add_u32_e32 v10, 64, v10
	v_addc_co_u32_e32 v5, vcc, v5, v9, vcc
	v_cmp_le_i32_e32 vcc, s10, v10
	s_or_b64 s[6:7], vcc, s[6:7]
	s_waitcnt vmcnt(1)
	v_lshlrev_b32_e32 v11, 16, v11
	s_waitcnt vmcnt(0)
	v_lshlrev_b32_e32 v12, 16, v12
	v_fmac_f32_e32 v7, v12, v11
	s_andn2_b64 exec, exec, s[6:7]
	s_cbranch_execnz .LBB526_3
; %bb.4:
	s_or_b64 exec, exec, s[6:7]
.LBB526_5:
	s_or_b64 exec, exec, s[2:3]
	v_mbcnt_lo_u32_b32 v0, -1, 0
	v_mbcnt_hi_u32_b32 v0, -1, v0
	v_and_b32_e32 v1, 63, v0
	v_cmp_gt_u32_e32 vcc, 32, v1
	v_cndmask_b32_e64 v4, 0, 1, vcc
	v_lshlrev_b32_e32 v4, 5, v4
	v_add_lshl_u32 v4, v4, v0, 2
	ds_bpermute_b32 v4, v4, v7
	v_cmp_gt_u32_e32 vcc, 48, v1
	v_cndmask_b32_e64 v5, 0, 1, vcc
	v_lshlrev_b32_e32 v5, 4, v5
	v_add_lshl_u32 v5, v5, v0, 2
	s_waitcnt lgkmcnt(0)
	v_add_f32_e32 v4, v7, v4
	ds_bpermute_b32 v5, v5, v4
	v_cmp_gt_u32_e32 vcc, 56, v1
	v_cndmask_b32_e64 v7, 0, 1, vcc
	v_lshlrev_b32_e32 v7, 3, v7
	v_cmp_gt_u32_e32 vcc, 60, v1
	s_waitcnt lgkmcnt(0)
	v_add_f32_e32 v4, v4, v5
	v_add_lshl_u32 v5, v7, v0, 2
	ds_bpermute_b32 v5, v5, v4
	v_cndmask_b32_e64 v7, 0, 1, vcc
	v_lshlrev_b32_e32 v7, 2, v7
	v_cmp_gt_u32_e32 vcc, 62, v1
	s_waitcnt lgkmcnt(0)
	v_add_f32_e32 v4, v4, v5
	v_add_lshl_u32 v5, v7, v0, 2
	ds_bpermute_b32 v5, v5, v4
	v_cndmask_b32_e64 v7, 0, 1, vcc
	v_lshlrev_b32_e32 v7, 1, v7
	v_cmp_ne_u32_e32 vcc, 63, v1
	v_addc_co_u32_e32 v1, vcc, 0, v0, vcc
	s_waitcnt lgkmcnt(0)
	v_add_f32_e32 v4, v4, v5
	v_add_lshl_u32 v5, v7, v0, 2
	ds_bpermute_b32 v5, v5, v4
	v_lshlrev_b32_e32 v1, 2, v1
	v_cmp_eq_u32_e32 vcc, 0, v6
	s_barrier
	s_waitcnt lgkmcnt(0)
	v_add_f32_e32 v0, v4, v5
	ds_bpermute_b32 v1, v1, v0
	s_and_b64 exec, exec, vcc
	s_cbranch_execz .LBB526_11
; %bb.6:
	s_waitcnt lgkmcnt(0)
	v_add_f32_e32 v1, v0, v1
	s_mov_b32 s2, 0x7f800000
	v_and_b32_e32 v0, 0x7f800000, v1
	v_cmp_ne_u32_e32 vcc, s2, v0
                                        ; implicit-def: $vgpr0
	s_and_saveexec_b64 s[2:3], vcc
	s_xor_b64 s[2:3], exec, s[2:3]
; %bb.7:
	v_bfe_u32 v0, v1, 16, 1
	s_movk_i32 s4, 0x7fff
	v_add3_u32 v0, v1, v0, s4
                                        ; implicit-def: $vgpr1
; %bb.8:
	s_andn2_saveexec_b64 s[2:3], s[2:3]
; %bb.9:
	v_mov_b32_e32 v0, 0
	v_or_b32_e32 v4, 0x10000, v1
	v_cmp_eq_u32_sdwa vcc, v1, v0 src0_sel:WORD_0 src1_sel:DWORD
	v_cndmask_b32_e32 v0, v4, v1, vcc
; %bb.10:
	s_or_b64 exec, exec, s[2:3]
	v_lshlrev_b64 v[2:3], 1, v[2:3]
	v_mov_b32_e32 v1, s1
	v_add_co_u32_e32 v2, vcc, s0, v2
	v_addc_co_u32_e32 v3, vcc, v1, v3, vcc
	global_store_short_d16_hi v[2:3], v0, off
.LBB526_11:
	s_endpgm
	.section	.rodata,"a",@progbits
	.p2align	6, 0x0
	.amdhsa_kernel _ZL28rocblas_dot_batched_4_kernelIiLi64ELi4ELb1Ef16rocblas_bfloat16PKS0_EviT5_lT_lS3_lS4_liPT4_
		.amdhsa_group_segment_fixed_size 0
		.amdhsa_private_segment_fixed_size 0
		.amdhsa_kernarg_size 88
		.amdhsa_user_sgpr_count 6
		.amdhsa_user_sgpr_private_segment_buffer 1
		.amdhsa_user_sgpr_dispatch_ptr 0
		.amdhsa_user_sgpr_queue_ptr 0
		.amdhsa_user_sgpr_kernarg_segment_ptr 1
		.amdhsa_user_sgpr_dispatch_id 0
		.amdhsa_user_sgpr_flat_scratch_init 0
		.amdhsa_user_sgpr_kernarg_preload_length 0
		.amdhsa_user_sgpr_kernarg_preload_offset 0
		.amdhsa_user_sgpr_private_segment_size 0
		.amdhsa_uses_dynamic_stack 0
		.amdhsa_system_sgpr_private_segment_wavefront_offset 0
		.amdhsa_system_sgpr_workgroup_id_x 1
		.amdhsa_system_sgpr_workgroup_id_y 0
		.amdhsa_system_sgpr_workgroup_id_z 0
		.amdhsa_system_sgpr_workgroup_info 0
		.amdhsa_system_vgpr_workitem_id 1
		.amdhsa_next_free_vgpr 13
		.amdhsa_next_free_sgpr 24
		.amdhsa_accum_offset 16
		.amdhsa_reserve_vcc 1
		.amdhsa_reserve_flat_scratch 0
		.amdhsa_float_round_mode_32 0
		.amdhsa_float_round_mode_16_64 0
		.amdhsa_float_denorm_mode_32 3
		.amdhsa_float_denorm_mode_16_64 3
		.amdhsa_dx10_clamp 1
		.amdhsa_ieee_mode 1
		.amdhsa_fp16_overflow 0
		.amdhsa_tg_split 0
		.amdhsa_exception_fp_ieee_invalid_op 0
		.amdhsa_exception_fp_denorm_src 0
		.amdhsa_exception_fp_ieee_div_zero 0
		.amdhsa_exception_fp_ieee_overflow 0
		.amdhsa_exception_fp_ieee_underflow 0
		.amdhsa_exception_fp_ieee_inexact 0
		.amdhsa_exception_int_div_zero 0
	.end_amdhsa_kernel
	.section	.text._ZL28rocblas_dot_batched_4_kernelIiLi64ELi4ELb1Ef16rocblas_bfloat16PKS0_EviT5_lT_lS3_lS4_liPT4_,"axG",@progbits,_ZL28rocblas_dot_batched_4_kernelIiLi64ELi4ELb1Ef16rocblas_bfloat16PKS0_EviT5_lT_lS3_lS4_liPT4_,comdat
.Lfunc_end526:
	.size	_ZL28rocblas_dot_batched_4_kernelIiLi64ELi4ELb1Ef16rocblas_bfloat16PKS0_EviT5_lT_lS3_lS4_liPT4_, .Lfunc_end526-_ZL28rocblas_dot_batched_4_kernelIiLi64ELi4ELb1Ef16rocblas_bfloat16PKS0_EviT5_lT_lS3_lS4_liPT4_
                                        ; -- End function
	.section	.AMDGPU.csdata,"",@progbits
; Kernel info:
; codeLenInByte = 792
; NumSgprs: 28
; NumVgprs: 13
; NumAgprs: 0
; TotalNumVgprs: 13
; ScratchSize: 0
; MemoryBound: 0
; FloatMode: 240
; IeeeMode: 1
; LDSByteSize: 0 bytes/workgroup (compile time only)
; SGPRBlocks: 3
; VGPRBlocks: 1
; NumSGPRsForWavesPerEU: 28
; NumVGPRsForWavesPerEU: 13
; AccumOffset: 16
; Occupancy: 8
; WaveLimiterHint : 0
; COMPUTE_PGM_RSRC2:SCRATCH_EN: 0
; COMPUTE_PGM_RSRC2:USER_SGPR: 6
; COMPUTE_PGM_RSRC2:TRAP_HANDLER: 0
; COMPUTE_PGM_RSRC2:TGID_X_EN: 1
; COMPUTE_PGM_RSRC2:TGID_Y_EN: 0
; COMPUTE_PGM_RSRC2:TGID_Z_EN: 0
; COMPUTE_PGM_RSRC2:TIDIG_COMP_CNT: 1
; COMPUTE_PGM_RSRC3_GFX90A:ACCUM_OFFSET: 3
; COMPUTE_PGM_RSRC3_GFX90A:TG_SPLIT: 0
	.section	.text._ZL26rocblas_dot_kernel_inc1by2ILb1ELi1024ELi32ELb1E16rocblas_bfloat16PKS0_fEviT4_llS3_lliPT5_PT3_,"axG",@progbits,_ZL26rocblas_dot_kernel_inc1by2ILb1ELi1024ELi32ELb1E16rocblas_bfloat16PKS0_fEviT4_llS3_lliPT5_PT3_,comdat
	.globl	_ZL26rocblas_dot_kernel_inc1by2ILb1ELi1024ELi32ELb1E16rocblas_bfloat16PKS0_fEviT4_llS3_lliPT5_PT3_ ; -- Begin function _ZL26rocblas_dot_kernel_inc1by2ILb1ELi1024ELi32ELb1E16rocblas_bfloat16PKS0_fEviT4_llS3_lliPT5_PT3_
	.p2align	8
	.type	_ZL26rocblas_dot_kernel_inc1by2ILb1ELi1024ELi32ELb1E16rocblas_bfloat16PKS0_fEviT4_llS3_lliPT5_PT3_,@function
_ZL26rocblas_dot_kernel_inc1by2ILb1ELi1024ELi32ELb1E16rocblas_bfloat16PKS0_fEviT4_llS3_lliPT5_PT3_: ; @_ZL26rocblas_dot_kernel_inc1by2ILb1ELi1024ELi32ELb1E16rocblas_bfloat16PKS0_fEviT4_llS3_lliPT5_PT3_
; %bb.0:
	s_mov_b32 s2, s7
	s_load_dword s24, s[4:5], 0x0
	s_load_dwordx2 s[18:19], s[4:5], 0x8
	s_load_dwordx4 s[12:15], s[4:5], 0x10
	s_load_dwordx2 s[16:17], s[4:5], 0x20
	s_load_dwordx2 s[6:7], s[4:5], 0x48
	s_load_dwordx4 s[8:11], s[4:5], 0x28
	v_lshlrev_b32_e32 v6, 1, v0
	s_waitcnt lgkmcnt(0)
	s_mul_i32 s0, s2, s15
	s_mul_hi_u32 s1, s2, s14
	s_add_i32 s15, s1, s0
	s_mul_i32 s0, s2, s11
	s_mul_hi_u32 s1, s2, s10
	s_add_i32 s4, s24, -1
	s_mov_b32 s3, 0
	s_mul_i32 s14, s2, s14
	s_add_i32 s11, s1, s0
	s_mul_i32 s10, s2, s10
	v_cmp_gt_i32_e32 vcc, s4, v6
	v_mov_b32_e32 v1, 0
	s_and_saveexec_b64 s[20:21], vcc
	s_cbranch_execz .LBB527_4
; %bb.1:
	s_lshl_b64 s[0:1], s[10:11], 1
	s_lshl_b64 s[22:23], s[8:9], 1
	s_add_u32 s5, s16, s22
	s_addc_u32 s22, s17, s23
	s_add_u32 s0, s5, s0
	v_lshlrev_b32_e32 v4, 2, v0
	s_addc_u32 s1, s22, s1
	v_mov_b32_e32 v3, s1
	v_add_co_u32_e32 v2, vcc, s0, v4
	s_lshl_b64 s[0:1], s[14:15], 1
	s_lshl_b64 s[22:23], s[12:13], 1
	s_add_u32 s5, s18, s22
	s_addc_u32 s22, s19, s23
	s_add_u32 s0, s5, s0
	v_addc_co_u32_e32 v3, vcc, 0, v3, vcc
	s_addc_u32 s1, s22, s1
	v_mov_b32_e32 v5, s1
	v_add_co_u32_e32 v4, vcc, s0, v4
	v_mov_b32_e32 v1, 0
	v_addc_co_u32_e32 v5, vcc, 0, v5, vcc
	s_mov_b64 s[22:23], 0
	s_mov_b32 s5, s3
.LBB527_2:                              ; =>This Inner Loop Header: Depth=1
	global_load_dword v7, v[2:3], off
	global_load_dword v10, v[4:5], off
	s_add_i32 s25, s5, 1
	v_add_u32_e32 v6, 0x800, v6
	s_cmp_gt_u32 s5, 30
	v_add_co_u32_e32 v2, vcc, 0x1000, v2
	v_cmp_le_i32_e64 s[0:1], s4, v6
	s_cselect_b64 s[26:27], -1, 0
	v_addc_co_u32_e32 v3, vcc, 0, v3, vcc
	s_or_b64 s[0:1], s[26:27], s[0:1]
	v_add_co_u32_e32 v4, vcc, 0x1000, v4
	s_and_b64 s[0:1], exec, s[0:1]
	s_mov_b32 s5, s25
	v_addc_co_u32_e32 v5, vcc, 0, v5, vcc
	s_or_b64 s[22:23], s[0:1], s[22:23]
	s_waitcnt vmcnt(1)
	v_and_b32_e32 v9, 0xffff0000, v7
	v_lshlrev_b32_e32 v8, 16, v7
	s_waitcnt vmcnt(0)
	v_and_b32_e32 v11, 0xffff0000, v10
	v_lshlrev_b32_e32 v10, 16, v10
	v_pk_mul_f32 v[8:9], v[8:9], v[10:11]
	v_add_f32_e32 v1, v1, v8
	v_add_f32_e32 v1, v1, v9
	s_andn2_b64 exec, exec, s[22:23]
	s_cbranch_execnz .LBB527_2
; %bb.3:
	s_or_b64 exec, exec, s[22:23]
.LBB527_4:
	s_or_b64 exec, exec, s[20:21]
	s_bitcmp1_b32 s24, 0
	s_cselect_b64 s[0:1], -1, 0
	v_cmp_eq_u32_e32 vcc, s4, v6
	s_and_b64 s[20:21], s[0:1], vcc
	s_and_saveexec_b64 s[0:1], s[20:21]
	s_cbranch_execz .LBB527_6
; %bb.5:
	s_lshl_b64 s[14:15], s[14:15], 1
	s_add_u32 s5, s18, s14
	s_addc_u32 s14, s19, s15
	s_lshl_b64 s[12:13], s[12:13], 1
	s_add_u32 s12, s5, s12
	s_addc_u32 s13, s14, s13
	;; [unrolled: 3-line block ×3, first 2 shown]
	s_lshl_b64 s[8:9], s[8:9], 1
	s_add_u32 s8, s5, s8
	s_mov_b32 s5, 0
	s_addc_u32 s9, s10, s9
	s_lshl_b64 s[4:5], s[4:5], 1
	s_add_u32 s8, s8, s4
	s_addc_u32 s9, s9, s5
	v_mov_b32_e32 v2, 0
	s_add_u32 s4, s12, s4
	s_addc_u32 s5, s13, s5
	global_load_ushort v3, v2, s[8:9]
	global_load_ushort v4, v2, s[4:5]
	s_waitcnt vmcnt(1)
	v_lshlrev_b32_e32 v2, 16, v3
	s_waitcnt vmcnt(0)
	v_lshlrev_b32_e32 v3, 16, v4
	v_fmac_f32_e32 v1, v3, v2
.LBB527_6:
	s_or_b64 exec, exec, s[0:1]
	v_and_b32_e32 v3, 63, v0
	v_cmp_gt_u32_e32 vcc, 64, v0
	v_lshlrev_b32_e32 v2, 2, v3
	s_and_saveexec_b64 s[0:1], vcc
	s_cbranch_execz .LBB527_8
; %bb.7:
	v_mov_b32_e32 v4, 0
	ds_write_b32 v2, v4
.LBB527_8:
	s_or_b64 exec, exec, s[0:1]
	v_mbcnt_lo_u32_b32 v4, -1, 0
	v_mbcnt_hi_u32_b32 v6, -1, v4
	v_and_b32_e32 v7, 63, v6
	v_cmp_gt_u32_e64 s[0:1], 32, v7
	v_cndmask_b32_e64 v4, 0, 1, s[0:1]
	v_lshlrev_b32_e32 v4, 5, v4
	v_add_lshl_u32 v4, v4, v6, 2
	ds_bpermute_b32 v4, v4, v1
	v_cmp_gt_u32_e64 s[0:1], 48, v7
	v_cndmask_b32_e64 v5, 0, 1, s[0:1]
	v_lshlrev_b32_e32 v5, 4, v5
	v_cmp_gt_u32_e64 s[0:1], 56, v7
	s_waitcnt lgkmcnt(0)
	v_add_f32_e32 v1, v1, v4
	v_add_lshl_u32 v4, v5, v6, 2
	ds_bpermute_b32 v4, v4, v1
	v_cndmask_b32_e64 v5, 0, 1, s[0:1]
	v_lshlrev_b32_e32 v5, 3, v5
	v_cmp_gt_u32_e64 s[0:1], 60, v7
	v_cndmask_b32_e64 v8, 0, 1, s[0:1]
	s_waitcnt lgkmcnt(0)
	v_add_f32_e32 v4, v1, v4
	v_add_lshl_u32 v1, v5, v6, 2
	ds_bpermute_b32 v5, v1, v4
	v_lshlrev_b32_e32 v8, 2, v8
	v_cmp_gt_u32_e64 s[0:1], 62, v7
	v_cndmask_b32_e64 v9, 0, 1, s[0:1]
	v_lshlrev_b32_e32 v9, 1, v9
	s_waitcnt lgkmcnt(0)
	v_add_f32_e32 v5, v4, v5
	v_add_lshl_u32 v4, v8, v6, 2
	ds_bpermute_b32 v8, v4, v5
	v_cmp_ne_u32_e64 s[0:1], 63, v7
	s_waitcnt lgkmcnt(0)
	s_barrier
	v_add_f32_e32 v8, v5, v8
	v_add_lshl_u32 v5, v9, v6, 2
	ds_bpermute_b32 v9, v5, v8
	v_addc_co_u32_e64 v6, s[0:1], 0, v6, s[0:1]
	v_lshlrev_b32_e32 v6, 2, v6
	v_cmp_eq_u32_e64 s[0:1], 0, v3
	s_waitcnt lgkmcnt(0)
	v_add_f32_e32 v7, v8, v9
	ds_bpermute_b32 v8, v6, v7
	s_and_saveexec_b64 s[4:5], s[0:1]
	s_cbranch_execz .LBB527_10
; %bb.9:
	s_waitcnt lgkmcnt(0)
	v_add_f32_e32 v3, v7, v8
	v_lshrrev_b32_e32 v7, 4, v0
	v_and_b32_e32 v7, 60, v7
	ds_write_b32 v7, v3
.LBB527_10:
	s_or_b64 exec, exec, s[4:5]
	v_cmp_gt_u32_e64 s[0:1], 16, v0
	v_mov_b32_e32 v3, 0
	s_waitcnt lgkmcnt(0)
	s_barrier
	s_and_saveexec_b64 s[4:5], s[0:1]
	s_cbranch_execnz .LBB527_14
; %bb.11:
	s_or_b64 exec, exec, s[4:5]
	s_and_saveexec_b64 s[0:1], vcc
	s_cbranch_execnz .LBB527_15
.LBB527_12:
	s_or_b64 exec, exec, s[0:1]
	v_cmp_eq_u32_e32 vcc, 0, v0
	s_and_saveexec_b64 s[0:1], vcc
	s_cbranch_execnz .LBB527_16
.LBB527_13:
	s_endpgm
.LBB527_14:
	ds_read_b32 v3, v2
	s_or_b64 exec, exec, s[4:5]
	s_and_saveexec_b64 s[0:1], vcc
	s_cbranch_execz .LBB527_12
.LBB527_15:
	s_waitcnt lgkmcnt(0)
	ds_bpermute_b32 v1, v1, v3
	s_waitcnt lgkmcnt(0)
	v_add_f32_e32 v1, v3, v1
	ds_bpermute_b32 v2, v4, v1
	s_waitcnt lgkmcnt(0)
	v_add_f32_e32 v1, v1, v2
	;; [unrolled: 3-line block ×4, first 2 shown]
	s_or_b64 exec, exec, s[0:1]
	v_cmp_eq_u32_e32 vcc, 0, v0
	s_and_saveexec_b64 s[0:1], vcc
	s_cbranch_execz .LBB527_13
.LBB527_16:
	s_mov_b32 s0, 0x7f800000
	s_waitcnt lgkmcnt(0)
	v_and_b32_e32 v0, 0x7f800000, v3
	v_cmp_ne_u32_e32 vcc, s0, v0
                                        ; implicit-def: $vgpr0
	s_and_saveexec_b64 s[0:1], vcc
	s_xor_b64 s[0:1], exec, s[0:1]
; %bb.17:
	v_bfe_u32 v0, v3, 16, 1
	s_movk_i32 s4, 0x7fff
	v_add3_u32 v0, v3, v0, s4
                                        ; implicit-def: $vgpr3
; %bb.18:
	s_andn2_saveexec_b64 s[0:1], s[0:1]
; %bb.19:
	v_mov_b32_e32 v0, 0
	v_or_b32_e32 v1, 0x10000, v3
	v_cmp_eq_u32_sdwa vcc, v3, v0 src0_sel:WORD_0 src1_sel:DWORD
	v_cndmask_b32_e32 v0, v1, v3, vcc
; %bb.20:
	s_or_b64 exec, exec, s[0:1]
	s_lshl_b64 s[0:1], s[2:3], 1
	s_add_u32 s0, s6, s0
	s_addc_u32 s1, s7, s1
	v_mov_b32_e32 v1, 0
	global_store_short_d16_hi v1, v0, s[0:1]
	s_endpgm
	.section	.rodata,"a",@progbits
	.p2align	6, 0x0
	.amdhsa_kernel _ZL26rocblas_dot_kernel_inc1by2ILb1ELi1024ELi32ELb1E16rocblas_bfloat16PKS0_fEviT4_llS3_lliPT5_PT3_
		.amdhsa_group_segment_fixed_size 256
		.amdhsa_private_segment_fixed_size 0
		.amdhsa_kernarg_size 80
		.amdhsa_user_sgpr_count 6
		.amdhsa_user_sgpr_private_segment_buffer 1
		.amdhsa_user_sgpr_dispatch_ptr 0
		.amdhsa_user_sgpr_queue_ptr 0
		.amdhsa_user_sgpr_kernarg_segment_ptr 1
		.amdhsa_user_sgpr_dispatch_id 0
		.amdhsa_user_sgpr_flat_scratch_init 0
		.amdhsa_user_sgpr_kernarg_preload_length 0
		.amdhsa_user_sgpr_kernarg_preload_offset 0
		.amdhsa_user_sgpr_private_segment_size 0
		.amdhsa_uses_dynamic_stack 0
		.amdhsa_system_sgpr_private_segment_wavefront_offset 0
		.amdhsa_system_sgpr_workgroup_id_x 1
		.amdhsa_system_sgpr_workgroup_id_y 0
		.amdhsa_system_sgpr_workgroup_id_z 1
		.amdhsa_system_sgpr_workgroup_info 0
		.amdhsa_system_vgpr_workitem_id 0
		.amdhsa_next_free_vgpr 12
		.amdhsa_next_free_sgpr 28
		.amdhsa_accum_offset 12
		.amdhsa_reserve_vcc 1
		.amdhsa_reserve_flat_scratch 0
		.amdhsa_float_round_mode_32 0
		.amdhsa_float_round_mode_16_64 0
		.amdhsa_float_denorm_mode_32 3
		.amdhsa_float_denorm_mode_16_64 3
		.amdhsa_dx10_clamp 1
		.amdhsa_ieee_mode 1
		.amdhsa_fp16_overflow 0
		.amdhsa_tg_split 0
		.amdhsa_exception_fp_ieee_invalid_op 0
		.amdhsa_exception_fp_denorm_src 0
		.amdhsa_exception_fp_ieee_div_zero 0
		.amdhsa_exception_fp_ieee_overflow 0
		.amdhsa_exception_fp_ieee_underflow 0
		.amdhsa_exception_fp_ieee_inexact 0
		.amdhsa_exception_int_div_zero 0
	.end_amdhsa_kernel
	.section	.text._ZL26rocblas_dot_kernel_inc1by2ILb1ELi1024ELi32ELb1E16rocblas_bfloat16PKS0_fEviT4_llS3_lliPT5_PT3_,"axG",@progbits,_ZL26rocblas_dot_kernel_inc1by2ILb1ELi1024ELi32ELb1E16rocblas_bfloat16PKS0_fEviT4_llS3_lliPT5_PT3_,comdat
.Lfunc_end527:
	.size	_ZL26rocblas_dot_kernel_inc1by2ILb1ELi1024ELi32ELb1E16rocblas_bfloat16PKS0_fEviT4_llS3_lliPT5_PT3_, .Lfunc_end527-_ZL26rocblas_dot_kernel_inc1by2ILb1ELi1024ELi32ELb1E16rocblas_bfloat16PKS0_fEviT4_llS3_lliPT5_PT3_
                                        ; -- End function
	.section	.AMDGPU.csdata,"",@progbits
; Kernel info:
; codeLenInByte = 1120
; NumSgprs: 32
; NumVgprs: 12
; NumAgprs: 0
; TotalNumVgprs: 12
; ScratchSize: 0
; MemoryBound: 0
; FloatMode: 240
; IeeeMode: 1
; LDSByteSize: 256 bytes/workgroup (compile time only)
; SGPRBlocks: 3
; VGPRBlocks: 1
; NumSGPRsForWavesPerEU: 32
; NumVGPRsForWavesPerEU: 12
; AccumOffset: 12
; Occupancy: 8
; WaveLimiterHint : 0
; COMPUTE_PGM_RSRC2:SCRATCH_EN: 0
; COMPUTE_PGM_RSRC2:USER_SGPR: 6
; COMPUTE_PGM_RSRC2:TRAP_HANDLER: 0
; COMPUTE_PGM_RSRC2:TGID_X_EN: 1
; COMPUTE_PGM_RSRC2:TGID_Y_EN: 0
; COMPUTE_PGM_RSRC2:TGID_Z_EN: 1
; COMPUTE_PGM_RSRC2:TIDIG_COMP_CNT: 0
; COMPUTE_PGM_RSRC3_GFX90A:ACCUM_OFFSET: 2
; COMPUTE_PGM_RSRC3_GFX90A:TG_SPLIT: 0
	.section	.text._ZL18rocblas_dot_kernelIiLb1ELi1024ELi32ELb1E16rocblas_bfloat16PKS0_fEviT5_lT_lS3_lS4_liPT6_PT4_,"axG",@progbits,_ZL18rocblas_dot_kernelIiLb1ELi1024ELi32ELb1E16rocblas_bfloat16PKS0_fEviT5_lT_lS3_lS4_liPT6_PT4_,comdat
	.globl	_ZL18rocblas_dot_kernelIiLb1ELi1024ELi32ELb1E16rocblas_bfloat16PKS0_fEviT5_lT_lS3_lS4_liPT6_PT4_ ; -- Begin function _ZL18rocblas_dot_kernelIiLb1ELi1024ELi32ELb1E16rocblas_bfloat16PKS0_fEviT5_lT_lS3_lS4_liPT6_PT4_
	.p2align	8
	.type	_ZL18rocblas_dot_kernelIiLb1ELi1024ELi32ELb1E16rocblas_bfloat16PKS0_fEviT5_lT_lS3_lS4_liPT6_PT4_,@function
_ZL18rocblas_dot_kernelIiLb1ELi1024ELi32ELb1E16rocblas_bfloat16PKS0_fEviT5_lT_lS3_lS4_liPT6_PT4_: ; @_ZL18rocblas_dot_kernelIiLb1ELi1024ELi32ELb1E16rocblas_bfloat16PKS0_fEviT5_lT_lS3_lS4_liPT6_PT4_
; %bb.0:
	s_load_dword s14, s[4:5], 0x0
	s_load_dwordx2 s[8:9], s[4:5], 0x58
	s_mov_b32 s6, s7
	s_mov_b32 s7, 0
	v_mov_b32_e32 v6, 0
	s_waitcnt lgkmcnt(0)
	v_cmp_gt_i32_e32 vcc, s14, v0
	s_and_saveexec_b64 s[10:11], vcc
	s_cbranch_execz .LBB528_4
; %bb.1:
	s_load_dword s22, s[4:5], 0x38
	s_load_dwordx2 s[12:13], s[4:5], 0x40
	s_load_dword s15, s[4:5], 0x60
	s_load_dwordx4 s[0:3], s[4:5], 0x20
	s_load_dwordx4 s[16:19], s[4:5], 0x8
	s_load_dword s23, s[4:5], 0x18
	s_load_dwordx2 s[20:21], s[4:5], 0x30
	s_waitcnt lgkmcnt(0)
	s_lshl_b32 s15, s15, 10
	s_mul_i32 s1, s1, s6
	s_mul_hi_u32 s4, s0, s6
	s_add_i32 s1, s4, s1
	s_mul_i32 s0, s0, s6
	v_mad_i64_i32 v[2:3], s[4:5], s23, v0, 0
	s_lshl_b64 s[0:1], s[0:1], 1
	s_lshl_b64 s[4:5], s[18:19], 1
	s_add_u32 s4, s16, s4
	s_addc_u32 s5, s17, s5
	s_add_u32 s0, s4, s0
	v_lshlrev_b64 v[2:3], 1, v[2:3]
	s_addc_u32 s1, s5, s1
	v_mov_b32_e32 v4, s1
	v_add_co_u32_e32 v2, vcc, s0, v2
	s_mul_hi_i32 s1, s23, s15
	s_mul_i32 s0, s23, s15
	s_lshl_b64 s[4:5], s[0:1], 1
	s_mul_i32 s0, s13, s6
	s_mul_hi_u32 s1, s12, s6
	v_addc_co_u32_e32 v3, vcc, v4, v3, vcc
	s_add_i32 s1, s1, s0
	s_mul_i32 s0, s12, s6
	v_mad_i64_i32 v[4:5], s[12:13], s22, v0, 0
	s_lshl_b64 s[0:1], s[0:1], 1
	s_lshl_b64 s[12:13], s[20:21], 1
	s_add_u32 s2, s2, s12
	s_addc_u32 s3, s3, s13
	s_add_u32 s0, s2, s0
	v_lshlrev_b64 v[4:5], 1, v[4:5]
	s_addc_u32 s1, s3, s1
	v_mov_b32_e32 v6, s1
	v_add_co_u32_e32 v4, vcc, s0, v4
	s_mul_hi_i32 s1, s22, s15
	s_mul_i32 s0, s22, s15
	s_lshl_b64 s[12:13], s[0:1], 1
	v_or_b32_e32 v1, s15, v0
	v_addc_co_u32_e32 v5, vcc, v6, v5, vcc
	s_mov_b64 s[2:3], 0
	v_mov_b32_e32 v6, 0
	v_mov_b32_e32 v7, s5
	;; [unrolled: 1-line block ×3, first 2 shown]
	s_mov_b32 s5, s7
.LBB528_2:                              ; =>This Inner Loop Header: Depth=1
	global_load_ushort v9, v[4:5], off
	global_load_ushort v10, v[2:3], off
	v_add_co_u32_e64 v2, s[0:1], s4, v2
	v_addc_co_u32_e64 v3, s[0:1], v3, v7, s[0:1]
	s_add_i32 s13, s5, 1
	v_add_co_u32_e64 v4, s[0:1], s12, v4
	v_addc_co_u32_e64 v5, s[0:1], v5, v8, s[0:1]
	s_cmp_gt_u32 s5, 30
	v_cmp_le_i32_e32 vcc, s14, v1
	s_cselect_b64 s[0:1], -1, 0
	s_or_b64 s[0:1], s[0:1], vcc
	s_and_b64 s[0:1], exec, s[0:1]
	v_add_u32_e32 v1, s15, v1
	s_mov_b32 s5, s13
	s_or_b64 s[2:3], s[0:1], s[2:3]
	s_waitcnt vmcnt(1)
	v_lshlrev_b32_e32 v9, 16, v9
	s_waitcnt vmcnt(0)
	v_lshlrev_b32_e32 v10, 16, v10
	v_fmac_f32_e32 v6, v10, v9
	s_andn2_b64 exec, exec, s[2:3]
	s_cbranch_execnz .LBB528_2
; %bb.3:
	s_or_b64 exec, exec, s[2:3]
.LBB528_4:
	s_or_b64 exec, exec, s[10:11]
	v_and_b32_e32 v2, 63, v0
	v_cmp_gt_u32_e32 vcc, 64, v0
	v_lshlrev_b32_e32 v1, 2, v2
	s_and_saveexec_b64 s[0:1], vcc
	s_cbranch_execz .LBB528_6
; %bb.5:
	v_mov_b32_e32 v3, 0
	ds_write_b32 v1, v3
.LBB528_6:
	s_or_b64 exec, exec, s[0:1]
	v_mbcnt_lo_u32_b32 v3, -1, 0
	v_mbcnt_hi_u32_b32 v7, -1, v3
	v_and_b32_e32 v8, 63, v7
	v_cmp_gt_u32_e64 s[0:1], 32, v8
	v_cndmask_b32_e64 v3, 0, 1, s[0:1]
	v_lshlrev_b32_e32 v3, 5, v3
	v_add_lshl_u32 v3, v3, v7, 2
	ds_bpermute_b32 v3, v3, v6
	v_cmp_gt_u32_e64 s[0:1], 48, v8
	v_cndmask_b32_e64 v4, 0, 1, s[0:1]
	v_lshlrev_b32_e32 v4, 4, v4
	v_add_lshl_u32 v4, v4, v7, 2
	s_waitcnt lgkmcnt(0)
	v_add_f32_e32 v3, v6, v3
	ds_bpermute_b32 v4, v4, v3
	v_cmp_gt_u32_e64 s[0:1], 56, v8
	v_cndmask_b32_e64 v5, 0, 1, s[0:1]
	v_lshlrev_b32_e32 v5, 3, v5
	v_cmp_gt_u32_e64 s[0:1], 60, v8
	s_waitcnt lgkmcnt(0)
	v_add_f32_e32 v4, v3, v4
	v_add_lshl_u32 v3, v5, v7, 2
	ds_bpermute_b32 v5, v3, v4
	v_cndmask_b32_e64 v6, 0, 1, s[0:1]
	v_lshlrev_b32_e32 v6, 2, v6
	v_cmp_gt_u32_e64 s[0:1], 62, v8
	v_cndmask_b32_e64 v9, 0, 1, s[0:1]
	s_waitcnt lgkmcnt(0)
	v_add_f32_e32 v5, v4, v5
	v_add_lshl_u32 v4, v6, v7, 2
	ds_bpermute_b32 v6, v4, v5
	v_lshlrev_b32_e32 v9, 1, v9
	v_cmp_ne_u32_e64 s[0:1], 63, v8
	v_addc_co_u32_e64 v8, s[0:1], 0, v7, s[0:1]
	s_waitcnt lgkmcnt(0)
	v_add_f32_e32 v6, v5, v6
	v_add_lshl_u32 v5, v9, v7, 2
	ds_bpermute_b32 v9, v5, v6
	v_cmp_eq_u32_e64 s[0:1], 0, v2
	s_waitcnt lgkmcnt(0)
	s_barrier
	v_add_f32_e32 v7, v6, v9
	v_lshlrev_b32_e32 v6, 2, v8
	ds_bpermute_b32 v8, v6, v7
	s_and_saveexec_b64 s[2:3], s[0:1]
	s_cbranch_execz .LBB528_8
; %bb.7:
	s_waitcnt lgkmcnt(0)
	v_add_f32_e32 v2, v7, v8
	v_lshrrev_b32_e32 v7, 4, v0
	v_and_b32_e32 v7, 60, v7
	ds_write_b32 v7, v2
.LBB528_8:
	s_or_b64 exec, exec, s[2:3]
	v_cmp_gt_u32_e64 s[0:1], 16, v0
	v_mov_b32_e32 v2, 0
	s_waitcnt lgkmcnt(0)
	s_barrier
	s_and_saveexec_b64 s[2:3], s[0:1]
	s_cbranch_execnz .LBB528_12
; %bb.9:
	s_or_b64 exec, exec, s[2:3]
	s_and_saveexec_b64 s[0:1], vcc
	s_cbranch_execnz .LBB528_13
.LBB528_10:
	s_or_b64 exec, exec, s[0:1]
	v_cmp_eq_u32_e32 vcc, 0, v0
	s_and_saveexec_b64 s[0:1], vcc
	s_cbranch_execnz .LBB528_14
.LBB528_11:
	s_endpgm
.LBB528_12:
	ds_read_b32 v2, v1
	s_or_b64 exec, exec, s[2:3]
	s_and_saveexec_b64 s[0:1], vcc
	s_cbranch_execz .LBB528_10
.LBB528_13:
	s_waitcnt lgkmcnt(0)
	ds_bpermute_b32 v1, v3, v2
	s_waitcnt lgkmcnt(0)
	v_add_f32_e32 v1, v2, v1
	ds_bpermute_b32 v2, v4, v1
	s_waitcnt lgkmcnt(0)
	v_add_f32_e32 v1, v1, v2
	ds_bpermute_b32 v2, v5, v1
	s_waitcnt lgkmcnt(0)
	v_add_f32_e32 v1, v1, v2
	ds_bpermute_b32 v2, v6, v1
	s_waitcnt lgkmcnt(0)
	v_add_f32_e32 v2, v1, v2
	s_or_b64 exec, exec, s[0:1]
	v_cmp_eq_u32_e32 vcc, 0, v0
	s_and_saveexec_b64 s[0:1], vcc
	s_cbranch_execz .LBB528_11
.LBB528_14:
	s_mov_b32 s0, 0x7f800000
	s_waitcnt lgkmcnt(0)
	v_and_b32_e32 v0, 0x7f800000, v2
	v_cmp_ne_u32_e32 vcc, s0, v0
                                        ; implicit-def: $vgpr0
	s_and_saveexec_b64 s[0:1], vcc
	s_xor_b64 s[0:1], exec, s[0:1]
; %bb.15:
	v_bfe_u32 v0, v2, 16, 1
	s_movk_i32 s2, 0x7fff
	v_add3_u32 v0, v2, v0, s2
                                        ; implicit-def: $vgpr2
; %bb.16:
	s_andn2_saveexec_b64 s[0:1], s[0:1]
; %bb.17:
	v_mov_b32_e32 v0, 0
	v_or_b32_e32 v1, 0x10000, v2
	v_cmp_eq_u32_sdwa vcc, v2, v0 src0_sel:WORD_0 src1_sel:DWORD
	v_cndmask_b32_e32 v0, v1, v2, vcc
; %bb.18:
	s_or_b64 exec, exec, s[0:1]
	s_lshl_b64 s[0:1], s[6:7], 1
	s_add_u32 s0, s8, s0
	s_addc_u32 s1, s9, s1
	v_mov_b32_e32 v1, 0
	global_store_short_d16_hi v1, v0, s[0:1]
	s_endpgm
	.section	.rodata,"a",@progbits
	.p2align	6, 0x0
	.amdhsa_kernel _ZL18rocblas_dot_kernelIiLb1ELi1024ELi32ELb1E16rocblas_bfloat16PKS0_fEviT5_lT_lS3_lS4_liPT6_PT4_
		.amdhsa_group_segment_fixed_size 256
		.amdhsa_private_segment_fixed_size 0
		.amdhsa_kernarg_size 352
		.amdhsa_user_sgpr_count 6
		.amdhsa_user_sgpr_private_segment_buffer 1
		.amdhsa_user_sgpr_dispatch_ptr 0
		.amdhsa_user_sgpr_queue_ptr 0
		.amdhsa_user_sgpr_kernarg_segment_ptr 1
		.amdhsa_user_sgpr_dispatch_id 0
		.amdhsa_user_sgpr_flat_scratch_init 0
		.amdhsa_user_sgpr_kernarg_preload_length 0
		.amdhsa_user_sgpr_kernarg_preload_offset 0
		.amdhsa_user_sgpr_private_segment_size 0
		.amdhsa_uses_dynamic_stack 0
		.amdhsa_system_sgpr_private_segment_wavefront_offset 0
		.amdhsa_system_sgpr_workgroup_id_x 1
		.amdhsa_system_sgpr_workgroup_id_y 0
		.amdhsa_system_sgpr_workgroup_id_z 1
		.amdhsa_system_sgpr_workgroup_info 0
		.amdhsa_system_vgpr_workitem_id 0
		.amdhsa_next_free_vgpr 11
		.amdhsa_next_free_sgpr 24
		.amdhsa_accum_offset 12
		.amdhsa_reserve_vcc 1
		.amdhsa_reserve_flat_scratch 0
		.amdhsa_float_round_mode_32 0
		.amdhsa_float_round_mode_16_64 0
		.amdhsa_float_denorm_mode_32 3
		.amdhsa_float_denorm_mode_16_64 3
		.amdhsa_dx10_clamp 1
		.amdhsa_ieee_mode 1
		.amdhsa_fp16_overflow 0
		.amdhsa_tg_split 0
		.amdhsa_exception_fp_ieee_invalid_op 0
		.amdhsa_exception_fp_denorm_src 0
		.amdhsa_exception_fp_ieee_div_zero 0
		.amdhsa_exception_fp_ieee_overflow 0
		.amdhsa_exception_fp_ieee_underflow 0
		.amdhsa_exception_fp_ieee_inexact 0
		.amdhsa_exception_int_div_zero 0
	.end_amdhsa_kernel
	.section	.text._ZL18rocblas_dot_kernelIiLb1ELi1024ELi32ELb1E16rocblas_bfloat16PKS0_fEviT5_lT_lS3_lS4_liPT6_PT4_,"axG",@progbits,_ZL18rocblas_dot_kernelIiLb1ELi1024ELi32ELb1E16rocblas_bfloat16PKS0_fEviT5_lT_lS3_lS4_liPT6_PT4_,comdat
.Lfunc_end528:
	.size	_ZL18rocblas_dot_kernelIiLb1ELi1024ELi32ELb1E16rocblas_bfloat16PKS0_fEviT5_lT_lS3_lS4_liPT6_PT4_, .Lfunc_end528-_ZL18rocblas_dot_kernelIiLb1ELi1024ELi32ELb1E16rocblas_bfloat16PKS0_fEviT5_lT_lS3_lS4_liPT6_PT4_
                                        ; -- End function
	.section	.AMDGPU.csdata,"",@progbits
; Kernel info:
; codeLenInByte = 1040
; NumSgprs: 28
; NumVgprs: 11
; NumAgprs: 0
; TotalNumVgprs: 11
; ScratchSize: 0
; MemoryBound: 0
; FloatMode: 240
; IeeeMode: 1
; LDSByteSize: 256 bytes/workgroup (compile time only)
; SGPRBlocks: 3
; VGPRBlocks: 1
; NumSGPRsForWavesPerEU: 28
; NumVGPRsForWavesPerEU: 11
; AccumOffset: 12
; Occupancy: 8
; WaveLimiterHint : 0
; COMPUTE_PGM_RSRC2:SCRATCH_EN: 0
; COMPUTE_PGM_RSRC2:USER_SGPR: 6
; COMPUTE_PGM_RSRC2:TRAP_HANDLER: 0
; COMPUTE_PGM_RSRC2:TGID_X_EN: 1
; COMPUTE_PGM_RSRC2:TGID_Y_EN: 0
; COMPUTE_PGM_RSRC2:TGID_Z_EN: 1
; COMPUTE_PGM_RSRC2:TIDIG_COMP_CNT: 0
; COMPUTE_PGM_RSRC3_GFX90A:ACCUM_OFFSET: 2
; COMPUTE_PGM_RSRC3_GFX90A:TG_SPLIT: 0
	.section	.text._ZL24rocblas_dot_kernel_magsqIiLb1ELi1024ELi32ELb1E16rocblas_bfloat16PKS0_fEviT5_lT_liPT6_PT4_,"axG",@progbits,_ZL24rocblas_dot_kernel_magsqIiLb1ELi1024ELi32ELb1E16rocblas_bfloat16PKS0_fEviT5_lT_liPT6_PT4_,comdat
	.globl	_ZL24rocblas_dot_kernel_magsqIiLb1ELi1024ELi32ELb1E16rocblas_bfloat16PKS0_fEviT5_lT_liPT6_PT4_ ; -- Begin function _ZL24rocblas_dot_kernel_magsqIiLb1ELi1024ELi32ELb1E16rocblas_bfloat16PKS0_fEviT5_lT_liPT6_PT4_
	.p2align	8
	.type	_ZL24rocblas_dot_kernel_magsqIiLb1ELi1024ELi32ELb1E16rocblas_bfloat16PKS0_fEviT5_lT_liPT6_PT4_,@function
_ZL24rocblas_dot_kernel_magsqIiLb1ELi1024ELi32ELb1E16rocblas_bfloat16PKS0_fEviT5_lT_liPT6_PT4_: ; @_ZL24rocblas_dot_kernel_magsqIiLb1ELi1024ELi32ELb1E16rocblas_bfloat16PKS0_fEviT5_lT_liPT6_PT4_
; %bb.0:
	s_mov_b32 s2, s7
	s_load_dword s12, s[4:5], 0x0
	s_load_dwordx2 s[6:7], s[4:5], 0x38
	s_mov_b32 s3, 0
	v_mov_b32_e32 v1, 0
	s_waitcnt lgkmcnt(0)
	v_cmp_gt_i32_e32 vcc, s12, v0
	s_and_saveexec_b64 s[8:9], vcc
	s_cbranch_execz .LBB529_4
; %bb.1:
	s_load_dword s10, s[4:5], 0x40
	s_load_dwordx2 s[0:1], s[4:5], 0x20
	s_load_dwordx4 s[16:19], s[4:5], 0x8
	s_load_dword s11, s[4:5], 0x18
	s_waitcnt lgkmcnt(0)
	s_lshl_b32 s13, s10, 10
	s_mul_i32 s1, s1, s2
	s_mul_hi_u32 s4, s0, s2
	s_add_i32 s1, s4, s1
	s_mul_i32 s0, s0, s2
	v_mad_i64_i32 v[2:3], s[4:5], s11, v0, 0
	s_lshl_b64 s[0:1], s[0:1], 1
	s_lshl_b64 s[4:5], s[18:19], 1
	s_add_u32 s4, s16, s4
	s_addc_u32 s5, s17, s5
	s_add_u32 s0, s4, s0
	v_lshlrev_b64 v[2:3], 1, v[2:3]
	s_addc_u32 s1, s5, s1
	v_mov_b32_e32 v1, s1
	v_add_co_u32_e32 v2, vcc, s0, v2
	s_mul_hi_i32 s1, s11, s13
	s_mul_i32 s0, s11, s13
	s_lshl_b64 s[10:11], s[0:1], 1
	v_or_b32_e32 v4, s13, v0
	v_addc_co_u32_e32 v3, vcc, v1, v3, vcc
	s_mov_b64 s[4:5], 0
	v_mov_b32_e32 v1, 0
	v_mov_b32_e32 v5, s11
	s_mov_b32 s11, s3
.LBB529_2:                              ; =>This Inner Loop Header: Depth=1
	global_load_ushort v6, v[2:3], off
	s_add_i32 s14, s11, 1
	v_add_co_u32_e64 v2, s[0:1], s10, v2
	v_addc_co_u32_e64 v3, s[0:1], v3, v5, s[0:1]
	s_cmp_gt_u32 s11, 30
	v_cmp_le_i32_e32 vcc, s12, v4
	s_cselect_b64 s[0:1], -1, 0
	s_or_b64 s[0:1], s[0:1], vcc
	s_and_b64 s[0:1], exec, s[0:1]
	v_add_u32_e32 v4, s13, v4
	s_mov_b32 s11, s14
	s_or_b64 s[4:5], s[0:1], s[4:5]
	s_waitcnt vmcnt(0)
	v_lshlrev_b32_e32 v6, 16, v6
	v_fmac_f32_e32 v1, v6, v6
	s_andn2_b64 exec, exec, s[4:5]
	s_cbranch_execnz .LBB529_2
; %bb.3:
	s_or_b64 exec, exec, s[4:5]
.LBB529_4:
	s_or_b64 exec, exec, s[8:9]
	v_and_b32_e32 v3, 63, v0
	v_cmp_gt_u32_e32 vcc, 64, v0
	v_lshlrev_b32_e32 v2, 2, v3
	s_and_saveexec_b64 s[0:1], vcc
	s_cbranch_execz .LBB529_6
; %bb.5:
	v_mov_b32_e32 v4, 0
	ds_write_b32 v2, v4
.LBB529_6:
	s_or_b64 exec, exec, s[0:1]
	v_mbcnt_lo_u32_b32 v4, -1, 0
	v_mbcnt_hi_u32_b32 v6, -1, v4
	v_and_b32_e32 v7, 63, v6
	v_cmp_gt_u32_e64 s[0:1], 32, v7
	v_cndmask_b32_e64 v4, 0, 1, s[0:1]
	v_lshlrev_b32_e32 v4, 5, v4
	v_add_lshl_u32 v4, v4, v6, 2
	ds_bpermute_b32 v4, v4, v1
	v_cmp_gt_u32_e64 s[0:1], 48, v7
	v_cndmask_b32_e64 v5, 0, 1, s[0:1]
	v_lshlrev_b32_e32 v5, 4, v5
	v_cmp_gt_u32_e64 s[0:1], 56, v7
	s_waitcnt lgkmcnt(0)
	v_add_f32_e32 v1, v1, v4
	v_add_lshl_u32 v4, v5, v6, 2
	ds_bpermute_b32 v4, v4, v1
	v_cndmask_b32_e64 v5, 0, 1, s[0:1]
	v_lshlrev_b32_e32 v5, 3, v5
	v_cmp_gt_u32_e64 s[0:1], 60, v7
	v_cndmask_b32_e64 v8, 0, 1, s[0:1]
	s_waitcnt lgkmcnt(0)
	v_add_f32_e32 v4, v1, v4
	v_add_lshl_u32 v1, v5, v6, 2
	ds_bpermute_b32 v5, v1, v4
	v_lshlrev_b32_e32 v8, 2, v8
	v_cmp_gt_u32_e64 s[0:1], 62, v7
	v_cndmask_b32_e64 v9, 0, 1, s[0:1]
	v_lshlrev_b32_e32 v9, 1, v9
	s_waitcnt lgkmcnt(0)
	v_add_f32_e32 v5, v4, v5
	v_add_lshl_u32 v4, v8, v6, 2
	ds_bpermute_b32 v8, v4, v5
	v_cmp_ne_u32_e64 s[0:1], 63, v7
	s_waitcnt lgkmcnt(0)
	s_barrier
	v_add_f32_e32 v8, v5, v8
	v_add_lshl_u32 v5, v9, v6, 2
	ds_bpermute_b32 v9, v5, v8
	v_addc_co_u32_e64 v6, s[0:1], 0, v6, s[0:1]
	v_lshlrev_b32_e32 v6, 2, v6
	v_cmp_eq_u32_e64 s[0:1], 0, v3
	s_waitcnt lgkmcnt(0)
	v_add_f32_e32 v7, v8, v9
	ds_bpermute_b32 v8, v6, v7
	s_and_saveexec_b64 s[4:5], s[0:1]
	s_cbranch_execz .LBB529_8
; %bb.7:
	s_waitcnt lgkmcnt(0)
	v_add_f32_e32 v3, v7, v8
	v_lshrrev_b32_e32 v7, 4, v0
	v_and_b32_e32 v7, 60, v7
	ds_write_b32 v7, v3
.LBB529_8:
	s_or_b64 exec, exec, s[4:5]
	v_cmp_gt_u32_e64 s[0:1], 16, v0
	v_mov_b32_e32 v3, 0
	s_waitcnt lgkmcnt(0)
	s_barrier
	s_and_saveexec_b64 s[4:5], s[0:1]
	s_cbranch_execnz .LBB529_12
; %bb.9:
	s_or_b64 exec, exec, s[4:5]
	s_and_saveexec_b64 s[0:1], vcc
	s_cbranch_execnz .LBB529_13
.LBB529_10:
	s_or_b64 exec, exec, s[0:1]
	v_cmp_eq_u32_e32 vcc, 0, v0
	s_and_saveexec_b64 s[0:1], vcc
	s_cbranch_execnz .LBB529_14
.LBB529_11:
	s_endpgm
.LBB529_12:
	ds_read_b32 v3, v2
	s_or_b64 exec, exec, s[4:5]
	s_and_saveexec_b64 s[0:1], vcc
	s_cbranch_execz .LBB529_10
.LBB529_13:
	s_waitcnt lgkmcnt(0)
	ds_bpermute_b32 v1, v1, v3
	s_waitcnt lgkmcnt(0)
	v_add_f32_e32 v1, v3, v1
	ds_bpermute_b32 v2, v4, v1
	s_waitcnt lgkmcnt(0)
	v_add_f32_e32 v1, v1, v2
	;; [unrolled: 3-line block ×4, first 2 shown]
	s_or_b64 exec, exec, s[0:1]
	v_cmp_eq_u32_e32 vcc, 0, v0
	s_and_saveexec_b64 s[0:1], vcc
	s_cbranch_execz .LBB529_11
.LBB529_14:
	s_mov_b32 s0, 0x7f800000
	s_waitcnt lgkmcnt(0)
	v_and_b32_e32 v0, 0x7f800000, v3
	v_cmp_ne_u32_e32 vcc, s0, v0
                                        ; implicit-def: $vgpr0
	s_and_saveexec_b64 s[0:1], vcc
	s_xor_b64 s[0:1], exec, s[0:1]
; %bb.15:
	v_bfe_u32 v0, v3, 16, 1
	s_movk_i32 s4, 0x7fff
	v_add3_u32 v0, v3, v0, s4
                                        ; implicit-def: $vgpr3
; %bb.16:
	s_andn2_saveexec_b64 s[0:1], s[0:1]
; %bb.17:
	v_mov_b32_e32 v0, 0
	v_or_b32_e32 v1, 0x10000, v3
	v_cmp_eq_u32_sdwa vcc, v3, v0 src0_sel:WORD_0 src1_sel:DWORD
	v_cndmask_b32_e32 v0, v1, v3, vcc
; %bb.18:
	s_or_b64 exec, exec, s[0:1]
	s_lshl_b64 s[0:1], s[2:3], 1
	s_add_u32 s0, s6, s0
	s_addc_u32 s1, s7, s1
	v_mov_b32_e32 v1, 0
	global_store_short_d16_hi v1, v0, s[0:1]
	s_endpgm
	.section	.rodata,"a",@progbits
	.p2align	6, 0x0
	.amdhsa_kernel _ZL24rocblas_dot_kernel_magsqIiLb1ELi1024ELi32ELb1E16rocblas_bfloat16PKS0_fEviT5_lT_liPT6_PT4_
		.amdhsa_group_segment_fixed_size 256
		.amdhsa_private_segment_fixed_size 0
		.amdhsa_kernarg_size 320
		.amdhsa_user_sgpr_count 6
		.amdhsa_user_sgpr_private_segment_buffer 1
		.amdhsa_user_sgpr_dispatch_ptr 0
		.amdhsa_user_sgpr_queue_ptr 0
		.amdhsa_user_sgpr_kernarg_segment_ptr 1
		.amdhsa_user_sgpr_dispatch_id 0
		.amdhsa_user_sgpr_flat_scratch_init 0
		.amdhsa_user_sgpr_kernarg_preload_length 0
		.amdhsa_user_sgpr_kernarg_preload_offset 0
		.amdhsa_user_sgpr_private_segment_size 0
		.amdhsa_uses_dynamic_stack 0
		.amdhsa_system_sgpr_private_segment_wavefront_offset 0
		.amdhsa_system_sgpr_workgroup_id_x 1
		.amdhsa_system_sgpr_workgroup_id_y 0
		.amdhsa_system_sgpr_workgroup_id_z 1
		.amdhsa_system_sgpr_workgroup_info 0
		.amdhsa_system_vgpr_workitem_id 0
		.amdhsa_next_free_vgpr 10
		.amdhsa_next_free_sgpr 20
		.amdhsa_accum_offset 12
		.amdhsa_reserve_vcc 1
		.amdhsa_reserve_flat_scratch 0
		.amdhsa_float_round_mode_32 0
		.amdhsa_float_round_mode_16_64 0
		.amdhsa_float_denorm_mode_32 3
		.amdhsa_float_denorm_mode_16_64 3
		.amdhsa_dx10_clamp 1
		.amdhsa_ieee_mode 1
		.amdhsa_fp16_overflow 0
		.amdhsa_tg_split 0
		.amdhsa_exception_fp_ieee_invalid_op 0
		.amdhsa_exception_fp_denorm_src 0
		.amdhsa_exception_fp_ieee_div_zero 0
		.amdhsa_exception_fp_ieee_overflow 0
		.amdhsa_exception_fp_ieee_underflow 0
		.amdhsa_exception_fp_ieee_inexact 0
		.amdhsa_exception_int_div_zero 0
	.end_amdhsa_kernel
	.section	.text._ZL24rocblas_dot_kernel_magsqIiLb1ELi1024ELi32ELb1E16rocblas_bfloat16PKS0_fEviT5_lT_liPT6_PT4_,"axG",@progbits,_ZL24rocblas_dot_kernel_magsqIiLb1ELi1024ELi32ELb1E16rocblas_bfloat16PKS0_fEviT5_lT_liPT6_PT4_,comdat
.Lfunc_end529:
	.size	_ZL24rocblas_dot_kernel_magsqIiLb1ELi1024ELi32ELb1E16rocblas_bfloat16PKS0_fEviT5_lT_liPT6_PT4_, .Lfunc_end529-_ZL24rocblas_dot_kernel_magsqIiLb1ELi1024ELi32ELb1E16rocblas_bfloat16PKS0_fEviT5_lT_liPT6_PT4_
                                        ; -- End function
	.section	.AMDGPU.csdata,"",@progbits
; Kernel info:
; codeLenInByte = 900
; NumSgprs: 24
; NumVgprs: 10
; NumAgprs: 0
; TotalNumVgprs: 10
; ScratchSize: 0
; MemoryBound: 0
; FloatMode: 240
; IeeeMode: 1
; LDSByteSize: 256 bytes/workgroup (compile time only)
; SGPRBlocks: 2
; VGPRBlocks: 1
; NumSGPRsForWavesPerEU: 24
; NumVGPRsForWavesPerEU: 10
; AccumOffset: 12
; Occupancy: 8
; WaveLimiterHint : 0
; COMPUTE_PGM_RSRC2:SCRATCH_EN: 0
; COMPUTE_PGM_RSRC2:USER_SGPR: 6
; COMPUTE_PGM_RSRC2:TRAP_HANDLER: 0
; COMPUTE_PGM_RSRC2:TGID_X_EN: 1
; COMPUTE_PGM_RSRC2:TGID_Y_EN: 0
; COMPUTE_PGM_RSRC2:TGID_Z_EN: 1
; COMPUTE_PGM_RSRC2:TIDIG_COMP_CNT: 0
; COMPUTE_PGM_RSRC3_GFX90A:ACCUM_OFFSET: 2
; COMPUTE_PGM_RSRC3_GFX90A:TG_SPLIT: 0
	.section	.text._ZL23rocblas_dot_kernel_inc1ILb0ELi512ELi8ELb1E16rocblas_bfloat16PKS0_fEviT4_llS3_lliPT5_PT3_,"axG",@progbits,_ZL23rocblas_dot_kernel_inc1ILb0ELi512ELi8ELb1E16rocblas_bfloat16PKS0_fEviT4_llS3_lliPT5_PT3_,comdat
	.globl	_ZL23rocblas_dot_kernel_inc1ILb0ELi512ELi8ELb1E16rocblas_bfloat16PKS0_fEviT4_llS3_lliPT5_PT3_ ; -- Begin function _ZL23rocblas_dot_kernel_inc1ILb0ELi512ELi8ELb1E16rocblas_bfloat16PKS0_fEviT4_llS3_lliPT5_PT3_
	.p2align	8
	.type	_ZL23rocblas_dot_kernel_inc1ILb0ELi512ELi8ELb1E16rocblas_bfloat16PKS0_fEviT4_llS3_lliPT5_PT3_,@function
_ZL23rocblas_dot_kernel_inc1ILb0ELi512ELi8ELb1E16rocblas_bfloat16PKS0_fEviT4_llS3_lliPT5_PT3_: ; @_ZL23rocblas_dot_kernel_inc1ILb0ELi512ELi8ELb1E16rocblas_bfloat16PKS0_fEviT4_llS3_lliPT5_PT3_
; %bb.0:
	s_mov_b32 s2, s7
	s_load_dword s18, s[4:5], 0x50
	s_load_dword s7, s[4:5], 0x0
	s_load_dwordx4 s[8:11], s[4:5], 0x40
	v_lshl_or_b32 v2, s6, 9, v0
	s_mov_b32 s3, 0
	v_mov_b32_e32 v1, 0
	s_waitcnt lgkmcnt(0)
	v_cmp_gt_i32_e32 vcc, s7, v2
	s_and_saveexec_b64 s[12:13], vcc
	s_cbranch_execz .LBB530_4
; %bb.1:
	s_load_dwordx4 s[20:23], s[4:5], 0x10
	s_load_dwordx2 s[0:1], s[4:5], 0x8
	s_load_dwordx2 s[14:15], s[4:5], 0x20
	s_load_dwordx4 s[24:27], s[4:5], 0x28
	v_ashrrev_i32_e32 v3, 31, v2
	s_waitcnt lgkmcnt(0)
	s_mul_i32 s4, s2, s23
	s_mul_hi_u32 s5, s2, s22
	s_add_i32 s5, s5, s4
	s_mul_i32 s4, s2, s22
	s_lshl_b64 s[4:5], s[4:5], 1
	s_add_u32 s4, s0, s4
	s_addc_u32 s5, s1, s5
	s_lshl_b64 s[0:1], s[20:21], 1
	s_add_u32 s19, s4, s0
	s_addc_u32 s21, s5, s1
	s_mul_i32 s0, s2, s27
	s_mul_hi_u32 s1, s2, s26
	s_add_i32 s1, s1, s0
	s_mul_i32 s0, s2, s26
	s_lshl_b64 s[0:1], s[0:1], 1
	s_add_u32 s4, s14, s0
	s_addc_u32 s5, s15, s1
	s_lshl_b64 s[0:1], s[24:25], 1
	s_add_u32 s20, s4, s0
	s_addc_u32 s0, s5, s1
	s_lshl_b32 s4, s18, 9
	s_ashr_i32 s5, s4, 31
	s_lshl_b64 s[16:17], s[4:5], 1
	v_add_u32_e32 v4, s4, v2
	v_lshlrev_b64 v[2:3], 1, v[2:3]
	s_mov_b64 s[14:15], 0
	v_mov_b32_e32 v1, 0
	v_mov_b32_e32 v5, s0
	;; [unrolled: 1-line block ×4, first 2 shown]
	s_mov_b32 s5, s3
.LBB530_2:                              ; =>This Inner Loop Header: Depth=1
	v_add_co_u32_e32 v8, vcc, s20, v2
	v_addc_co_u32_e32 v9, vcc, v5, v3, vcc
	v_add_co_u32_e32 v10, vcc, s19, v2
	v_addc_co_u32_e32 v11, vcc, v6, v3, vcc
	global_load_ushort v12, v[8:9], off
	global_load_ushort v13, v[10:11], off
	s_add_i32 s17, s5, 1
	v_add_co_u32_e64 v2, s[0:1], s16, v2
	v_addc_co_u32_e64 v3, s[0:1], v3, v7, s[0:1]
	s_cmp_gt_u32 s5, 6
	v_cmp_le_i32_e32 vcc, s7, v4
	s_cselect_b64 s[0:1], -1, 0
	s_or_b64 s[0:1], s[0:1], vcc
	s_and_b64 s[0:1], exec, s[0:1]
	v_add_u32_e32 v4, s4, v4
	s_mov_b32 s5, s17
	s_or_b64 s[14:15], s[0:1], s[14:15]
	s_waitcnt vmcnt(1)
	v_lshlrev_b32_e32 v8, 16, v12
	s_waitcnt vmcnt(0)
	v_lshlrev_b32_e32 v9, 16, v13
	v_fmac_f32_e32 v1, v9, v8
	s_andn2_b64 exec, exec, s[14:15]
	s_cbranch_execnz .LBB530_2
; %bb.3:
	s_or_b64 exec, exec, s[14:15]
.LBB530_4:
	s_or_b64 exec, exec, s[12:13]
	v_and_b32_e32 v3, 63, v0
	v_cmp_gt_u32_e32 vcc, 64, v0
	v_lshlrev_b32_e32 v2, 2, v3
	s_and_saveexec_b64 s[0:1], vcc
	s_cbranch_execz .LBB530_6
; %bb.5:
	v_mov_b32_e32 v4, 0
	ds_write_b32 v2, v4
.LBB530_6:
	s_or_b64 exec, exec, s[0:1]
	v_mbcnt_lo_u32_b32 v4, -1, 0
	v_mbcnt_hi_u32_b32 v6, -1, v4
	v_and_b32_e32 v7, 63, v6
	v_cmp_gt_u32_e64 s[0:1], 32, v7
	v_cndmask_b32_e64 v4, 0, 1, s[0:1]
	v_lshlrev_b32_e32 v4, 5, v4
	v_add_lshl_u32 v4, v4, v6, 2
	ds_bpermute_b32 v4, v4, v1
	v_cmp_gt_u32_e64 s[0:1], 48, v7
	v_cndmask_b32_e64 v5, 0, 1, s[0:1]
	v_lshlrev_b32_e32 v5, 4, v5
	v_cmp_gt_u32_e64 s[0:1], 56, v7
	s_waitcnt lgkmcnt(0)
	v_add_f32_e32 v1, v1, v4
	v_add_lshl_u32 v4, v5, v6, 2
	ds_bpermute_b32 v4, v4, v1
	v_cndmask_b32_e64 v5, 0, 1, s[0:1]
	v_lshlrev_b32_e32 v5, 3, v5
	v_cmp_gt_u32_e64 s[0:1], 60, v7
	s_waitcnt lgkmcnt(0)
	v_add_f32_e32 v1, v1, v4
	v_add_lshl_u32 v4, v5, v6, 2
	ds_bpermute_b32 v4, v4, v1
	v_cndmask_b32_e64 v5, 0, 1, s[0:1]
	v_lshlrev_b32_e32 v5, 2, v5
	v_cmp_gt_u32_e64 s[0:1], 62, v7
	v_cndmask_b32_e64 v8, 0, 1, s[0:1]
	s_waitcnt lgkmcnt(0)
	v_add_f32_e32 v1, v1, v4
	v_add_lshl_u32 v4, v5, v6, 2
	ds_bpermute_b32 v5, v4, v1
	v_lshlrev_b32_e32 v8, 1, v8
	v_cmp_ne_u32_e64 s[0:1], 63, v7
	s_barrier
	s_waitcnt lgkmcnt(0)
	v_add_f32_e32 v1, v1, v5
	v_add_lshl_u32 v5, v8, v6, 2
	ds_bpermute_b32 v8, v5, v1
	v_addc_co_u32_e64 v6, s[0:1], 0, v6, s[0:1]
	v_lshlrev_b32_e32 v6, 2, v6
	v_cmp_eq_u32_e64 s[0:1], 0, v3
	s_waitcnt lgkmcnt(0)
	v_add_f32_e32 v1, v1, v8
	ds_bpermute_b32 v7, v6, v1
	s_and_saveexec_b64 s[4:5], s[0:1]
	s_cbranch_execz .LBB530_8
; %bb.7:
	v_lshrrev_b32_e32 v3, 4, v0
	s_waitcnt lgkmcnt(0)
	v_add_f32_e32 v1, v1, v7
	v_and_b32_e32 v3, 28, v3
	ds_write_b32 v3, v1
.LBB530_8:
	s_or_b64 exec, exec, s[4:5]
	v_cmp_gt_u32_e64 s[0:1], 8, v0
	v_mov_b32_e32 v1, 0
	s_waitcnt lgkmcnt(0)
	s_barrier
	s_and_saveexec_b64 s[4:5], s[0:1]
	s_cbranch_execnz .LBB530_12
; %bb.9:
	s_or_b64 exec, exec, s[4:5]
	s_and_saveexec_b64 s[0:1], vcc
	s_cbranch_execnz .LBB530_13
.LBB530_10:
	s_or_b64 exec, exec, s[0:1]
	v_cmp_eq_u32_e32 vcc, 0, v0
	s_and_saveexec_b64 s[0:1], vcc
	s_cbranch_execnz .LBB530_14
.LBB530_11:
	s_endpgm
.LBB530_12:
	ds_read_b32 v1, v2
	s_or_b64 exec, exec, s[4:5]
	s_and_saveexec_b64 s[0:1], vcc
	s_cbranch_execz .LBB530_10
.LBB530_13:
	s_waitcnt lgkmcnt(0)
	ds_bpermute_b32 v2, v4, v1
	s_waitcnt lgkmcnt(0)
	v_add_f32_e32 v1, v1, v2
	ds_bpermute_b32 v2, v5, v1
	s_waitcnt lgkmcnt(0)
	v_add_f32_e32 v1, v1, v2
	;; [unrolled: 3-line block ×3, first 2 shown]
	s_or_b64 exec, exec, s[0:1]
	v_cmp_eq_u32_e32 vcc, 0, v0
	s_and_saveexec_b64 s[0:1], vcc
	s_cbranch_execz .LBB530_11
.LBB530_14:
	s_cmp_lg_u32 s18, 1
	s_mov_b64 s[0:1], -1
	s_cbranch_scc0 .LBB530_16
; %bb.15:
	s_mul_hi_u32 s1, s18, s2
	s_mul_i32 s0, s18, s2
	s_lshl_b64 s[0:1], s[0:1], 2
	s_mov_b32 s7, 0
	s_add_u32 s4, s8, s0
	s_addc_u32 s5, s9, s1
	s_lshl_b64 s[0:1], s[6:7], 2
	s_add_u32 s0, s4, s0
	s_addc_u32 s1, s5, s1
	v_mov_b32_e32 v0, 0
	s_waitcnt lgkmcnt(0)
	global_store_dword v0, v1, s[0:1]
	s_mov_b64 s[0:1], 0
.LBB530_16:
	s_andn2_b64 vcc, exec, s[0:1]
	s_cbranch_vccnz .LBB530_11
; %bb.17:
	s_mov_b32 s0, 0x7f800000
	s_waitcnt lgkmcnt(0)
	v_and_b32_e32 v0, 0x7f800000, v1
	v_cmp_ne_u32_e32 vcc, s0, v0
                                        ; implicit-def: $vgpr0
	s_and_saveexec_b64 s[0:1], vcc
	s_xor_b64 s[0:1], exec, s[0:1]
; %bb.18:
	v_bfe_u32 v0, v1, 16, 1
	s_movk_i32 s4, 0x7fff
	v_add3_u32 v0, v1, v0, s4
                                        ; implicit-def: $vgpr1
; %bb.19:
	s_andn2_saveexec_b64 s[0:1], s[0:1]
; %bb.20:
	v_mov_b32_e32 v0, 0
	v_or_b32_e32 v2, 0x10000, v1
	v_cmp_eq_u32_sdwa vcc, v1, v0 src0_sel:WORD_0 src1_sel:DWORD
	v_cndmask_b32_e32 v0, v2, v1, vcc
; %bb.21:
	s_or_b64 exec, exec, s[0:1]
	s_lshl_b64 s[0:1], s[2:3], 1
	s_add_u32 s0, s10, s0
	s_addc_u32 s1, s11, s1
	v_mov_b32_e32 v1, 0
	global_store_short_d16_hi v1, v0, s[0:1]
	s_endpgm
	.section	.rodata,"a",@progbits
	.p2align	6, 0x0
	.amdhsa_kernel _ZL23rocblas_dot_kernel_inc1ILb0ELi512ELi8ELb1E16rocblas_bfloat16PKS0_fEviT4_llS3_lliPT5_PT3_
		.amdhsa_group_segment_fixed_size 256
		.amdhsa_private_segment_fixed_size 0
		.amdhsa_kernarg_size 336
		.amdhsa_user_sgpr_count 6
		.amdhsa_user_sgpr_private_segment_buffer 1
		.amdhsa_user_sgpr_dispatch_ptr 0
		.amdhsa_user_sgpr_queue_ptr 0
		.amdhsa_user_sgpr_kernarg_segment_ptr 1
		.amdhsa_user_sgpr_dispatch_id 0
		.amdhsa_user_sgpr_flat_scratch_init 0
		.amdhsa_user_sgpr_kernarg_preload_length 0
		.amdhsa_user_sgpr_kernarg_preload_offset 0
		.amdhsa_user_sgpr_private_segment_size 0
		.amdhsa_uses_dynamic_stack 0
		.amdhsa_system_sgpr_private_segment_wavefront_offset 0
		.amdhsa_system_sgpr_workgroup_id_x 1
		.amdhsa_system_sgpr_workgroup_id_y 0
		.amdhsa_system_sgpr_workgroup_id_z 1
		.amdhsa_system_sgpr_workgroup_info 0
		.amdhsa_system_vgpr_workitem_id 0
		.amdhsa_next_free_vgpr 14
		.amdhsa_next_free_sgpr 28
		.amdhsa_accum_offset 16
		.amdhsa_reserve_vcc 1
		.amdhsa_reserve_flat_scratch 0
		.amdhsa_float_round_mode_32 0
		.amdhsa_float_round_mode_16_64 0
		.amdhsa_float_denorm_mode_32 3
		.amdhsa_float_denorm_mode_16_64 3
		.amdhsa_dx10_clamp 1
		.amdhsa_ieee_mode 1
		.amdhsa_fp16_overflow 0
		.amdhsa_tg_split 0
		.amdhsa_exception_fp_ieee_invalid_op 0
		.amdhsa_exception_fp_denorm_src 0
		.amdhsa_exception_fp_ieee_div_zero 0
		.amdhsa_exception_fp_ieee_overflow 0
		.amdhsa_exception_fp_ieee_underflow 0
		.amdhsa_exception_fp_ieee_inexact 0
		.amdhsa_exception_int_div_zero 0
	.end_amdhsa_kernel
	.section	.text._ZL23rocblas_dot_kernel_inc1ILb0ELi512ELi8ELb1E16rocblas_bfloat16PKS0_fEviT4_llS3_lliPT5_PT3_,"axG",@progbits,_ZL23rocblas_dot_kernel_inc1ILb0ELi512ELi8ELb1E16rocblas_bfloat16PKS0_fEviT4_llS3_lliPT5_PT3_,comdat
.Lfunc_end530:
	.size	_ZL23rocblas_dot_kernel_inc1ILb0ELi512ELi8ELb1E16rocblas_bfloat16PKS0_fEviT4_llS3_lliPT5_PT3_, .Lfunc_end530-_ZL23rocblas_dot_kernel_inc1ILb0ELi512ELi8ELb1E16rocblas_bfloat16PKS0_fEviT4_llS3_lliPT5_PT3_
                                        ; -- End function
	.section	.AMDGPU.csdata,"",@progbits
; Kernel info:
; codeLenInByte = 1036
; NumSgprs: 32
; NumVgprs: 14
; NumAgprs: 0
; TotalNumVgprs: 14
; ScratchSize: 0
; MemoryBound: 0
; FloatMode: 240
; IeeeMode: 1
; LDSByteSize: 256 bytes/workgroup (compile time only)
; SGPRBlocks: 3
; VGPRBlocks: 1
; NumSGPRsForWavesPerEU: 32
; NumVGPRsForWavesPerEU: 14
; AccumOffset: 16
; Occupancy: 8
; WaveLimiterHint : 0
; COMPUTE_PGM_RSRC2:SCRATCH_EN: 0
; COMPUTE_PGM_RSRC2:USER_SGPR: 6
; COMPUTE_PGM_RSRC2:TRAP_HANDLER: 0
; COMPUTE_PGM_RSRC2:TGID_X_EN: 1
; COMPUTE_PGM_RSRC2:TGID_Y_EN: 0
; COMPUTE_PGM_RSRC2:TGID_Z_EN: 1
; COMPUTE_PGM_RSRC2:TIDIG_COMP_CNT: 0
; COMPUTE_PGM_RSRC3_GFX90A:ACCUM_OFFSET: 3
; COMPUTE_PGM_RSRC3_GFX90A:TG_SPLIT: 0
	.section	.text._ZL18rocblas_dot_kernelIiLb0ELi512ELi8ELb1E16rocblas_bfloat16PKS0_fEviT5_lT_lS3_lS4_liPT6_PT4_,"axG",@progbits,_ZL18rocblas_dot_kernelIiLb0ELi512ELi8ELb1E16rocblas_bfloat16PKS0_fEviT5_lT_lS3_lS4_liPT6_PT4_,comdat
	.globl	_ZL18rocblas_dot_kernelIiLb0ELi512ELi8ELb1E16rocblas_bfloat16PKS0_fEviT5_lT_lS3_lS4_liPT6_PT4_ ; -- Begin function _ZL18rocblas_dot_kernelIiLb0ELi512ELi8ELb1E16rocblas_bfloat16PKS0_fEviT5_lT_lS3_lS4_liPT6_PT4_
	.p2align	8
	.type	_ZL18rocblas_dot_kernelIiLb0ELi512ELi8ELb1E16rocblas_bfloat16PKS0_fEviT5_lT_lS3_lS4_liPT6_PT4_,@function
_ZL18rocblas_dot_kernelIiLb0ELi512ELi8ELb1E16rocblas_bfloat16PKS0_fEviT5_lT_lS3_lS4_liPT6_PT4_: ; @_ZL18rocblas_dot_kernelIiLb0ELi512ELi8ELb1E16rocblas_bfloat16PKS0_fEviT5_lT_lS3_lS4_liPT6_PT4_
; %bb.0:
	s_mov_b32 s12, s7
	s_load_dword s18, s[4:5], 0x60
	s_load_dword s7, s[4:5], 0x0
	s_load_dwordx4 s[8:11], s[4:5], 0x50
	v_lshl_or_b32 v4, s6, 9, v0
	s_mov_b32 s13, 0
	v_mov_b32_e32 v6, 0
	s_waitcnt lgkmcnt(0)
	v_cmp_gt_i32_e32 vcc, s7, v4
	s_and_saveexec_b64 s[14:15], vcc
	s_cbranch_execz .LBB531_4
; %bb.1:
	s_load_dwordx4 s[20:23], s[4:5], 0x8
	s_load_dword s26, s[4:5], 0x18
	s_load_dwordx4 s[0:3], s[4:5], 0x20
	s_load_dwordx2 s[16:17], s[4:5], 0x30
	s_load_dword s27, s[4:5], 0x38
	s_load_dwordx2 s[24:25], s[4:5], 0x40
	s_waitcnt lgkmcnt(0)
	v_mad_i64_i32 v[2:3], s[4:5], s26, v4, 0
	s_mul_i32 s1, s1, s12
	s_mul_hi_u32 s4, s0, s12
	s_add_i32 s1, s4, s1
	s_mul_i32 s0, s0, s12
	s_lshl_b32 s19, s18, 9
	s_lshl_b64 s[0:1], s[0:1], 1
	s_lshl_b64 s[4:5], s[22:23], 1
	s_add_u32 s4, s20, s4
	s_addc_u32 s5, s21, s5
	s_add_u32 s0, s4, s0
	v_lshlrev_b64 v[2:3], 1, v[2:3]
	s_addc_u32 s1, s5, s1
	v_mov_b32_e32 v5, s1
	v_add_co_u32_e32 v2, vcc, s0, v2
	s_mul_hi_i32 s1, s26, s19
	s_mul_i32 s0, s26, s19
	v_add_u32_e32 v1, s19, v4
	v_addc_co_u32_e32 v3, vcc, v5, v3, vcc
	s_lshl_b64 s[4:5], s[0:1], 1
	v_mad_i64_i32 v[4:5], s[0:1], s27, v4, 0
	s_mul_i32 s0, s25, s12
	s_mul_hi_u32 s1, s24, s12
	s_add_i32 s1, s1, s0
	s_mul_i32 s0, s24, s12
	s_lshl_b64 s[0:1], s[0:1], 1
	s_lshl_b64 s[16:17], s[16:17], 1
	s_add_u32 s2, s2, s16
	s_addc_u32 s3, s3, s17
	s_add_u32 s0, s2, s0
	v_lshlrev_b64 v[4:5], 1, v[4:5]
	s_addc_u32 s1, s3, s1
	v_mov_b32_e32 v6, s1
	v_add_co_u32_e32 v4, vcc, s0, v4
	s_mul_hi_i32 s1, s27, s19
	s_mul_i32 s0, s27, s19
	s_lshl_b64 s[16:17], s[0:1], 1
	v_addc_co_u32_e32 v5, vcc, v6, v5, vcc
	s_mov_b64 s[2:3], 0
	v_mov_b32_e32 v6, 0
	v_mov_b32_e32 v7, s5
	v_mov_b32_e32 v8, s17
	s_mov_b32 s5, s13
.LBB531_2:                              ; =>This Inner Loop Header: Depth=1
	global_load_ushort v9, v[4:5], off
	global_load_ushort v10, v[2:3], off
	v_add_co_u32_e64 v2, s[0:1], s4, v2
	v_addc_co_u32_e64 v3, s[0:1], v3, v7, s[0:1]
	s_add_i32 s17, s5, 1
	v_add_co_u32_e64 v4, s[0:1], s16, v4
	v_addc_co_u32_e64 v5, s[0:1], v5, v8, s[0:1]
	s_cmp_gt_u32 s5, 6
	v_cmp_le_i32_e32 vcc, s7, v1
	s_cselect_b64 s[0:1], -1, 0
	s_or_b64 s[0:1], s[0:1], vcc
	s_and_b64 s[0:1], exec, s[0:1]
	v_add_u32_e32 v1, s19, v1
	s_mov_b32 s5, s17
	s_or_b64 s[2:3], s[0:1], s[2:3]
	s_waitcnt vmcnt(1)
	v_lshlrev_b32_e32 v9, 16, v9
	s_waitcnt vmcnt(0)
	v_lshlrev_b32_e32 v10, 16, v10
	v_fmac_f32_e32 v6, v10, v9
	s_andn2_b64 exec, exec, s[2:3]
	s_cbranch_execnz .LBB531_2
; %bb.3:
	s_or_b64 exec, exec, s[2:3]
.LBB531_4:
	s_or_b64 exec, exec, s[14:15]
	v_and_b32_e32 v1, 63, v0
	v_cmp_gt_u32_e32 vcc, 64, v0
	v_lshlrev_b32_e32 v2, 2, v1
	s_and_saveexec_b64 s[0:1], vcc
	s_cbranch_execz .LBB531_6
; %bb.5:
	v_mov_b32_e32 v3, 0
	ds_write_b32 v2, v3
.LBB531_6:
	s_or_b64 exec, exec, s[0:1]
	v_mbcnt_lo_u32_b32 v3, -1, 0
	v_mbcnt_hi_u32_b32 v5, -1, v3
	v_and_b32_e32 v7, 63, v5
	v_cmp_gt_u32_e64 s[0:1], 32, v7
	v_cndmask_b32_e64 v3, 0, 1, s[0:1]
	v_lshlrev_b32_e32 v3, 5, v3
	v_add_lshl_u32 v3, v3, v5, 2
	ds_bpermute_b32 v3, v3, v6
	v_cmp_gt_u32_e64 s[0:1], 48, v7
	v_cndmask_b32_e64 v4, 0, 1, s[0:1]
	v_lshlrev_b32_e32 v4, 4, v4
	v_add_lshl_u32 v4, v4, v5, 2
	s_waitcnt lgkmcnt(0)
	v_add_f32_e32 v3, v6, v3
	ds_bpermute_b32 v4, v4, v3
	v_cmp_gt_u32_e64 s[0:1], 56, v7
	v_cndmask_b32_e64 v6, 0, 1, s[0:1]
	v_lshlrev_b32_e32 v6, 3, v6
	v_cmp_gt_u32_e64 s[0:1], 60, v7
	s_waitcnt lgkmcnt(0)
	v_add_f32_e32 v3, v3, v4
	v_add_lshl_u32 v4, v6, v5, 2
	ds_bpermute_b32 v4, v4, v3
	v_cndmask_b32_e64 v6, 0, 1, s[0:1]
	v_lshlrev_b32_e32 v6, 2, v6
	v_cmp_gt_u32_e64 s[0:1], 62, v7
	v_cndmask_b32_e64 v8, 0, 1, s[0:1]
	s_waitcnt lgkmcnt(0)
	v_add_f32_e32 v4, v3, v4
	v_add_lshl_u32 v3, v6, v5, 2
	ds_bpermute_b32 v6, v3, v4
	v_lshlrev_b32_e32 v8, 1, v8
	v_cmp_ne_u32_e64 s[0:1], 63, v7
	s_waitcnt lgkmcnt(0)
	s_barrier
	v_add_f32_e32 v6, v4, v6
	v_add_lshl_u32 v4, v8, v5, 2
	ds_bpermute_b32 v8, v4, v6
	v_addc_co_u32_e64 v5, s[0:1], 0, v5, s[0:1]
	v_lshlrev_b32_e32 v5, 2, v5
	v_cmp_eq_u32_e64 s[0:1], 0, v1
	s_waitcnt lgkmcnt(0)
	v_add_f32_e32 v6, v6, v8
	ds_bpermute_b32 v7, v5, v6
	s_waitcnt lgkmcnt(0)
	s_and_saveexec_b64 s[2:3], s[0:1]
	s_cbranch_execz .LBB531_8
; %bb.7:
	v_add_f32_e32 v1, v6, v7
	v_lshrrev_b32_e32 v6, 4, v0
	v_and_b32_e32 v6, 28, v6
	ds_write_b32 v6, v1
.LBB531_8:
	s_or_b64 exec, exec, s[2:3]
	v_cmp_gt_u32_e64 s[0:1], 8, v0
	v_mov_b32_e32 v1, 0
	s_waitcnt lgkmcnt(0)
	s_barrier
	s_and_saveexec_b64 s[2:3], s[0:1]
	s_cbranch_execnz .LBB531_12
; %bb.9:
	s_or_b64 exec, exec, s[2:3]
	s_and_saveexec_b64 s[0:1], vcc
	s_cbranch_execnz .LBB531_13
.LBB531_10:
	s_or_b64 exec, exec, s[0:1]
	v_cmp_eq_u32_e32 vcc, 0, v0
	s_and_saveexec_b64 s[0:1], vcc
	s_cbranch_execnz .LBB531_14
.LBB531_11:
	s_endpgm
.LBB531_12:
	ds_read_b32 v1, v2
	s_or_b64 exec, exec, s[2:3]
	s_and_saveexec_b64 s[0:1], vcc
	s_cbranch_execz .LBB531_10
.LBB531_13:
	s_waitcnt lgkmcnt(0)
	ds_bpermute_b32 v2, v3, v1
	s_waitcnt lgkmcnt(0)
	v_add_f32_e32 v1, v1, v2
	ds_bpermute_b32 v2, v4, v1
	s_waitcnt lgkmcnt(0)
	v_add_f32_e32 v1, v1, v2
	;; [unrolled: 3-line block ×3, first 2 shown]
	s_or_b64 exec, exec, s[0:1]
	v_cmp_eq_u32_e32 vcc, 0, v0
	s_and_saveexec_b64 s[0:1], vcc
	s_cbranch_execz .LBB531_11
.LBB531_14:
	s_cmp_lg_u32 s18, 1
	s_mov_b64 s[0:1], -1
	s_cbranch_scc0 .LBB531_16
; %bb.15:
	s_mul_hi_u32 s1, s18, s12
	s_mul_i32 s0, s18, s12
	s_lshl_b64 s[0:1], s[0:1], 2
	s_mov_b32 s7, 0
	s_add_u32 s2, s8, s0
	s_addc_u32 s3, s9, s1
	s_lshl_b64 s[0:1], s[6:7], 2
	s_add_u32 s0, s2, s0
	s_addc_u32 s1, s3, s1
	v_mov_b32_e32 v0, 0
	s_waitcnt lgkmcnt(0)
	global_store_dword v0, v1, s[0:1]
	s_mov_b64 s[0:1], 0
.LBB531_16:
	s_andn2_b64 vcc, exec, s[0:1]
	s_cbranch_vccnz .LBB531_11
; %bb.17:
	s_mov_b32 s0, 0x7f800000
	s_waitcnt lgkmcnt(0)
	v_and_b32_e32 v0, 0x7f800000, v1
	v_cmp_ne_u32_e32 vcc, s0, v0
                                        ; implicit-def: $vgpr0
	s_and_saveexec_b64 s[0:1], vcc
	s_xor_b64 s[0:1], exec, s[0:1]
; %bb.18:
	v_bfe_u32 v0, v1, 16, 1
	s_movk_i32 s2, 0x7fff
	v_add3_u32 v0, v1, v0, s2
                                        ; implicit-def: $vgpr1
; %bb.19:
	s_andn2_saveexec_b64 s[0:1], s[0:1]
; %bb.20:
	v_mov_b32_e32 v0, 0
	v_or_b32_e32 v2, 0x10000, v1
	v_cmp_eq_u32_sdwa vcc, v1, v0 src0_sel:WORD_0 src1_sel:DWORD
	v_cndmask_b32_e32 v0, v2, v1, vcc
; %bb.21:
	s_or_b64 exec, exec, s[0:1]
	s_lshl_b64 s[0:1], s[12:13], 1
	s_add_u32 s0, s10, s0
	s_addc_u32 s1, s11, s1
	v_mov_b32_e32 v1, 0
	global_store_short_d16_hi v1, v0, s[0:1]
	s_endpgm
	.section	.rodata,"a",@progbits
	.p2align	6, 0x0
	.amdhsa_kernel _ZL18rocblas_dot_kernelIiLb0ELi512ELi8ELb1E16rocblas_bfloat16PKS0_fEviT5_lT_lS3_lS4_liPT6_PT4_
		.amdhsa_group_segment_fixed_size 256
		.amdhsa_private_segment_fixed_size 0
		.amdhsa_kernarg_size 352
		.amdhsa_user_sgpr_count 6
		.amdhsa_user_sgpr_private_segment_buffer 1
		.amdhsa_user_sgpr_dispatch_ptr 0
		.amdhsa_user_sgpr_queue_ptr 0
		.amdhsa_user_sgpr_kernarg_segment_ptr 1
		.amdhsa_user_sgpr_dispatch_id 0
		.amdhsa_user_sgpr_flat_scratch_init 0
		.amdhsa_user_sgpr_kernarg_preload_length 0
		.amdhsa_user_sgpr_kernarg_preload_offset 0
		.amdhsa_user_sgpr_private_segment_size 0
		.amdhsa_uses_dynamic_stack 0
		.amdhsa_system_sgpr_private_segment_wavefront_offset 0
		.amdhsa_system_sgpr_workgroup_id_x 1
		.amdhsa_system_sgpr_workgroup_id_y 0
		.amdhsa_system_sgpr_workgroup_id_z 1
		.amdhsa_system_sgpr_workgroup_info 0
		.amdhsa_system_vgpr_workitem_id 0
		.amdhsa_next_free_vgpr 11
		.amdhsa_next_free_sgpr 28
		.amdhsa_accum_offset 12
		.amdhsa_reserve_vcc 1
		.amdhsa_reserve_flat_scratch 0
		.amdhsa_float_round_mode_32 0
		.amdhsa_float_round_mode_16_64 0
		.amdhsa_float_denorm_mode_32 3
		.amdhsa_float_denorm_mode_16_64 3
		.amdhsa_dx10_clamp 1
		.amdhsa_ieee_mode 1
		.amdhsa_fp16_overflow 0
		.amdhsa_tg_split 0
		.amdhsa_exception_fp_ieee_invalid_op 0
		.amdhsa_exception_fp_denorm_src 0
		.amdhsa_exception_fp_ieee_div_zero 0
		.amdhsa_exception_fp_ieee_overflow 0
		.amdhsa_exception_fp_ieee_underflow 0
		.amdhsa_exception_fp_ieee_inexact 0
		.amdhsa_exception_int_div_zero 0
	.end_amdhsa_kernel
	.section	.text._ZL18rocblas_dot_kernelIiLb0ELi512ELi8ELb1E16rocblas_bfloat16PKS0_fEviT5_lT_lS3_lS4_liPT6_PT4_,"axG",@progbits,_ZL18rocblas_dot_kernelIiLb0ELi512ELi8ELb1E16rocblas_bfloat16PKS0_fEviT5_lT_lS3_lS4_liPT6_PT4_,comdat
.Lfunc_end531:
	.size	_ZL18rocblas_dot_kernelIiLb0ELi512ELi8ELb1E16rocblas_bfloat16PKS0_fEviT5_lT_lS3_lS4_liPT6_PT4_, .Lfunc_end531-_ZL18rocblas_dot_kernelIiLb0ELi512ELi8ELb1E16rocblas_bfloat16PKS0_fEviT5_lT_lS3_lS4_liPT6_PT4_
                                        ; -- End function
	.section	.AMDGPU.csdata,"",@progbits
; Kernel info:
; codeLenInByte = 1108
; NumSgprs: 32
; NumVgprs: 11
; NumAgprs: 0
; TotalNumVgprs: 11
; ScratchSize: 0
; MemoryBound: 0
; FloatMode: 240
; IeeeMode: 1
; LDSByteSize: 256 bytes/workgroup (compile time only)
; SGPRBlocks: 3
; VGPRBlocks: 1
; NumSGPRsForWavesPerEU: 32
; NumVGPRsForWavesPerEU: 11
; AccumOffset: 12
; Occupancy: 8
; WaveLimiterHint : 0
; COMPUTE_PGM_RSRC2:SCRATCH_EN: 0
; COMPUTE_PGM_RSRC2:USER_SGPR: 6
; COMPUTE_PGM_RSRC2:TRAP_HANDLER: 0
; COMPUTE_PGM_RSRC2:TGID_X_EN: 1
; COMPUTE_PGM_RSRC2:TGID_Y_EN: 0
; COMPUTE_PGM_RSRC2:TGID_Z_EN: 1
; COMPUTE_PGM_RSRC2:TIDIG_COMP_CNT: 0
; COMPUTE_PGM_RSRC3_GFX90A:ACCUM_OFFSET: 2
; COMPUTE_PGM_RSRC3_GFX90A:TG_SPLIT: 0
	.section	.text._ZL24rocblas_dot_kernel_magsqIiLb0ELi512ELi8ELb1E16rocblas_bfloat16PKS0_fEviT5_lT_liPT6_PT4_,"axG",@progbits,_ZL24rocblas_dot_kernel_magsqIiLb0ELi512ELi8ELb1E16rocblas_bfloat16PKS0_fEviT5_lT_liPT6_PT4_,comdat
	.globl	_ZL24rocblas_dot_kernel_magsqIiLb0ELi512ELi8ELb1E16rocblas_bfloat16PKS0_fEviT5_lT_liPT6_PT4_ ; -- Begin function _ZL24rocblas_dot_kernel_magsqIiLb0ELi512ELi8ELb1E16rocblas_bfloat16PKS0_fEviT5_lT_liPT6_PT4_
	.p2align	8
	.type	_ZL24rocblas_dot_kernel_magsqIiLb0ELi512ELi8ELb1E16rocblas_bfloat16PKS0_fEviT5_lT_liPT6_PT4_,@function
_ZL24rocblas_dot_kernel_magsqIiLb0ELi512ELi8ELb1E16rocblas_bfloat16PKS0_fEviT5_lT_liPT6_PT4_: ; @_ZL24rocblas_dot_kernel_magsqIiLb0ELi512ELi8ELb1E16rocblas_bfloat16PKS0_fEviT5_lT_liPT6_PT4_
; %bb.0:
	s_mov_b32 s2, s7
	s_load_dword s7, s[4:5], 0x0
	s_load_dwordx4 s[8:11], s[4:5], 0x30
	s_load_dword s16, s[4:5], 0x40
	v_lshl_or_b32 v2, s6, 9, v0
	s_mov_b32 s3, 0
	s_waitcnt lgkmcnt(0)
	v_cmp_gt_i32_e32 vcc, s7, v2
	v_mov_b32_e32 v1, 0
	s_and_saveexec_b64 s[12:13], vcc
	s_cbranch_execz .LBB532_4
; %bb.1:
	s_load_dwordx4 s[20:23], s[4:5], 0x8
	s_load_dword s14, s[4:5], 0x18
	s_load_dwordx2 s[0:1], s[4:5], 0x20
	s_lshl_b32 s17, s16, 9
	v_add_u32_e32 v4, s17, v2
	s_waitcnt lgkmcnt(0)
	v_mad_i64_i32 v[2:3], s[4:5], s14, v2, 0
	s_mul_i32 s1, s1, s2
	s_mul_hi_u32 s4, s0, s2
	s_add_i32 s1, s4, s1
	s_mul_i32 s0, s0, s2
	s_lshl_b64 s[0:1], s[0:1], 1
	s_lshl_b64 s[4:5], s[22:23], 1
	s_add_u32 s4, s20, s4
	s_addc_u32 s5, s21, s5
	s_add_u32 s0, s4, s0
	v_lshlrev_b64 v[2:3], 1, v[2:3]
	s_addc_u32 s1, s5, s1
	v_mov_b32_e32 v1, s1
	v_add_co_u32_e32 v2, vcc, s0, v2
	s_mul_hi_i32 s1, s14, s17
	s_mul_i32 s0, s14, s17
	s_lshl_b64 s[14:15], s[0:1], 1
	v_addc_co_u32_e32 v3, vcc, v1, v3, vcc
	s_mov_b64 s[4:5], 0
	v_mov_b32_e32 v1, 0
	v_mov_b32_e32 v5, s15
	s_mov_b32 s15, s3
.LBB532_2:                              ; =>This Inner Loop Header: Depth=1
	global_load_ushort v6, v[2:3], off
	s_add_i32 s18, s15, 1
	v_add_co_u32_e64 v2, s[0:1], s14, v2
	v_addc_co_u32_e64 v3, s[0:1], v3, v5, s[0:1]
	s_cmp_gt_u32 s15, 6
	v_cmp_le_i32_e32 vcc, s7, v4
	s_cselect_b64 s[0:1], -1, 0
	s_or_b64 s[0:1], s[0:1], vcc
	s_and_b64 s[0:1], exec, s[0:1]
	v_add_u32_e32 v4, s17, v4
	s_mov_b32 s15, s18
	s_or_b64 s[4:5], s[0:1], s[4:5]
	s_waitcnt vmcnt(0)
	v_lshlrev_b32_e32 v6, 16, v6
	v_fmac_f32_e32 v1, v6, v6
	s_andn2_b64 exec, exec, s[4:5]
	s_cbranch_execnz .LBB532_2
; %bb.3:
	s_or_b64 exec, exec, s[4:5]
.LBB532_4:
	s_or_b64 exec, exec, s[12:13]
	v_and_b32_e32 v3, 63, v0
	v_cmp_gt_u32_e32 vcc, 64, v0
	v_lshlrev_b32_e32 v2, 2, v3
	s_and_saveexec_b64 s[0:1], vcc
	s_cbranch_execz .LBB532_6
; %bb.5:
	v_mov_b32_e32 v4, 0
	ds_write_b32 v2, v4
.LBB532_6:
	s_or_b64 exec, exec, s[0:1]
	v_mbcnt_lo_u32_b32 v4, -1, 0
	v_mbcnt_hi_u32_b32 v6, -1, v4
	v_and_b32_e32 v7, 63, v6
	v_cmp_gt_u32_e64 s[0:1], 32, v7
	v_cndmask_b32_e64 v4, 0, 1, s[0:1]
	v_lshlrev_b32_e32 v4, 5, v4
	v_add_lshl_u32 v4, v4, v6, 2
	ds_bpermute_b32 v4, v4, v1
	v_cmp_gt_u32_e64 s[0:1], 48, v7
	v_cndmask_b32_e64 v5, 0, 1, s[0:1]
	v_lshlrev_b32_e32 v5, 4, v5
	v_cmp_gt_u32_e64 s[0:1], 56, v7
	s_waitcnt lgkmcnt(0)
	v_add_f32_e32 v1, v1, v4
	v_add_lshl_u32 v4, v5, v6, 2
	ds_bpermute_b32 v4, v4, v1
	v_cndmask_b32_e64 v5, 0, 1, s[0:1]
	v_lshlrev_b32_e32 v5, 3, v5
	v_cmp_gt_u32_e64 s[0:1], 60, v7
	s_waitcnt lgkmcnt(0)
	v_add_f32_e32 v1, v1, v4
	v_add_lshl_u32 v4, v5, v6, 2
	ds_bpermute_b32 v4, v4, v1
	v_cndmask_b32_e64 v5, 0, 1, s[0:1]
	v_lshlrev_b32_e32 v5, 2, v5
	v_cmp_gt_u32_e64 s[0:1], 62, v7
	v_cndmask_b32_e64 v8, 0, 1, s[0:1]
	s_waitcnt lgkmcnt(0)
	v_add_f32_e32 v1, v1, v4
	v_add_lshl_u32 v4, v5, v6, 2
	ds_bpermute_b32 v5, v4, v1
	v_lshlrev_b32_e32 v8, 1, v8
	v_cmp_ne_u32_e64 s[0:1], 63, v7
	s_barrier
	s_waitcnt lgkmcnt(0)
	v_add_f32_e32 v1, v1, v5
	v_add_lshl_u32 v5, v8, v6, 2
	ds_bpermute_b32 v8, v5, v1
	v_addc_co_u32_e64 v6, s[0:1], 0, v6, s[0:1]
	v_lshlrev_b32_e32 v6, 2, v6
	v_cmp_eq_u32_e64 s[0:1], 0, v3
	s_waitcnt lgkmcnt(0)
	v_add_f32_e32 v1, v1, v8
	ds_bpermute_b32 v7, v6, v1
	s_and_saveexec_b64 s[4:5], s[0:1]
	s_cbranch_execz .LBB532_8
; %bb.7:
	v_lshrrev_b32_e32 v3, 4, v0
	s_waitcnt lgkmcnt(0)
	v_add_f32_e32 v1, v1, v7
	v_and_b32_e32 v3, 28, v3
	ds_write_b32 v3, v1
.LBB532_8:
	s_or_b64 exec, exec, s[4:5]
	v_cmp_gt_u32_e64 s[0:1], 8, v0
	v_mov_b32_e32 v1, 0
	s_waitcnt lgkmcnt(0)
	s_barrier
	s_and_saveexec_b64 s[4:5], s[0:1]
	s_cbranch_execnz .LBB532_12
; %bb.9:
	s_or_b64 exec, exec, s[4:5]
	s_and_saveexec_b64 s[0:1], vcc
	s_cbranch_execnz .LBB532_13
.LBB532_10:
	s_or_b64 exec, exec, s[0:1]
	v_cmp_eq_u32_e32 vcc, 0, v0
	s_and_saveexec_b64 s[0:1], vcc
	s_cbranch_execnz .LBB532_14
.LBB532_11:
	s_endpgm
.LBB532_12:
	ds_read_b32 v1, v2
	s_or_b64 exec, exec, s[4:5]
	s_and_saveexec_b64 s[0:1], vcc
	s_cbranch_execz .LBB532_10
.LBB532_13:
	s_waitcnt lgkmcnt(0)
	ds_bpermute_b32 v2, v4, v1
	s_waitcnt lgkmcnt(0)
	v_add_f32_e32 v1, v1, v2
	ds_bpermute_b32 v2, v5, v1
	s_waitcnt lgkmcnt(0)
	v_add_f32_e32 v1, v1, v2
	;; [unrolled: 3-line block ×3, first 2 shown]
	s_or_b64 exec, exec, s[0:1]
	v_cmp_eq_u32_e32 vcc, 0, v0
	s_and_saveexec_b64 s[0:1], vcc
	s_cbranch_execz .LBB532_11
.LBB532_14:
	s_cmp_lg_u32 s16, 1
	s_mov_b64 s[0:1], -1
	s_cbranch_scc0 .LBB532_16
; %bb.15:
	s_mul_hi_u32 s1, s16, s2
	s_mul_i32 s0, s16, s2
	s_lshl_b64 s[0:1], s[0:1], 2
	s_mov_b32 s7, 0
	s_add_u32 s4, s8, s0
	s_addc_u32 s5, s9, s1
	s_lshl_b64 s[0:1], s[6:7], 2
	s_add_u32 s0, s4, s0
	s_addc_u32 s1, s5, s1
	v_mov_b32_e32 v0, 0
	s_waitcnt lgkmcnt(0)
	global_store_dword v0, v1, s[0:1]
	s_mov_b64 s[0:1], 0
.LBB532_16:
	s_andn2_b64 vcc, exec, s[0:1]
	s_cbranch_vccnz .LBB532_11
; %bb.17:
	s_mov_b32 s0, 0x7f800000
	s_waitcnt lgkmcnt(0)
	v_and_b32_e32 v0, 0x7f800000, v1
	v_cmp_ne_u32_e32 vcc, s0, v0
                                        ; implicit-def: $vgpr0
	s_and_saveexec_b64 s[0:1], vcc
	s_xor_b64 s[0:1], exec, s[0:1]
; %bb.18:
	v_bfe_u32 v0, v1, 16, 1
	s_movk_i32 s4, 0x7fff
	v_add3_u32 v0, v1, v0, s4
                                        ; implicit-def: $vgpr1
; %bb.19:
	s_andn2_saveexec_b64 s[0:1], s[0:1]
; %bb.20:
	v_mov_b32_e32 v0, 0
	v_or_b32_e32 v2, 0x10000, v1
	v_cmp_eq_u32_sdwa vcc, v1, v0 src0_sel:WORD_0 src1_sel:DWORD
	v_cndmask_b32_e32 v0, v2, v1, vcc
; %bb.21:
	s_or_b64 exec, exec, s[0:1]
	s_lshl_b64 s[0:1], s[2:3], 1
	s_add_u32 s0, s10, s0
	s_addc_u32 s1, s11, s1
	v_mov_b32_e32 v1, 0
	global_store_short_d16_hi v1, v0, s[0:1]
	s_endpgm
	.section	.rodata,"a",@progbits
	.p2align	6, 0x0
	.amdhsa_kernel _ZL24rocblas_dot_kernel_magsqIiLb0ELi512ELi8ELb1E16rocblas_bfloat16PKS0_fEviT5_lT_liPT6_PT4_
		.amdhsa_group_segment_fixed_size 256
		.amdhsa_private_segment_fixed_size 0
		.amdhsa_kernarg_size 320
		.amdhsa_user_sgpr_count 6
		.amdhsa_user_sgpr_private_segment_buffer 1
		.amdhsa_user_sgpr_dispatch_ptr 0
		.amdhsa_user_sgpr_queue_ptr 0
		.amdhsa_user_sgpr_kernarg_segment_ptr 1
		.amdhsa_user_sgpr_dispatch_id 0
		.amdhsa_user_sgpr_flat_scratch_init 0
		.amdhsa_user_sgpr_kernarg_preload_length 0
		.amdhsa_user_sgpr_kernarg_preload_offset 0
		.amdhsa_user_sgpr_private_segment_size 0
		.amdhsa_uses_dynamic_stack 0
		.amdhsa_system_sgpr_private_segment_wavefront_offset 0
		.amdhsa_system_sgpr_workgroup_id_x 1
		.amdhsa_system_sgpr_workgroup_id_y 0
		.amdhsa_system_sgpr_workgroup_id_z 1
		.amdhsa_system_sgpr_workgroup_info 0
		.amdhsa_system_vgpr_workitem_id 0
		.amdhsa_next_free_vgpr 9
		.amdhsa_next_free_sgpr 24
		.amdhsa_accum_offset 12
		.amdhsa_reserve_vcc 1
		.amdhsa_reserve_flat_scratch 0
		.amdhsa_float_round_mode_32 0
		.amdhsa_float_round_mode_16_64 0
		.amdhsa_float_denorm_mode_32 3
		.amdhsa_float_denorm_mode_16_64 3
		.amdhsa_dx10_clamp 1
		.amdhsa_ieee_mode 1
		.amdhsa_fp16_overflow 0
		.amdhsa_tg_split 0
		.amdhsa_exception_fp_ieee_invalid_op 0
		.amdhsa_exception_fp_denorm_src 0
		.amdhsa_exception_fp_ieee_div_zero 0
		.amdhsa_exception_fp_ieee_overflow 0
		.amdhsa_exception_fp_ieee_underflow 0
		.amdhsa_exception_fp_ieee_inexact 0
		.amdhsa_exception_int_div_zero 0
	.end_amdhsa_kernel
	.section	.text._ZL24rocblas_dot_kernel_magsqIiLb0ELi512ELi8ELb1E16rocblas_bfloat16PKS0_fEviT5_lT_liPT6_PT4_,"axG",@progbits,_ZL24rocblas_dot_kernel_magsqIiLb0ELi512ELi8ELb1E16rocblas_bfloat16PKS0_fEviT5_lT_liPT6_PT4_,comdat
.Lfunc_end532:
	.size	_ZL24rocblas_dot_kernel_magsqIiLb0ELi512ELi8ELb1E16rocblas_bfloat16PKS0_fEviT5_lT_liPT6_PT4_, .Lfunc_end532-_ZL24rocblas_dot_kernel_magsqIiLb0ELi512ELi8ELb1E16rocblas_bfloat16PKS0_fEviT5_lT_liPT6_PT4_
                                        ; -- End function
	.section	.AMDGPU.csdata,"",@progbits
; Kernel info:
; codeLenInByte = 968
; NumSgprs: 28
; NumVgprs: 9
; NumAgprs: 0
; TotalNumVgprs: 9
; ScratchSize: 0
; MemoryBound: 0
; FloatMode: 240
; IeeeMode: 1
; LDSByteSize: 256 bytes/workgroup (compile time only)
; SGPRBlocks: 3
; VGPRBlocks: 1
; NumSGPRsForWavesPerEU: 28
; NumVGPRsForWavesPerEU: 9
; AccumOffset: 12
; Occupancy: 8
; WaveLimiterHint : 0
; COMPUTE_PGM_RSRC2:SCRATCH_EN: 0
; COMPUTE_PGM_RSRC2:USER_SGPR: 6
; COMPUTE_PGM_RSRC2:TRAP_HANDLER: 0
; COMPUTE_PGM_RSRC2:TGID_X_EN: 1
; COMPUTE_PGM_RSRC2:TGID_Y_EN: 0
; COMPUTE_PGM_RSRC2:TGID_Z_EN: 1
; COMPUTE_PGM_RSRC2:TIDIG_COMP_CNT: 0
; COMPUTE_PGM_RSRC3_GFX90A:ACCUM_OFFSET: 2
; COMPUTE_PGM_RSRC3_GFX90A:TG_SPLIT: 0
	.section	.text._ZL28rocblas_dot_batched_4_kernelIiLi32ELi4ELb1EffPK16rocblas_bfloat16EviT5_lT_lS3_lS4_liPT4_,"axG",@progbits,_ZL28rocblas_dot_batched_4_kernelIiLi32ELi4ELb1EffPK16rocblas_bfloat16EviT5_lT_lS3_lS4_liPT4_,comdat
	.globl	_ZL28rocblas_dot_batched_4_kernelIiLi32ELi4ELb1EffPK16rocblas_bfloat16EviT5_lT_lS3_lS4_liPT4_ ; -- Begin function _ZL28rocblas_dot_batched_4_kernelIiLi32ELi4ELb1EffPK16rocblas_bfloat16EviT5_lT_lS3_lS4_liPT4_
	.p2align	8
	.type	_ZL28rocblas_dot_batched_4_kernelIiLi32ELi4ELb1EffPK16rocblas_bfloat16EviT5_lT_lS3_lS4_liPT4_,@function
_ZL28rocblas_dot_batched_4_kernelIiLi32ELi4ELb1EffPK16rocblas_bfloat16EviT5_lT_lS3_lS4_liPT4_: ; @_ZL28rocblas_dot_batched_4_kernelIiLi32ELi4ELb1EffPK16rocblas_bfloat16EviT5_lT_lS3_lS4_liPT4_
; %bb.0:
	s_load_dword s0, s[4:5], 0x48
	v_bfe_u32 v1, v0, 10, 10
	v_lshl_add_u32 v2, s6, 2, v1
	s_waitcnt lgkmcnt(0)
	v_cmp_gt_u32_e32 vcc, s0, v2
	s_and_saveexec_b64 s[0:1], vcc
	s_cbranch_execz .LBB533_7
; %bb.1:
	s_load_dword s10, s[4:5], 0x0
	s_load_dwordx2 s[0:1], s[4:5], 0x50
	v_mov_b32_e32 v3, 0
	v_and_b32_e32 v6, 0x3ff, v0
	v_mov_b32_e32 v7, v3
	s_waitcnt lgkmcnt(0)
	v_cmp_gt_i32_e32 vcc, s10, v6
	s_and_saveexec_b64 s[2:3], vcc
	s_cbranch_execz .LBB533_5
; %bb.2:
	s_load_dwordx4 s[12:15], s[4:5], 0x8
	s_load_dword s6, s[4:5], 0x18
	s_load_dword s8, s[4:5], 0x38
	s_load_dwordx4 s[16:19], s[4:5], 0x20
	s_load_dwordx2 s[20:21], s[4:5], 0x30
	s_load_dwordx2 s[22:23], s[4:5], 0x40
	s_waitcnt lgkmcnt(0)
	v_mad_i64_i32 v[0:1], s[4:5], s6, v6, 0
	v_mad_u64_u32 v[4:5], s[4:5], s16, v2, 0
	v_mov_b32_e32 v8, v5
	v_mad_u64_u32 v[8:9], s[4:5], s17, v2, v[8:9]
	v_mov_b32_e32 v5, v8
	s_ashr_i32 s7, s6, 31
	s_ashr_i32 s9, s8, 31
	v_lshlrev_b64 v[0:1], 1, v[0:1]
	v_lshlrev_b64 v[4:5], 1, v[4:5]
	s_lshl_b64 s[4:5], s[14:15], 1
	v_add_co_u32_e32 v0, vcc, v0, v4
	s_add_u32 s4, s12, s4
	v_addc_co_u32_e32 v1, vcc, v1, v5, vcc
	s_addc_u32 s5, s13, s5
	v_mov_b32_e32 v4, s5
	v_add_co_u32_e32 v0, vcc, s4, v0
	s_lshl_b64 s[4:5], s[6:7], 6
	v_mad_u64_u32 v[8:9], s[6:7], s22, v2, 0
	v_mov_b32_e32 v10, v9
	v_mad_u64_u32 v[10:11], s[6:7], s23, v2, v[10:11]
	v_addc_co_u32_e32 v1, vcc, v4, v1, vcc
	v_mad_i64_i32 v[4:5], s[6:7], s8, v6, 0
	v_mov_b32_e32 v9, v10
	v_lshlrev_b64 v[4:5], 1, v[4:5]
	v_lshlrev_b64 v[8:9], 1, v[8:9]
	s_lshl_b64 s[6:7], s[20:21], 1
	v_add_co_u32_e32 v4, vcc, v4, v8
	s_add_u32 s6, s18, s6
	v_addc_co_u32_e32 v5, vcc, v5, v9, vcc
	s_addc_u32 s7, s19, s7
	v_mov_b32_e32 v7, s7
	v_add_co_u32_e32 v4, vcc, s6, v4
	s_lshl_b64 s[8:9], s[8:9], 6
	v_addc_co_u32_e32 v5, vcc, v7, v5, vcc
	s_mov_b64 s[6:7], 0
	v_mov_b32_e32 v7, 0
	v_mov_b32_e32 v8, s5
	;; [unrolled: 1-line block ×4, first 2 shown]
.LBB533_3:                              ; =>This Inner Loop Header: Depth=1
	global_load_ushort v11, v[0:1], off
	global_load_ushort v12, v[4:5], off
	v_add_co_u32_e32 v0, vcc, s4, v0
	v_addc_co_u32_e32 v1, vcc, v1, v8, vcc
	v_add_co_u32_e32 v4, vcc, s8, v4
	v_add_u32_e32 v10, 32, v10
	v_addc_co_u32_e32 v5, vcc, v5, v9, vcc
	v_cmp_le_i32_e32 vcc, s10, v10
	s_or_b64 s[6:7], vcc, s[6:7]
	s_waitcnt vmcnt(1)
	v_lshlrev_b32_e32 v11, 16, v11
	s_waitcnt vmcnt(0)
	v_lshlrev_b32_e32 v12, 16, v12
	v_fmac_f32_e32 v7, v12, v11
	s_andn2_b64 exec, exec, s[6:7]
	s_cbranch_execnz .LBB533_3
; %bb.4:
	s_or_b64 exec, exec, s[6:7]
.LBB533_5:
	s_or_b64 exec, exec, s[2:3]
	v_mbcnt_lo_u32_b32 v0, -1, 0
	v_mbcnt_hi_u32_b32 v0, -1, v0
	v_and_b32_e32 v1, 63, v0
	v_cmp_gt_u32_e32 vcc, 48, v1
	v_cndmask_b32_e64 v4, 0, 1, vcc
	v_lshlrev_b32_e32 v4, 4, v4
	v_add_lshl_u32 v4, v4, v0, 2
	ds_bpermute_b32 v4, v4, v7
	v_cmp_gt_u32_e32 vcc, 56, v1
	v_cndmask_b32_e64 v5, 0, 1, vcc
	v_lshlrev_b32_e32 v5, 3, v5
	v_add_lshl_u32 v5, v5, v0, 2
	s_waitcnt lgkmcnt(0)
	v_add_f32_e32 v4, v7, v4
	ds_bpermute_b32 v5, v5, v4
	v_cmp_gt_u32_e32 vcc, 60, v1
	v_cndmask_b32_e64 v7, 0, 1, vcc
	v_lshlrev_b32_e32 v7, 2, v7
	v_cmp_gt_u32_e32 vcc, 62, v1
	s_waitcnt lgkmcnt(0)
	v_add_f32_e32 v4, v4, v5
	v_add_lshl_u32 v5, v7, v0, 2
	ds_bpermute_b32 v5, v5, v4
	v_cndmask_b32_e64 v7, 0, 1, vcc
	v_lshlrev_b32_e32 v7, 1, v7
	v_cmp_ne_u32_e32 vcc, 63, v1
	v_addc_co_u32_e32 v1, vcc, 0, v0, vcc
	s_waitcnt lgkmcnt(0)
	v_add_f32_e32 v4, v4, v5
	v_add_lshl_u32 v5, v7, v0, 2
	ds_bpermute_b32 v5, v5, v4
	v_lshlrev_b32_e32 v1, 2, v1
	v_cmp_eq_u32_e32 vcc, 0, v6
	s_waitcnt lgkmcnt(0)
	s_barrier
	v_add_f32_e32 v0, v4, v5
	ds_bpermute_b32 v1, v1, v0
	s_waitcnt lgkmcnt(0)
	s_and_b64 exec, exec, vcc
	s_cbranch_execz .LBB533_7
; %bb.6:
	v_lshlrev_b64 v[2:3], 2, v[2:3]
	v_mov_b32_e32 v4, s1
	v_add_co_u32_e32 v2, vcc, s0, v2
	v_addc_co_u32_e32 v3, vcc, v4, v3, vcc
	v_add_f32_e32 v0, v0, v1
	global_store_dword v[2:3], v0, off
.LBB533_7:
	s_endpgm
	.section	.rodata,"a",@progbits
	.p2align	6, 0x0
	.amdhsa_kernel _ZL28rocblas_dot_batched_4_kernelIiLi32ELi4ELb1EffPK16rocblas_bfloat16EviT5_lT_lS3_lS4_liPT4_
		.amdhsa_group_segment_fixed_size 0
		.amdhsa_private_segment_fixed_size 0
		.amdhsa_kernarg_size 88
		.amdhsa_user_sgpr_count 6
		.amdhsa_user_sgpr_private_segment_buffer 1
		.amdhsa_user_sgpr_dispatch_ptr 0
		.amdhsa_user_sgpr_queue_ptr 0
		.amdhsa_user_sgpr_kernarg_segment_ptr 1
		.amdhsa_user_sgpr_dispatch_id 0
		.amdhsa_user_sgpr_flat_scratch_init 0
		.amdhsa_user_sgpr_kernarg_preload_length 0
		.amdhsa_user_sgpr_kernarg_preload_offset 0
		.amdhsa_user_sgpr_private_segment_size 0
		.amdhsa_uses_dynamic_stack 0
		.amdhsa_system_sgpr_private_segment_wavefront_offset 0
		.amdhsa_system_sgpr_workgroup_id_x 1
		.amdhsa_system_sgpr_workgroup_id_y 0
		.amdhsa_system_sgpr_workgroup_id_z 0
		.amdhsa_system_sgpr_workgroup_info 0
		.amdhsa_system_vgpr_workitem_id 1
		.amdhsa_next_free_vgpr 13
		.amdhsa_next_free_sgpr 24
		.amdhsa_accum_offset 16
		.amdhsa_reserve_vcc 1
		.amdhsa_reserve_flat_scratch 0
		.amdhsa_float_round_mode_32 0
		.amdhsa_float_round_mode_16_64 0
		.amdhsa_float_denorm_mode_32 3
		.amdhsa_float_denorm_mode_16_64 3
		.amdhsa_dx10_clamp 1
		.amdhsa_ieee_mode 1
		.amdhsa_fp16_overflow 0
		.amdhsa_tg_split 0
		.amdhsa_exception_fp_ieee_invalid_op 0
		.amdhsa_exception_fp_denorm_src 0
		.amdhsa_exception_fp_ieee_div_zero 0
		.amdhsa_exception_fp_ieee_overflow 0
		.amdhsa_exception_fp_ieee_underflow 0
		.amdhsa_exception_fp_ieee_inexact 0
		.amdhsa_exception_int_div_zero 0
	.end_amdhsa_kernel
	.section	.text._ZL28rocblas_dot_batched_4_kernelIiLi32ELi4ELb1EffPK16rocblas_bfloat16EviT5_lT_lS3_lS4_liPT4_,"axG",@progbits,_ZL28rocblas_dot_batched_4_kernelIiLi32ELi4ELb1EffPK16rocblas_bfloat16EviT5_lT_lS3_lS4_liPT4_,comdat
.Lfunc_end533:
	.size	_ZL28rocblas_dot_batched_4_kernelIiLi32ELi4ELb1EffPK16rocblas_bfloat16EviT5_lT_lS3_lS4_liPT4_, .Lfunc_end533-_ZL28rocblas_dot_batched_4_kernelIiLi32ELi4ELb1EffPK16rocblas_bfloat16EviT5_lT_lS3_lS4_liPT4_
                                        ; -- End function
	.section	.AMDGPU.csdata,"",@progbits
; Kernel info:
; codeLenInByte = 672
; NumSgprs: 28
; NumVgprs: 13
; NumAgprs: 0
; TotalNumVgprs: 13
; ScratchSize: 0
; MemoryBound: 0
; FloatMode: 240
; IeeeMode: 1
; LDSByteSize: 0 bytes/workgroup (compile time only)
; SGPRBlocks: 3
; VGPRBlocks: 1
; NumSGPRsForWavesPerEU: 28
; NumVGPRsForWavesPerEU: 13
; AccumOffset: 16
; Occupancy: 8
; WaveLimiterHint : 0
; COMPUTE_PGM_RSRC2:SCRATCH_EN: 0
; COMPUTE_PGM_RSRC2:USER_SGPR: 6
; COMPUTE_PGM_RSRC2:TRAP_HANDLER: 0
; COMPUTE_PGM_RSRC2:TGID_X_EN: 1
; COMPUTE_PGM_RSRC2:TGID_Y_EN: 0
; COMPUTE_PGM_RSRC2:TGID_Z_EN: 0
; COMPUTE_PGM_RSRC2:TIDIG_COMP_CNT: 1
; COMPUTE_PGM_RSRC3_GFX90A:ACCUM_OFFSET: 3
; COMPUTE_PGM_RSRC3_GFX90A:TG_SPLIT: 0
	.section	.text._ZL28rocblas_dot_batched_4_kernelIiLi64ELi4ELb1EffPK16rocblas_bfloat16EviT5_lT_lS3_lS4_liPT4_,"axG",@progbits,_ZL28rocblas_dot_batched_4_kernelIiLi64ELi4ELb1EffPK16rocblas_bfloat16EviT5_lT_lS3_lS4_liPT4_,comdat
	.globl	_ZL28rocblas_dot_batched_4_kernelIiLi64ELi4ELb1EffPK16rocblas_bfloat16EviT5_lT_lS3_lS4_liPT4_ ; -- Begin function _ZL28rocblas_dot_batched_4_kernelIiLi64ELi4ELb1EffPK16rocblas_bfloat16EviT5_lT_lS3_lS4_liPT4_
	.p2align	8
	.type	_ZL28rocblas_dot_batched_4_kernelIiLi64ELi4ELb1EffPK16rocblas_bfloat16EviT5_lT_lS3_lS4_liPT4_,@function
_ZL28rocblas_dot_batched_4_kernelIiLi64ELi4ELb1EffPK16rocblas_bfloat16EviT5_lT_lS3_lS4_liPT4_: ; @_ZL28rocblas_dot_batched_4_kernelIiLi64ELi4ELb1EffPK16rocblas_bfloat16EviT5_lT_lS3_lS4_liPT4_
; %bb.0:
	s_load_dword s0, s[4:5], 0x48
	v_bfe_u32 v1, v0, 10, 10
	v_lshl_add_u32 v2, s6, 2, v1
	s_waitcnt lgkmcnt(0)
	v_cmp_gt_u32_e32 vcc, s0, v2
	s_and_saveexec_b64 s[0:1], vcc
	s_cbranch_execz .LBB534_7
; %bb.1:
	s_load_dword s10, s[4:5], 0x0
	s_load_dwordx2 s[0:1], s[4:5], 0x50
	v_mov_b32_e32 v3, 0
	v_and_b32_e32 v6, 0x3ff, v0
	v_mov_b32_e32 v7, v3
	s_waitcnt lgkmcnt(0)
	v_cmp_gt_i32_e32 vcc, s10, v6
	s_and_saveexec_b64 s[2:3], vcc
	s_cbranch_execz .LBB534_5
; %bb.2:
	s_load_dwordx4 s[12:15], s[4:5], 0x8
	s_load_dword s6, s[4:5], 0x18
	s_load_dword s8, s[4:5], 0x38
	s_load_dwordx4 s[16:19], s[4:5], 0x20
	s_load_dwordx2 s[20:21], s[4:5], 0x30
	s_load_dwordx2 s[22:23], s[4:5], 0x40
	s_waitcnt lgkmcnt(0)
	v_mad_i64_i32 v[0:1], s[4:5], s6, v6, 0
	v_mad_u64_u32 v[4:5], s[4:5], s16, v2, 0
	v_mov_b32_e32 v8, v5
	v_mad_u64_u32 v[8:9], s[4:5], s17, v2, v[8:9]
	v_mov_b32_e32 v5, v8
	s_ashr_i32 s7, s6, 31
	s_ashr_i32 s9, s8, 31
	v_lshlrev_b64 v[0:1], 1, v[0:1]
	v_lshlrev_b64 v[4:5], 1, v[4:5]
	s_lshl_b64 s[4:5], s[14:15], 1
	v_add_co_u32_e32 v0, vcc, v0, v4
	s_add_u32 s4, s12, s4
	v_addc_co_u32_e32 v1, vcc, v1, v5, vcc
	s_addc_u32 s5, s13, s5
	v_mov_b32_e32 v4, s5
	v_add_co_u32_e32 v0, vcc, s4, v0
	s_lshl_b64 s[4:5], s[6:7], 7
	v_mad_u64_u32 v[8:9], s[6:7], s22, v2, 0
	v_mov_b32_e32 v10, v9
	v_mad_u64_u32 v[10:11], s[6:7], s23, v2, v[10:11]
	v_addc_co_u32_e32 v1, vcc, v4, v1, vcc
	v_mad_i64_i32 v[4:5], s[6:7], s8, v6, 0
	v_mov_b32_e32 v9, v10
	v_lshlrev_b64 v[4:5], 1, v[4:5]
	v_lshlrev_b64 v[8:9], 1, v[8:9]
	s_lshl_b64 s[6:7], s[20:21], 1
	v_add_co_u32_e32 v4, vcc, v4, v8
	s_add_u32 s6, s18, s6
	v_addc_co_u32_e32 v5, vcc, v5, v9, vcc
	s_addc_u32 s7, s19, s7
	v_mov_b32_e32 v7, s7
	v_add_co_u32_e32 v4, vcc, s6, v4
	s_lshl_b64 s[8:9], s[8:9], 7
	v_addc_co_u32_e32 v5, vcc, v7, v5, vcc
	s_mov_b64 s[6:7], 0
	v_mov_b32_e32 v7, 0
	v_mov_b32_e32 v8, s5
	;; [unrolled: 1-line block ×4, first 2 shown]
.LBB534_3:                              ; =>This Inner Loop Header: Depth=1
	global_load_ushort v11, v[0:1], off
	global_load_ushort v12, v[4:5], off
	v_add_co_u32_e32 v0, vcc, s4, v0
	v_addc_co_u32_e32 v1, vcc, v1, v8, vcc
	v_add_co_u32_e32 v4, vcc, s8, v4
	v_add_u32_e32 v10, 64, v10
	v_addc_co_u32_e32 v5, vcc, v5, v9, vcc
	v_cmp_le_i32_e32 vcc, s10, v10
	s_or_b64 s[6:7], vcc, s[6:7]
	s_waitcnt vmcnt(1)
	v_lshlrev_b32_e32 v11, 16, v11
	s_waitcnt vmcnt(0)
	v_lshlrev_b32_e32 v12, 16, v12
	v_fmac_f32_e32 v7, v12, v11
	s_andn2_b64 exec, exec, s[6:7]
	s_cbranch_execnz .LBB534_3
; %bb.4:
	s_or_b64 exec, exec, s[6:7]
.LBB534_5:
	s_or_b64 exec, exec, s[2:3]
	v_mbcnt_lo_u32_b32 v0, -1, 0
	v_mbcnt_hi_u32_b32 v0, -1, v0
	v_and_b32_e32 v1, 63, v0
	v_cmp_gt_u32_e32 vcc, 32, v1
	v_cndmask_b32_e64 v4, 0, 1, vcc
	v_lshlrev_b32_e32 v4, 5, v4
	v_add_lshl_u32 v4, v4, v0, 2
	ds_bpermute_b32 v4, v4, v7
	v_cmp_gt_u32_e32 vcc, 48, v1
	v_cndmask_b32_e64 v5, 0, 1, vcc
	v_lshlrev_b32_e32 v5, 4, v5
	v_add_lshl_u32 v5, v5, v0, 2
	s_waitcnt lgkmcnt(0)
	v_add_f32_e32 v4, v7, v4
	ds_bpermute_b32 v5, v5, v4
	v_cmp_gt_u32_e32 vcc, 56, v1
	v_cndmask_b32_e64 v7, 0, 1, vcc
	v_lshlrev_b32_e32 v7, 3, v7
	v_cmp_gt_u32_e32 vcc, 60, v1
	s_waitcnt lgkmcnt(0)
	v_add_f32_e32 v4, v4, v5
	v_add_lshl_u32 v5, v7, v0, 2
	ds_bpermute_b32 v5, v5, v4
	v_cndmask_b32_e64 v7, 0, 1, vcc
	v_lshlrev_b32_e32 v7, 2, v7
	v_cmp_gt_u32_e32 vcc, 62, v1
	s_waitcnt lgkmcnt(0)
	v_add_f32_e32 v4, v4, v5
	v_add_lshl_u32 v5, v7, v0, 2
	ds_bpermute_b32 v5, v5, v4
	v_cndmask_b32_e64 v7, 0, 1, vcc
	v_lshlrev_b32_e32 v7, 1, v7
	v_cmp_ne_u32_e32 vcc, 63, v1
	v_addc_co_u32_e32 v1, vcc, 0, v0, vcc
	s_waitcnt lgkmcnt(0)
	v_add_f32_e32 v4, v4, v5
	v_add_lshl_u32 v5, v7, v0, 2
	ds_bpermute_b32 v5, v5, v4
	v_lshlrev_b32_e32 v1, 2, v1
	v_cmp_eq_u32_e32 vcc, 0, v6
	s_barrier
	s_waitcnt lgkmcnt(0)
	v_add_f32_e32 v0, v4, v5
	ds_bpermute_b32 v1, v1, v0
	s_and_b64 exec, exec, vcc
	s_cbranch_execz .LBB534_7
; %bb.6:
	v_lshlrev_b64 v[2:3], 2, v[2:3]
	v_mov_b32_e32 v4, s1
	v_add_co_u32_e32 v2, vcc, s0, v2
	v_addc_co_u32_e32 v3, vcc, v4, v3, vcc
	s_waitcnt lgkmcnt(0)
	v_add_f32_e32 v0, v0, v1
	global_store_dword v[2:3], v0, off
.LBB534_7:
	s_endpgm
	.section	.rodata,"a",@progbits
	.p2align	6, 0x0
	.amdhsa_kernel _ZL28rocblas_dot_batched_4_kernelIiLi64ELi4ELb1EffPK16rocblas_bfloat16EviT5_lT_lS3_lS4_liPT4_
		.amdhsa_group_segment_fixed_size 0
		.amdhsa_private_segment_fixed_size 0
		.amdhsa_kernarg_size 88
		.amdhsa_user_sgpr_count 6
		.amdhsa_user_sgpr_private_segment_buffer 1
		.amdhsa_user_sgpr_dispatch_ptr 0
		.amdhsa_user_sgpr_queue_ptr 0
		.amdhsa_user_sgpr_kernarg_segment_ptr 1
		.amdhsa_user_sgpr_dispatch_id 0
		.amdhsa_user_sgpr_flat_scratch_init 0
		.amdhsa_user_sgpr_kernarg_preload_length 0
		.amdhsa_user_sgpr_kernarg_preload_offset 0
		.amdhsa_user_sgpr_private_segment_size 0
		.amdhsa_uses_dynamic_stack 0
		.amdhsa_system_sgpr_private_segment_wavefront_offset 0
		.amdhsa_system_sgpr_workgroup_id_x 1
		.amdhsa_system_sgpr_workgroup_id_y 0
		.amdhsa_system_sgpr_workgroup_id_z 0
		.amdhsa_system_sgpr_workgroup_info 0
		.amdhsa_system_vgpr_workitem_id 1
		.amdhsa_next_free_vgpr 13
		.amdhsa_next_free_sgpr 24
		.amdhsa_accum_offset 16
		.amdhsa_reserve_vcc 1
		.amdhsa_reserve_flat_scratch 0
		.amdhsa_float_round_mode_32 0
		.amdhsa_float_round_mode_16_64 0
		.amdhsa_float_denorm_mode_32 3
		.amdhsa_float_denorm_mode_16_64 3
		.amdhsa_dx10_clamp 1
		.amdhsa_ieee_mode 1
		.amdhsa_fp16_overflow 0
		.amdhsa_tg_split 0
		.amdhsa_exception_fp_ieee_invalid_op 0
		.amdhsa_exception_fp_denorm_src 0
		.amdhsa_exception_fp_ieee_div_zero 0
		.amdhsa_exception_fp_ieee_overflow 0
		.amdhsa_exception_fp_ieee_underflow 0
		.amdhsa_exception_fp_ieee_inexact 0
		.amdhsa_exception_int_div_zero 0
	.end_amdhsa_kernel
	.section	.text._ZL28rocblas_dot_batched_4_kernelIiLi64ELi4ELb1EffPK16rocblas_bfloat16EviT5_lT_lS3_lS4_liPT4_,"axG",@progbits,_ZL28rocblas_dot_batched_4_kernelIiLi64ELi4ELb1EffPK16rocblas_bfloat16EviT5_lT_lS3_lS4_liPT4_,comdat
.Lfunc_end534:
	.size	_ZL28rocblas_dot_batched_4_kernelIiLi64ELi4ELb1EffPK16rocblas_bfloat16EviT5_lT_lS3_lS4_liPT4_, .Lfunc_end534-_ZL28rocblas_dot_batched_4_kernelIiLi64ELi4ELb1EffPK16rocblas_bfloat16EviT5_lT_lS3_lS4_liPT4_
                                        ; -- End function
	.section	.AMDGPU.csdata,"",@progbits
; Kernel info:
; codeLenInByte = 712
; NumSgprs: 28
; NumVgprs: 13
; NumAgprs: 0
; TotalNumVgprs: 13
; ScratchSize: 0
; MemoryBound: 0
; FloatMode: 240
; IeeeMode: 1
; LDSByteSize: 0 bytes/workgroup (compile time only)
; SGPRBlocks: 3
; VGPRBlocks: 1
; NumSGPRsForWavesPerEU: 28
; NumVGPRsForWavesPerEU: 13
; AccumOffset: 16
; Occupancy: 8
; WaveLimiterHint : 0
; COMPUTE_PGM_RSRC2:SCRATCH_EN: 0
; COMPUTE_PGM_RSRC2:USER_SGPR: 6
; COMPUTE_PGM_RSRC2:TRAP_HANDLER: 0
; COMPUTE_PGM_RSRC2:TGID_X_EN: 1
; COMPUTE_PGM_RSRC2:TGID_Y_EN: 0
; COMPUTE_PGM_RSRC2:TGID_Z_EN: 0
; COMPUTE_PGM_RSRC2:TIDIG_COMP_CNT: 1
; COMPUTE_PGM_RSRC3_GFX90A:ACCUM_OFFSET: 3
; COMPUTE_PGM_RSRC3_GFX90A:TG_SPLIT: 0
	.section	.text._ZL18rocblas_dot_kernelIiLb1ELi1024ELi32ELb1EfPK16rocblas_bfloat16fEviT5_lT_lS3_lS4_liPT6_PT4_,"axG",@progbits,_ZL18rocblas_dot_kernelIiLb1ELi1024ELi32ELb1EfPK16rocblas_bfloat16fEviT5_lT_lS3_lS4_liPT6_PT4_,comdat
	.globl	_ZL18rocblas_dot_kernelIiLb1ELi1024ELi32ELb1EfPK16rocblas_bfloat16fEviT5_lT_lS3_lS4_liPT6_PT4_ ; -- Begin function _ZL18rocblas_dot_kernelIiLb1ELi1024ELi32ELb1EfPK16rocblas_bfloat16fEviT5_lT_lS3_lS4_liPT6_PT4_
	.p2align	8
	.type	_ZL18rocblas_dot_kernelIiLb1ELi1024ELi32ELb1EfPK16rocblas_bfloat16fEviT5_lT_lS3_lS4_liPT6_PT4_,@function
_ZL18rocblas_dot_kernelIiLb1ELi1024ELi32ELb1EfPK16rocblas_bfloat16fEviT5_lT_lS3_lS4_liPT6_PT4_: ; @_ZL18rocblas_dot_kernelIiLb1ELi1024ELi32ELb1EfPK16rocblas_bfloat16fEviT5_lT_lS3_lS4_liPT6_PT4_
; %bb.0:
	s_load_dword s14, s[4:5], 0x0
	s_load_dwordx2 s[8:9], s[4:5], 0x58
	s_mov_b32 s6, s7
	s_mov_b32 s7, 0
	v_mov_b32_e32 v6, 0
	s_waitcnt lgkmcnt(0)
	v_cmp_gt_i32_e32 vcc, s14, v0
	s_and_saveexec_b64 s[10:11], vcc
	s_cbranch_execz .LBB535_4
; %bb.1:
	s_load_dword s22, s[4:5], 0x38
	s_load_dwordx2 s[12:13], s[4:5], 0x40
	s_load_dword s15, s[4:5], 0x60
	s_load_dwordx4 s[0:3], s[4:5], 0x20
	s_load_dwordx4 s[16:19], s[4:5], 0x8
	s_load_dword s23, s[4:5], 0x18
	s_load_dwordx2 s[20:21], s[4:5], 0x30
	s_waitcnt lgkmcnt(0)
	s_lshl_b32 s15, s15, 10
	s_mul_i32 s1, s1, s6
	s_mul_hi_u32 s4, s0, s6
	s_add_i32 s1, s4, s1
	s_mul_i32 s0, s0, s6
	v_mad_i64_i32 v[2:3], s[4:5], s23, v0, 0
	s_lshl_b64 s[0:1], s[0:1], 1
	s_lshl_b64 s[4:5], s[18:19], 1
	s_add_u32 s4, s16, s4
	s_addc_u32 s5, s17, s5
	s_add_u32 s0, s4, s0
	v_lshlrev_b64 v[2:3], 1, v[2:3]
	s_addc_u32 s1, s5, s1
	v_mov_b32_e32 v4, s1
	v_add_co_u32_e32 v2, vcc, s0, v2
	s_mul_hi_i32 s1, s23, s15
	s_mul_i32 s0, s23, s15
	s_lshl_b64 s[4:5], s[0:1], 1
	s_mul_i32 s0, s13, s6
	s_mul_hi_u32 s1, s12, s6
	v_addc_co_u32_e32 v3, vcc, v4, v3, vcc
	s_add_i32 s1, s1, s0
	s_mul_i32 s0, s12, s6
	v_mad_i64_i32 v[4:5], s[12:13], s22, v0, 0
	s_lshl_b64 s[0:1], s[0:1], 1
	s_lshl_b64 s[12:13], s[20:21], 1
	s_add_u32 s2, s2, s12
	s_addc_u32 s3, s3, s13
	s_add_u32 s0, s2, s0
	v_lshlrev_b64 v[4:5], 1, v[4:5]
	s_addc_u32 s1, s3, s1
	v_mov_b32_e32 v6, s1
	v_add_co_u32_e32 v4, vcc, s0, v4
	s_mul_hi_i32 s1, s22, s15
	s_mul_i32 s0, s22, s15
	s_lshl_b64 s[12:13], s[0:1], 1
	v_or_b32_e32 v1, s15, v0
	v_addc_co_u32_e32 v5, vcc, v6, v5, vcc
	s_mov_b64 s[2:3], 0
	v_mov_b32_e32 v6, 0
	v_mov_b32_e32 v7, s5
	;; [unrolled: 1-line block ×3, first 2 shown]
	s_mov_b32 s5, s7
.LBB535_2:                              ; =>This Inner Loop Header: Depth=1
	global_load_ushort v9, v[4:5], off
	global_load_ushort v10, v[2:3], off
	v_add_co_u32_e64 v2, s[0:1], s4, v2
	v_addc_co_u32_e64 v3, s[0:1], v3, v7, s[0:1]
	s_add_i32 s13, s5, 1
	v_add_co_u32_e64 v4, s[0:1], s12, v4
	v_addc_co_u32_e64 v5, s[0:1], v5, v8, s[0:1]
	s_cmp_gt_u32 s5, 30
	v_cmp_le_i32_e32 vcc, s14, v1
	s_cselect_b64 s[0:1], -1, 0
	s_or_b64 s[0:1], s[0:1], vcc
	s_and_b64 s[0:1], exec, s[0:1]
	v_add_u32_e32 v1, s15, v1
	s_mov_b32 s5, s13
	s_or_b64 s[2:3], s[0:1], s[2:3]
	s_waitcnt vmcnt(1)
	v_lshlrev_b32_e32 v9, 16, v9
	s_waitcnt vmcnt(0)
	v_lshlrev_b32_e32 v10, 16, v10
	v_fmac_f32_e32 v6, v10, v9
	s_andn2_b64 exec, exec, s[2:3]
	s_cbranch_execnz .LBB535_2
; %bb.3:
	s_or_b64 exec, exec, s[2:3]
.LBB535_4:
	s_or_b64 exec, exec, s[10:11]
	v_and_b32_e32 v2, 63, v0
	v_cmp_gt_u32_e32 vcc, 64, v0
	v_lshlrev_b32_e32 v1, 2, v2
	s_and_saveexec_b64 s[0:1], vcc
	s_cbranch_execz .LBB535_6
; %bb.5:
	v_mov_b32_e32 v3, 0
	ds_write_b32 v1, v3
.LBB535_6:
	s_or_b64 exec, exec, s[0:1]
	v_mbcnt_lo_u32_b32 v3, -1, 0
	v_mbcnt_hi_u32_b32 v7, -1, v3
	v_and_b32_e32 v8, 63, v7
	v_cmp_gt_u32_e64 s[0:1], 32, v8
	v_cndmask_b32_e64 v3, 0, 1, s[0:1]
	v_lshlrev_b32_e32 v3, 5, v3
	v_add_lshl_u32 v3, v3, v7, 2
	ds_bpermute_b32 v3, v3, v6
	v_cmp_gt_u32_e64 s[0:1], 48, v8
	v_cndmask_b32_e64 v4, 0, 1, s[0:1]
	v_lshlrev_b32_e32 v4, 4, v4
	v_add_lshl_u32 v4, v4, v7, 2
	s_waitcnt lgkmcnt(0)
	v_add_f32_e32 v3, v6, v3
	ds_bpermute_b32 v4, v4, v3
	v_cmp_gt_u32_e64 s[0:1], 56, v8
	v_cndmask_b32_e64 v5, 0, 1, s[0:1]
	v_lshlrev_b32_e32 v5, 3, v5
	v_cmp_gt_u32_e64 s[0:1], 60, v8
	s_waitcnt lgkmcnt(0)
	v_add_f32_e32 v4, v3, v4
	v_add_lshl_u32 v3, v5, v7, 2
	ds_bpermute_b32 v5, v3, v4
	v_cndmask_b32_e64 v6, 0, 1, s[0:1]
	v_lshlrev_b32_e32 v6, 2, v6
	v_cmp_gt_u32_e64 s[0:1], 62, v8
	v_cndmask_b32_e64 v9, 0, 1, s[0:1]
	s_waitcnt lgkmcnt(0)
	v_add_f32_e32 v5, v4, v5
	v_add_lshl_u32 v4, v6, v7, 2
	ds_bpermute_b32 v6, v4, v5
	v_lshlrev_b32_e32 v9, 1, v9
	v_cmp_ne_u32_e64 s[0:1], 63, v8
	v_addc_co_u32_e64 v8, s[0:1], 0, v7, s[0:1]
	s_waitcnt lgkmcnt(0)
	v_add_f32_e32 v6, v5, v6
	v_add_lshl_u32 v5, v9, v7, 2
	ds_bpermute_b32 v9, v5, v6
	v_cmp_eq_u32_e64 s[0:1], 0, v2
	s_waitcnt lgkmcnt(0)
	s_barrier
	v_add_f32_e32 v7, v6, v9
	v_lshlrev_b32_e32 v6, 2, v8
	ds_bpermute_b32 v8, v6, v7
	s_and_saveexec_b64 s[2:3], s[0:1]
	s_cbranch_execz .LBB535_8
; %bb.7:
	s_waitcnt lgkmcnt(0)
	v_add_f32_e32 v2, v7, v8
	v_lshrrev_b32_e32 v7, 4, v0
	v_and_b32_e32 v7, 60, v7
	ds_write_b32 v7, v2
.LBB535_8:
	s_or_b64 exec, exec, s[2:3]
	v_cmp_gt_u32_e64 s[0:1], 16, v0
	v_mov_b32_e32 v2, 0
	s_waitcnt lgkmcnt(0)
	s_barrier
	s_and_saveexec_b64 s[2:3], s[0:1]
	s_cbranch_execnz .LBB535_12
; %bb.9:
	s_or_b64 exec, exec, s[2:3]
	s_and_saveexec_b64 s[0:1], vcc
	s_cbranch_execnz .LBB535_13
.LBB535_10:
	s_or_b64 exec, exec, s[0:1]
	v_cmp_eq_u32_e32 vcc, 0, v0
	s_and_saveexec_b64 s[0:1], vcc
	s_cbranch_execnz .LBB535_14
.LBB535_11:
	s_endpgm
.LBB535_12:
	ds_read_b32 v2, v1
	s_or_b64 exec, exec, s[2:3]
	s_and_saveexec_b64 s[0:1], vcc
	s_cbranch_execz .LBB535_10
.LBB535_13:
	s_waitcnt lgkmcnt(0)
	ds_bpermute_b32 v1, v3, v2
	s_waitcnt lgkmcnt(0)
	v_add_f32_e32 v1, v2, v1
	ds_bpermute_b32 v2, v4, v1
	s_waitcnt lgkmcnt(0)
	v_add_f32_e32 v1, v1, v2
	;; [unrolled: 3-line block ×4, first 2 shown]
	s_or_b64 exec, exec, s[0:1]
	v_cmp_eq_u32_e32 vcc, 0, v0
	s_and_saveexec_b64 s[0:1], vcc
	s_cbranch_execz .LBB535_11
.LBB535_14:
	s_lshl_b64 s[0:1], s[6:7], 2
	s_add_u32 s0, s8, s0
	s_addc_u32 s1, s9, s1
	v_mov_b32_e32 v0, 0
	s_waitcnt lgkmcnt(0)
	global_store_dword v0, v2, s[0:1]
	s_endpgm
	.section	.rodata,"a",@progbits
	.p2align	6, 0x0
	.amdhsa_kernel _ZL18rocblas_dot_kernelIiLb1ELi1024ELi32ELb1EfPK16rocblas_bfloat16fEviT5_lT_lS3_lS4_liPT6_PT4_
		.amdhsa_group_segment_fixed_size 256
		.amdhsa_private_segment_fixed_size 0
		.amdhsa_kernarg_size 352
		.amdhsa_user_sgpr_count 6
		.amdhsa_user_sgpr_private_segment_buffer 1
		.amdhsa_user_sgpr_dispatch_ptr 0
		.amdhsa_user_sgpr_queue_ptr 0
		.amdhsa_user_sgpr_kernarg_segment_ptr 1
		.amdhsa_user_sgpr_dispatch_id 0
		.amdhsa_user_sgpr_flat_scratch_init 0
		.amdhsa_user_sgpr_kernarg_preload_length 0
		.amdhsa_user_sgpr_kernarg_preload_offset 0
		.amdhsa_user_sgpr_private_segment_size 0
		.amdhsa_uses_dynamic_stack 0
		.amdhsa_system_sgpr_private_segment_wavefront_offset 0
		.amdhsa_system_sgpr_workgroup_id_x 1
		.amdhsa_system_sgpr_workgroup_id_y 0
		.amdhsa_system_sgpr_workgroup_id_z 1
		.amdhsa_system_sgpr_workgroup_info 0
		.amdhsa_system_vgpr_workitem_id 0
		.amdhsa_next_free_vgpr 11
		.amdhsa_next_free_sgpr 24
		.amdhsa_accum_offset 12
		.amdhsa_reserve_vcc 1
		.amdhsa_reserve_flat_scratch 0
		.amdhsa_float_round_mode_32 0
		.amdhsa_float_round_mode_16_64 0
		.amdhsa_float_denorm_mode_32 3
		.amdhsa_float_denorm_mode_16_64 3
		.amdhsa_dx10_clamp 1
		.amdhsa_ieee_mode 1
		.amdhsa_fp16_overflow 0
		.amdhsa_tg_split 0
		.amdhsa_exception_fp_ieee_invalid_op 0
		.amdhsa_exception_fp_denorm_src 0
		.amdhsa_exception_fp_ieee_div_zero 0
		.amdhsa_exception_fp_ieee_overflow 0
		.amdhsa_exception_fp_ieee_underflow 0
		.amdhsa_exception_fp_ieee_inexact 0
		.amdhsa_exception_int_div_zero 0
	.end_amdhsa_kernel
	.section	.text._ZL18rocblas_dot_kernelIiLb1ELi1024ELi32ELb1EfPK16rocblas_bfloat16fEviT5_lT_lS3_lS4_liPT6_PT4_,"axG",@progbits,_ZL18rocblas_dot_kernelIiLb1ELi1024ELi32ELb1EfPK16rocblas_bfloat16fEviT5_lT_lS3_lS4_liPT6_PT4_,comdat
.Lfunc_end535:
	.size	_ZL18rocblas_dot_kernelIiLb1ELi1024ELi32ELb1EfPK16rocblas_bfloat16fEviT5_lT_lS3_lS4_liPT6_PT4_, .Lfunc_end535-_ZL18rocblas_dot_kernelIiLb1ELi1024ELi32ELb1EfPK16rocblas_bfloat16fEviT5_lT_lS3_lS4_liPT6_PT4_
                                        ; -- End function
	.section	.AMDGPU.csdata,"",@progbits
; Kernel info:
; codeLenInByte = 960
; NumSgprs: 28
; NumVgprs: 11
; NumAgprs: 0
; TotalNumVgprs: 11
; ScratchSize: 0
; MemoryBound: 0
; FloatMode: 240
; IeeeMode: 1
; LDSByteSize: 256 bytes/workgroup (compile time only)
; SGPRBlocks: 3
; VGPRBlocks: 1
; NumSGPRsForWavesPerEU: 28
; NumVGPRsForWavesPerEU: 11
; AccumOffset: 12
; Occupancy: 8
; WaveLimiterHint : 0
; COMPUTE_PGM_RSRC2:SCRATCH_EN: 0
; COMPUTE_PGM_RSRC2:USER_SGPR: 6
; COMPUTE_PGM_RSRC2:TRAP_HANDLER: 0
; COMPUTE_PGM_RSRC2:TGID_X_EN: 1
; COMPUTE_PGM_RSRC2:TGID_Y_EN: 0
; COMPUTE_PGM_RSRC2:TGID_Z_EN: 1
; COMPUTE_PGM_RSRC2:TIDIG_COMP_CNT: 0
; COMPUTE_PGM_RSRC3_GFX90A:ACCUM_OFFSET: 2
; COMPUTE_PGM_RSRC3_GFX90A:TG_SPLIT: 0
	.section	.text._ZL24rocblas_dot_kernel_magsqIiLb1ELi1024ELi32ELb1EfPK16rocblas_bfloat16fEviT5_lT_liPT6_PT4_,"axG",@progbits,_ZL24rocblas_dot_kernel_magsqIiLb1ELi1024ELi32ELb1EfPK16rocblas_bfloat16fEviT5_lT_liPT6_PT4_,comdat
	.globl	_ZL24rocblas_dot_kernel_magsqIiLb1ELi1024ELi32ELb1EfPK16rocblas_bfloat16fEviT5_lT_liPT6_PT4_ ; -- Begin function _ZL24rocblas_dot_kernel_magsqIiLb1ELi1024ELi32ELb1EfPK16rocblas_bfloat16fEviT5_lT_liPT6_PT4_
	.p2align	8
	.type	_ZL24rocblas_dot_kernel_magsqIiLb1ELi1024ELi32ELb1EfPK16rocblas_bfloat16fEviT5_lT_liPT6_PT4_,@function
_ZL24rocblas_dot_kernel_magsqIiLb1ELi1024ELi32ELb1EfPK16rocblas_bfloat16fEviT5_lT_liPT6_PT4_: ; @_ZL24rocblas_dot_kernel_magsqIiLb1ELi1024ELi32ELb1EfPK16rocblas_bfloat16fEviT5_lT_liPT6_PT4_
; %bb.0:
	s_mov_b32 s2, s7
	s_load_dword s12, s[4:5], 0x0
	s_load_dwordx2 s[6:7], s[4:5], 0x38
	s_mov_b32 s3, 0
	v_mov_b32_e32 v1, 0
	s_waitcnt lgkmcnt(0)
	v_cmp_gt_i32_e32 vcc, s12, v0
	s_and_saveexec_b64 s[8:9], vcc
	s_cbranch_execz .LBB536_4
; %bb.1:
	s_load_dword s10, s[4:5], 0x40
	s_load_dwordx2 s[0:1], s[4:5], 0x20
	s_load_dwordx4 s[16:19], s[4:5], 0x8
	s_load_dword s11, s[4:5], 0x18
	s_waitcnt lgkmcnt(0)
	s_lshl_b32 s13, s10, 10
	s_mul_i32 s1, s1, s2
	s_mul_hi_u32 s4, s0, s2
	s_add_i32 s1, s4, s1
	s_mul_i32 s0, s0, s2
	v_mad_i64_i32 v[2:3], s[4:5], s11, v0, 0
	s_lshl_b64 s[0:1], s[0:1], 1
	s_lshl_b64 s[4:5], s[18:19], 1
	s_add_u32 s4, s16, s4
	s_addc_u32 s5, s17, s5
	s_add_u32 s0, s4, s0
	v_lshlrev_b64 v[2:3], 1, v[2:3]
	s_addc_u32 s1, s5, s1
	v_mov_b32_e32 v1, s1
	v_add_co_u32_e32 v2, vcc, s0, v2
	s_mul_hi_i32 s1, s11, s13
	s_mul_i32 s0, s11, s13
	s_lshl_b64 s[10:11], s[0:1], 1
	v_or_b32_e32 v4, s13, v0
	v_addc_co_u32_e32 v3, vcc, v1, v3, vcc
	s_mov_b64 s[4:5], 0
	v_mov_b32_e32 v1, 0
	v_mov_b32_e32 v5, s11
	s_mov_b32 s11, s3
.LBB536_2:                              ; =>This Inner Loop Header: Depth=1
	global_load_ushort v6, v[2:3], off
	s_add_i32 s14, s11, 1
	v_add_co_u32_e64 v2, s[0:1], s10, v2
	v_addc_co_u32_e64 v3, s[0:1], v3, v5, s[0:1]
	s_cmp_gt_u32 s11, 30
	v_cmp_le_i32_e32 vcc, s12, v4
	s_cselect_b64 s[0:1], -1, 0
	s_or_b64 s[0:1], s[0:1], vcc
	s_and_b64 s[0:1], exec, s[0:1]
	v_add_u32_e32 v4, s13, v4
	s_mov_b32 s11, s14
	s_or_b64 s[4:5], s[0:1], s[4:5]
	s_waitcnt vmcnt(0)
	v_lshlrev_b32_e32 v6, 16, v6
	v_fmac_f32_e32 v1, v6, v6
	s_andn2_b64 exec, exec, s[4:5]
	s_cbranch_execnz .LBB536_2
; %bb.3:
	s_or_b64 exec, exec, s[4:5]
.LBB536_4:
	s_or_b64 exec, exec, s[8:9]
	v_and_b32_e32 v3, 63, v0
	v_cmp_gt_u32_e32 vcc, 64, v0
	v_lshlrev_b32_e32 v2, 2, v3
	s_and_saveexec_b64 s[0:1], vcc
	s_cbranch_execz .LBB536_6
; %bb.5:
	v_mov_b32_e32 v4, 0
	ds_write_b32 v2, v4
.LBB536_6:
	s_or_b64 exec, exec, s[0:1]
	v_mbcnt_lo_u32_b32 v4, -1, 0
	v_mbcnt_hi_u32_b32 v6, -1, v4
	v_and_b32_e32 v7, 63, v6
	v_cmp_gt_u32_e64 s[0:1], 32, v7
	v_cndmask_b32_e64 v4, 0, 1, s[0:1]
	v_lshlrev_b32_e32 v4, 5, v4
	v_add_lshl_u32 v4, v4, v6, 2
	ds_bpermute_b32 v4, v4, v1
	v_cmp_gt_u32_e64 s[0:1], 48, v7
	v_cndmask_b32_e64 v5, 0, 1, s[0:1]
	v_lshlrev_b32_e32 v5, 4, v5
	v_cmp_gt_u32_e64 s[0:1], 56, v7
	s_waitcnt lgkmcnt(0)
	v_add_f32_e32 v1, v1, v4
	v_add_lshl_u32 v4, v5, v6, 2
	ds_bpermute_b32 v4, v4, v1
	v_cndmask_b32_e64 v5, 0, 1, s[0:1]
	v_lshlrev_b32_e32 v5, 3, v5
	v_cmp_gt_u32_e64 s[0:1], 60, v7
	v_cndmask_b32_e64 v8, 0, 1, s[0:1]
	s_waitcnt lgkmcnt(0)
	v_add_f32_e32 v4, v1, v4
	v_add_lshl_u32 v1, v5, v6, 2
	ds_bpermute_b32 v5, v1, v4
	v_lshlrev_b32_e32 v8, 2, v8
	v_cmp_gt_u32_e64 s[0:1], 62, v7
	v_cndmask_b32_e64 v9, 0, 1, s[0:1]
	v_lshlrev_b32_e32 v9, 1, v9
	s_waitcnt lgkmcnt(0)
	v_add_f32_e32 v5, v4, v5
	v_add_lshl_u32 v4, v8, v6, 2
	ds_bpermute_b32 v8, v4, v5
	v_cmp_ne_u32_e64 s[0:1], 63, v7
	s_waitcnt lgkmcnt(0)
	s_barrier
	v_add_f32_e32 v8, v5, v8
	v_add_lshl_u32 v5, v9, v6, 2
	ds_bpermute_b32 v9, v5, v8
	v_addc_co_u32_e64 v6, s[0:1], 0, v6, s[0:1]
	v_lshlrev_b32_e32 v6, 2, v6
	v_cmp_eq_u32_e64 s[0:1], 0, v3
	s_waitcnt lgkmcnt(0)
	v_add_f32_e32 v7, v8, v9
	ds_bpermute_b32 v8, v6, v7
	s_and_saveexec_b64 s[4:5], s[0:1]
	s_cbranch_execz .LBB536_8
; %bb.7:
	s_waitcnt lgkmcnt(0)
	v_add_f32_e32 v3, v7, v8
	v_lshrrev_b32_e32 v7, 4, v0
	v_and_b32_e32 v7, 60, v7
	ds_write_b32 v7, v3
.LBB536_8:
	s_or_b64 exec, exec, s[4:5]
	v_cmp_gt_u32_e64 s[0:1], 16, v0
	v_mov_b32_e32 v3, 0
	s_waitcnt lgkmcnt(0)
	s_barrier
	s_and_saveexec_b64 s[4:5], s[0:1]
	s_cbranch_execnz .LBB536_12
; %bb.9:
	s_or_b64 exec, exec, s[4:5]
	s_and_saveexec_b64 s[0:1], vcc
	s_cbranch_execnz .LBB536_13
.LBB536_10:
	s_or_b64 exec, exec, s[0:1]
	v_cmp_eq_u32_e32 vcc, 0, v0
	s_and_saveexec_b64 s[0:1], vcc
	s_cbranch_execnz .LBB536_14
.LBB536_11:
	s_endpgm
.LBB536_12:
	ds_read_b32 v3, v2
	s_or_b64 exec, exec, s[4:5]
	s_and_saveexec_b64 s[0:1], vcc
	s_cbranch_execz .LBB536_10
.LBB536_13:
	s_waitcnt lgkmcnt(0)
	ds_bpermute_b32 v1, v1, v3
	s_waitcnt lgkmcnt(0)
	v_add_f32_e32 v1, v3, v1
	ds_bpermute_b32 v2, v4, v1
	s_waitcnt lgkmcnt(0)
	v_add_f32_e32 v1, v1, v2
	;; [unrolled: 3-line block ×4, first 2 shown]
	s_or_b64 exec, exec, s[0:1]
	v_cmp_eq_u32_e32 vcc, 0, v0
	s_and_saveexec_b64 s[0:1], vcc
	s_cbranch_execz .LBB536_11
.LBB536_14:
	s_lshl_b64 s[0:1], s[2:3], 2
	s_add_u32 s0, s6, s0
	s_addc_u32 s1, s7, s1
	v_mov_b32_e32 v0, 0
	s_waitcnt lgkmcnt(0)
	global_store_dword v0, v3, s[0:1]
	s_endpgm
	.section	.rodata,"a",@progbits
	.p2align	6, 0x0
	.amdhsa_kernel _ZL24rocblas_dot_kernel_magsqIiLb1ELi1024ELi32ELb1EfPK16rocblas_bfloat16fEviT5_lT_liPT6_PT4_
		.amdhsa_group_segment_fixed_size 256
		.amdhsa_private_segment_fixed_size 0
		.amdhsa_kernarg_size 320
		.amdhsa_user_sgpr_count 6
		.amdhsa_user_sgpr_private_segment_buffer 1
		.amdhsa_user_sgpr_dispatch_ptr 0
		.amdhsa_user_sgpr_queue_ptr 0
		.amdhsa_user_sgpr_kernarg_segment_ptr 1
		.amdhsa_user_sgpr_dispatch_id 0
		.amdhsa_user_sgpr_flat_scratch_init 0
		.amdhsa_user_sgpr_kernarg_preload_length 0
		.amdhsa_user_sgpr_kernarg_preload_offset 0
		.amdhsa_user_sgpr_private_segment_size 0
		.amdhsa_uses_dynamic_stack 0
		.amdhsa_system_sgpr_private_segment_wavefront_offset 0
		.amdhsa_system_sgpr_workgroup_id_x 1
		.amdhsa_system_sgpr_workgroup_id_y 0
		.amdhsa_system_sgpr_workgroup_id_z 1
		.amdhsa_system_sgpr_workgroup_info 0
		.amdhsa_system_vgpr_workitem_id 0
		.amdhsa_next_free_vgpr 10
		.amdhsa_next_free_sgpr 20
		.amdhsa_accum_offset 12
		.amdhsa_reserve_vcc 1
		.amdhsa_reserve_flat_scratch 0
		.amdhsa_float_round_mode_32 0
		.amdhsa_float_round_mode_16_64 0
		.amdhsa_float_denorm_mode_32 3
		.amdhsa_float_denorm_mode_16_64 3
		.amdhsa_dx10_clamp 1
		.amdhsa_ieee_mode 1
		.amdhsa_fp16_overflow 0
		.amdhsa_tg_split 0
		.amdhsa_exception_fp_ieee_invalid_op 0
		.amdhsa_exception_fp_denorm_src 0
		.amdhsa_exception_fp_ieee_div_zero 0
		.amdhsa_exception_fp_ieee_overflow 0
		.amdhsa_exception_fp_ieee_underflow 0
		.amdhsa_exception_fp_ieee_inexact 0
		.amdhsa_exception_int_div_zero 0
	.end_amdhsa_kernel
	.section	.text._ZL24rocblas_dot_kernel_magsqIiLb1ELi1024ELi32ELb1EfPK16rocblas_bfloat16fEviT5_lT_liPT6_PT4_,"axG",@progbits,_ZL24rocblas_dot_kernel_magsqIiLb1ELi1024ELi32ELb1EfPK16rocblas_bfloat16fEviT5_lT_liPT6_PT4_,comdat
.Lfunc_end536:
	.size	_ZL24rocblas_dot_kernel_magsqIiLb1ELi1024ELi32ELb1EfPK16rocblas_bfloat16fEviT5_lT_liPT6_PT4_, .Lfunc_end536-_ZL24rocblas_dot_kernel_magsqIiLb1ELi1024ELi32ELb1EfPK16rocblas_bfloat16fEviT5_lT_liPT6_PT4_
                                        ; -- End function
	.section	.AMDGPU.csdata,"",@progbits
; Kernel info:
; codeLenInByte = 820
; NumSgprs: 24
; NumVgprs: 10
; NumAgprs: 0
; TotalNumVgprs: 10
; ScratchSize: 0
; MemoryBound: 0
; FloatMode: 240
; IeeeMode: 1
; LDSByteSize: 256 bytes/workgroup (compile time only)
; SGPRBlocks: 2
; VGPRBlocks: 1
; NumSGPRsForWavesPerEU: 24
; NumVGPRsForWavesPerEU: 10
; AccumOffset: 12
; Occupancy: 8
; WaveLimiterHint : 0
; COMPUTE_PGM_RSRC2:SCRATCH_EN: 0
; COMPUTE_PGM_RSRC2:USER_SGPR: 6
; COMPUTE_PGM_RSRC2:TRAP_HANDLER: 0
; COMPUTE_PGM_RSRC2:TGID_X_EN: 1
; COMPUTE_PGM_RSRC2:TGID_Y_EN: 0
; COMPUTE_PGM_RSRC2:TGID_Z_EN: 1
; COMPUTE_PGM_RSRC2:TIDIG_COMP_CNT: 0
; COMPUTE_PGM_RSRC3_GFX90A:ACCUM_OFFSET: 2
; COMPUTE_PGM_RSRC3_GFX90A:TG_SPLIT: 0
	.section	.text._ZL18rocblas_dot_kernelIiLb0ELi512ELi4ELb1EfPK16rocblas_bfloat16fEviT5_lT_lS3_lS4_liPT6_PT4_,"axG",@progbits,_ZL18rocblas_dot_kernelIiLb0ELi512ELi4ELb1EfPK16rocblas_bfloat16fEviT5_lT_lS3_lS4_liPT6_PT4_,comdat
	.globl	_ZL18rocblas_dot_kernelIiLb0ELi512ELi4ELb1EfPK16rocblas_bfloat16fEviT5_lT_lS3_lS4_liPT6_PT4_ ; -- Begin function _ZL18rocblas_dot_kernelIiLb0ELi512ELi4ELb1EfPK16rocblas_bfloat16fEviT5_lT_lS3_lS4_liPT6_PT4_
	.p2align	8
	.type	_ZL18rocblas_dot_kernelIiLb0ELi512ELi4ELb1EfPK16rocblas_bfloat16fEviT5_lT_lS3_lS4_liPT6_PT4_,@function
_ZL18rocblas_dot_kernelIiLb0ELi512ELi4ELb1EfPK16rocblas_bfloat16fEviT5_lT_lS3_lS4_liPT6_PT4_: ; @_ZL18rocblas_dot_kernelIiLb0ELi512ELi4ELb1EfPK16rocblas_bfloat16fEviT5_lT_lS3_lS4_liPT6_PT4_
; %bb.0:
	s_mov_b32 s12, s7
	s_load_dword s18, s[4:5], 0x60
	s_load_dword s7, s[4:5], 0x0
	s_load_dwordx4 s[8:11], s[4:5], 0x50
	v_lshl_or_b32 v4, s6, 9, v0
	s_mov_b32 s13, 0
	v_mov_b32_e32 v6, 0
	s_waitcnt lgkmcnt(0)
	v_cmp_gt_i32_e32 vcc, s7, v4
	s_and_saveexec_b64 s[14:15], vcc
	s_cbranch_execz .LBB537_4
; %bb.1:
	s_load_dwordx4 s[20:23], s[4:5], 0x8
	s_load_dword s26, s[4:5], 0x18
	s_load_dwordx4 s[0:3], s[4:5], 0x20
	s_load_dwordx2 s[16:17], s[4:5], 0x30
	s_load_dword s27, s[4:5], 0x38
	s_load_dwordx2 s[24:25], s[4:5], 0x40
	s_waitcnt lgkmcnt(0)
	v_mad_i64_i32 v[2:3], s[4:5], s26, v4, 0
	s_mul_i32 s1, s1, s12
	s_mul_hi_u32 s4, s0, s12
	s_add_i32 s1, s4, s1
	s_mul_i32 s0, s0, s12
	s_lshl_b32 s19, s18, 9
	s_lshl_b64 s[0:1], s[0:1], 1
	s_lshl_b64 s[4:5], s[22:23], 1
	s_add_u32 s4, s20, s4
	s_addc_u32 s5, s21, s5
	s_add_u32 s0, s4, s0
	v_lshlrev_b64 v[2:3], 1, v[2:3]
	s_addc_u32 s1, s5, s1
	v_mov_b32_e32 v5, s1
	v_add_co_u32_e32 v2, vcc, s0, v2
	s_mul_hi_i32 s1, s26, s19
	s_mul_i32 s0, s26, s19
	v_add_u32_e32 v1, s19, v4
	v_addc_co_u32_e32 v3, vcc, v5, v3, vcc
	s_lshl_b64 s[4:5], s[0:1], 1
	v_mad_i64_i32 v[4:5], s[0:1], s27, v4, 0
	s_mul_i32 s0, s25, s12
	s_mul_hi_u32 s1, s24, s12
	s_add_i32 s1, s1, s0
	s_mul_i32 s0, s24, s12
	s_lshl_b64 s[0:1], s[0:1], 1
	s_lshl_b64 s[16:17], s[16:17], 1
	s_add_u32 s2, s2, s16
	s_addc_u32 s3, s3, s17
	s_add_u32 s0, s2, s0
	v_lshlrev_b64 v[4:5], 1, v[4:5]
	s_addc_u32 s1, s3, s1
	v_mov_b32_e32 v6, s1
	v_add_co_u32_e32 v4, vcc, s0, v4
	s_mul_hi_i32 s1, s27, s19
	s_mul_i32 s0, s27, s19
	s_lshl_b64 s[16:17], s[0:1], 1
	v_addc_co_u32_e32 v5, vcc, v6, v5, vcc
	s_mov_b64 s[2:3], 0
	v_mov_b32_e32 v6, 0
	v_mov_b32_e32 v7, s5
	;; [unrolled: 1-line block ×3, first 2 shown]
	s_mov_b32 s5, s13
.LBB537_2:                              ; =>This Inner Loop Header: Depth=1
	global_load_ushort v9, v[4:5], off
	global_load_ushort v10, v[2:3], off
	v_add_co_u32_e64 v2, s[0:1], s4, v2
	v_addc_co_u32_e64 v3, s[0:1], v3, v7, s[0:1]
	s_add_i32 s17, s5, 1
	v_add_co_u32_e64 v4, s[0:1], s16, v4
	v_addc_co_u32_e64 v5, s[0:1], v5, v8, s[0:1]
	s_cmp_gt_u32 s5, 2
	v_cmp_le_i32_e32 vcc, s7, v1
	s_cselect_b64 s[0:1], -1, 0
	s_or_b64 s[0:1], s[0:1], vcc
	s_and_b64 s[0:1], exec, s[0:1]
	v_add_u32_e32 v1, s19, v1
	s_mov_b32 s5, s17
	s_or_b64 s[2:3], s[0:1], s[2:3]
	s_waitcnt vmcnt(1)
	v_lshlrev_b32_e32 v9, 16, v9
	s_waitcnt vmcnt(0)
	v_lshlrev_b32_e32 v10, 16, v10
	v_fmac_f32_e32 v6, v10, v9
	s_andn2_b64 exec, exec, s[2:3]
	s_cbranch_execnz .LBB537_2
; %bb.3:
	s_or_b64 exec, exec, s[2:3]
.LBB537_4:
	s_or_b64 exec, exec, s[14:15]
	v_and_b32_e32 v2, 63, v0
	v_cmp_gt_u32_e32 vcc, 64, v0
	v_lshlrev_b32_e32 v1, 2, v2
	s_and_saveexec_b64 s[0:1], vcc
	s_cbranch_execz .LBB537_6
; %bb.5:
	v_mov_b32_e32 v3, 0
	ds_write_b32 v1, v3
.LBB537_6:
	s_or_b64 exec, exec, s[0:1]
	v_mbcnt_lo_u32_b32 v3, -1, 0
	v_mbcnt_hi_u32_b32 v5, -1, v3
	v_and_b32_e32 v7, 63, v5
	v_cmp_gt_u32_e64 s[0:1], 32, v7
	v_cndmask_b32_e64 v3, 0, 1, s[0:1]
	v_lshlrev_b32_e32 v3, 5, v3
	v_add_lshl_u32 v3, v3, v5, 2
	ds_bpermute_b32 v3, v3, v6
	v_cmp_gt_u32_e64 s[0:1], 48, v7
	v_cndmask_b32_e64 v4, 0, 1, s[0:1]
	v_lshlrev_b32_e32 v4, 4, v4
	v_add_lshl_u32 v4, v4, v5, 2
	s_waitcnt lgkmcnt(0)
	v_add_f32_e32 v3, v6, v3
	ds_bpermute_b32 v4, v4, v3
	v_cmp_gt_u32_e64 s[0:1], 56, v7
	v_cndmask_b32_e64 v6, 0, 1, s[0:1]
	v_lshlrev_b32_e32 v6, 3, v6
	v_cmp_gt_u32_e64 s[0:1], 60, v7
	s_waitcnt lgkmcnt(0)
	v_add_f32_e32 v3, v3, v4
	v_add_lshl_u32 v4, v6, v5, 2
	ds_bpermute_b32 v4, v4, v3
	v_cndmask_b32_e64 v6, 0, 1, s[0:1]
	v_lshlrev_b32_e32 v6, 2, v6
	v_cmp_gt_u32_e64 s[0:1], 62, v7
	v_cndmask_b32_e64 v8, 0, 1, s[0:1]
	s_waitcnt lgkmcnt(0)
	v_add_f32_e32 v4, v3, v4
	v_add_lshl_u32 v3, v6, v5, 2
	ds_bpermute_b32 v6, v3, v4
	v_lshlrev_b32_e32 v8, 1, v8
	v_cmp_ne_u32_e64 s[0:1], 63, v7
	s_waitcnt lgkmcnt(0)
	s_barrier
	v_add_f32_e32 v6, v4, v6
	v_add_lshl_u32 v4, v8, v5, 2
	ds_bpermute_b32 v8, v4, v6
	v_addc_co_u32_e64 v5, s[0:1], 0, v5, s[0:1]
	v_lshlrev_b32_e32 v5, 2, v5
	v_cmp_eq_u32_e64 s[0:1], 0, v2
	s_waitcnt lgkmcnt(0)
	v_add_f32_e32 v6, v6, v8
	ds_bpermute_b32 v7, v5, v6
	s_waitcnt lgkmcnt(0)
	s_and_saveexec_b64 s[2:3], s[0:1]
	s_cbranch_execz .LBB537_8
; %bb.7:
	v_add_f32_e32 v2, v6, v7
	v_lshrrev_b32_e32 v6, 4, v0
	v_and_b32_e32 v6, 28, v6
	ds_write_b32 v6, v2
.LBB537_8:
	s_or_b64 exec, exec, s[2:3]
	v_cmp_gt_u32_e64 s[0:1], 8, v0
	v_mov_b32_e32 v2, 0
	s_waitcnt lgkmcnt(0)
	s_barrier
	s_and_saveexec_b64 s[2:3], s[0:1]
	s_cbranch_execnz .LBB537_12
; %bb.9:
	s_or_b64 exec, exec, s[2:3]
	s_and_saveexec_b64 s[0:1], vcc
	s_cbranch_execnz .LBB537_13
.LBB537_10:
	s_or_b64 exec, exec, s[0:1]
	v_cmp_eq_u32_e32 vcc, 0, v0
	s_and_saveexec_b64 s[0:1], vcc
	s_cbranch_execnz .LBB537_14
.LBB537_11:
	s_endpgm
.LBB537_12:
	ds_read_b32 v2, v1
	s_or_b64 exec, exec, s[2:3]
	s_and_saveexec_b64 s[0:1], vcc
	s_cbranch_execz .LBB537_10
.LBB537_13:
	s_waitcnt lgkmcnt(0)
	ds_bpermute_b32 v1, v3, v2
	s_waitcnt lgkmcnt(0)
	v_add_f32_e32 v1, v2, v1
	ds_bpermute_b32 v2, v4, v1
	s_waitcnt lgkmcnt(0)
	v_add_f32_e32 v1, v1, v2
	;; [unrolled: 3-line block ×3, first 2 shown]
	s_or_b64 exec, exec, s[0:1]
	v_cmp_eq_u32_e32 vcc, 0, v0
	s_and_saveexec_b64 s[0:1], vcc
	s_cbranch_execz .LBB537_11
.LBB537_14:
	s_cmp_lg_u32 s18, 1
	s_cbranch_scc0 .LBB537_16
; %bb.15:
	s_mul_hi_u32 s1, s18, s12
	s_mul_i32 s0, s18, s12
	s_lshl_b64 s[0:1], s[0:1], 2
	s_mov_b32 s7, 0
	s_add_u32 s2, s8, s0
	s_addc_u32 s3, s9, s1
	s_lshl_b64 s[0:1], s[6:7], 2
	s_add_u32 s0, s2, s0
	s_addc_u32 s1, s3, s1
	s_cbranch_execz .LBB537_17
	s_branch .LBB537_18
.LBB537_16:
                                        ; implicit-def: $sgpr0_sgpr1
.LBB537_17:
	s_lshl_b64 s[0:1], s[12:13], 2
	s_add_u32 s0, s10, s0
	s_addc_u32 s1, s11, s1
.LBB537_18:
	v_mov_b32_e32 v0, 0
	s_waitcnt lgkmcnt(0)
	global_store_dword v0, v2, s[0:1]
	s_endpgm
	.section	.rodata,"a",@progbits
	.p2align	6, 0x0
	.amdhsa_kernel _ZL18rocblas_dot_kernelIiLb0ELi512ELi4ELb1EfPK16rocblas_bfloat16fEviT5_lT_lS3_lS4_liPT6_PT4_
		.amdhsa_group_segment_fixed_size 256
		.amdhsa_private_segment_fixed_size 0
		.amdhsa_kernarg_size 352
		.amdhsa_user_sgpr_count 6
		.amdhsa_user_sgpr_private_segment_buffer 1
		.amdhsa_user_sgpr_dispatch_ptr 0
		.amdhsa_user_sgpr_queue_ptr 0
		.amdhsa_user_sgpr_kernarg_segment_ptr 1
		.amdhsa_user_sgpr_dispatch_id 0
		.amdhsa_user_sgpr_flat_scratch_init 0
		.amdhsa_user_sgpr_kernarg_preload_length 0
		.amdhsa_user_sgpr_kernarg_preload_offset 0
		.amdhsa_user_sgpr_private_segment_size 0
		.amdhsa_uses_dynamic_stack 0
		.amdhsa_system_sgpr_private_segment_wavefront_offset 0
		.amdhsa_system_sgpr_workgroup_id_x 1
		.amdhsa_system_sgpr_workgroup_id_y 0
		.amdhsa_system_sgpr_workgroup_id_z 1
		.amdhsa_system_sgpr_workgroup_info 0
		.amdhsa_system_vgpr_workitem_id 0
		.amdhsa_next_free_vgpr 11
		.amdhsa_next_free_sgpr 28
		.amdhsa_accum_offset 12
		.amdhsa_reserve_vcc 1
		.amdhsa_reserve_flat_scratch 0
		.amdhsa_float_round_mode_32 0
		.amdhsa_float_round_mode_16_64 0
		.amdhsa_float_denorm_mode_32 3
		.amdhsa_float_denorm_mode_16_64 3
		.amdhsa_dx10_clamp 1
		.amdhsa_ieee_mode 1
		.amdhsa_fp16_overflow 0
		.amdhsa_tg_split 0
		.amdhsa_exception_fp_ieee_invalid_op 0
		.amdhsa_exception_fp_denorm_src 0
		.amdhsa_exception_fp_ieee_div_zero 0
		.amdhsa_exception_fp_ieee_overflow 0
		.amdhsa_exception_fp_ieee_underflow 0
		.amdhsa_exception_fp_ieee_inexact 0
		.amdhsa_exception_int_div_zero 0
	.end_amdhsa_kernel
	.section	.text._ZL18rocblas_dot_kernelIiLb0ELi512ELi4ELb1EfPK16rocblas_bfloat16fEviT5_lT_lS3_lS4_liPT6_PT4_,"axG",@progbits,_ZL18rocblas_dot_kernelIiLb0ELi512ELi4ELb1EfPK16rocblas_bfloat16fEviT5_lT_lS3_lS4_liPT6_PT4_,comdat
.Lfunc_end537:
	.size	_ZL18rocblas_dot_kernelIiLb0ELi512ELi4ELb1EfPK16rocblas_bfloat16fEviT5_lT_lS3_lS4_liPT6_PT4_, .Lfunc_end537-_ZL18rocblas_dot_kernelIiLb0ELi512ELi4ELb1EfPK16rocblas_bfloat16fEviT5_lT_lS3_lS4_liPT6_PT4_
                                        ; -- End function
	.section	.AMDGPU.csdata,"",@progbits
; Kernel info:
; codeLenInByte = 1004
; NumSgprs: 32
; NumVgprs: 11
; NumAgprs: 0
; TotalNumVgprs: 11
; ScratchSize: 0
; MemoryBound: 0
; FloatMode: 240
; IeeeMode: 1
; LDSByteSize: 256 bytes/workgroup (compile time only)
; SGPRBlocks: 3
; VGPRBlocks: 1
; NumSGPRsForWavesPerEU: 32
; NumVGPRsForWavesPerEU: 11
; AccumOffset: 12
; Occupancy: 8
; WaveLimiterHint : 0
; COMPUTE_PGM_RSRC2:SCRATCH_EN: 0
; COMPUTE_PGM_RSRC2:USER_SGPR: 6
; COMPUTE_PGM_RSRC2:TRAP_HANDLER: 0
; COMPUTE_PGM_RSRC2:TGID_X_EN: 1
; COMPUTE_PGM_RSRC2:TGID_Y_EN: 0
; COMPUTE_PGM_RSRC2:TGID_Z_EN: 1
; COMPUTE_PGM_RSRC2:TIDIG_COMP_CNT: 0
; COMPUTE_PGM_RSRC3_GFX90A:ACCUM_OFFSET: 2
; COMPUTE_PGM_RSRC3_GFX90A:TG_SPLIT: 0
	.section	.text._ZL24rocblas_dot_kernel_magsqIiLb0ELi512ELi4ELb1EfPK16rocblas_bfloat16fEviT5_lT_liPT6_PT4_,"axG",@progbits,_ZL24rocblas_dot_kernel_magsqIiLb0ELi512ELi4ELb1EfPK16rocblas_bfloat16fEviT5_lT_liPT6_PT4_,comdat
	.globl	_ZL24rocblas_dot_kernel_magsqIiLb0ELi512ELi4ELb1EfPK16rocblas_bfloat16fEviT5_lT_liPT6_PT4_ ; -- Begin function _ZL24rocblas_dot_kernel_magsqIiLb0ELi512ELi4ELb1EfPK16rocblas_bfloat16fEviT5_lT_liPT6_PT4_
	.p2align	8
	.type	_ZL24rocblas_dot_kernel_magsqIiLb0ELi512ELi4ELb1EfPK16rocblas_bfloat16fEviT5_lT_liPT6_PT4_,@function
_ZL24rocblas_dot_kernel_magsqIiLb0ELi512ELi4ELb1EfPK16rocblas_bfloat16fEviT5_lT_liPT6_PT4_: ; @_ZL24rocblas_dot_kernel_magsqIiLb0ELi512ELi4ELb1EfPK16rocblas_bfloat16fEviT5_lT_liPT6_PT4_
; %bb.0:
	s_mov_b32 s2, s7
	s_load_dword s7, s[4:5], 0x0
	s_load_dwordx4 s[8:11], s[4:5], 0x30
	s_load_dword s16, s[4:5], 0x40
	v_lshl_or_b32 v2, s6, 9, v0
	s_mov_b32 s3, 0
	s_waitcnt lgkmcnt(0)
	v_cmp_gt_i32_e32 vcc, s7, v2
	v_mov_b32_e32 v1, 0
	s_and_saveexec_b64 s[12:13], vcc
	s_cbranch_execz .LBB538_4
; %bb.1:
	s_load_dwordx4 s[20:23], s[4:5], 0x8
	s_load_dword s14, s[4:5], 0x18
	s_load_dwordx2 s[0:1], s[4:5], 0x20
	s_lshl_b32 s17, s16, 9
	v_add_u32_e32 v4, s17, v2
	s_waitcnt lgkmcnt(0)
	v_mad_i64_i32 v[2:3], s[4:5], s14, v2, 0
	s_mul_i32 s1, s1, s2
	s_mul_hi_u32 s4, s0, s2
	s_add_i32 s1, s4, s1
	s_mul_i32 s0, s0, s2
	s_lshl_b64 s[0:1], s[0:1], 1
	s_lshl_b64 s[4:5], s[22:23], 1
	s_add_u32 s4, s20, s4
	s_addc_u32 s5, s21, s5
	s_add_u32 s0, s4, s0
	v_lshlrev_b64 v[2:3], 1, v[2:3]
	s_addc_u32 s1, s5, s1
	v_mov_b32_e32 v1, s1
	v_add_co_u32_e32 v2, vcc, s0, v2
	s_mul_hi_i32 s1, s14, s17
	s_mul_i32 s0, s14, s17
	s_lshl_b64 s[14:15], s[0:1], 1
	v_addc_co_u32_e32 v3, vcc, v1, v3, vcc
	s_mov_b64 s[4:5], 0
	v_mov_b32_e32 v1, 0
	v_mov_b32_e32 v5, s15
	s_mov_b32 s15, s3
.LBB538_2:                              ; =>This Inner Loop Header: Depth=1
	global_load_ushort v6, v[2:3], off
	s_add_i32 s18, s15, 1
	v_add_co_u32_e64 v2, s[0:1], s14, v2
	v_addc_co_u32_e64 v3, s[0:1], v3, v5, s[0:1]
	s_cmp_gt_u32 s15, 2
	v_cmp_le_i32_e32 vcc, s7, v4
	s_cselect_b64 s[0:1], -1, 0
	s_or_b64 s[0:1], s[0:1], vcc
	s_and_b64 s[0:1], exec, s[0:1]
	v_add_u32_e32 v4, s17, v4
	s_mov_b32 s15, s18
	s_or_b64 s[4:5], s[0:1], s[4:5]
	s_waitcnt vmcnt(0)
	v_lshlrev_b32_e32 v6, 16, v6
	v_fmac_f32_e32 v1, v6, v6
	s_andn2_b64 exec, exec, s[4:5]
	s_cbranch_execnz .LBB538_2
; %bb.3:
	s_or_b64 exec, exec, s[4:5]
.LBB538_4:
	s_or_b64 exec, exec, s[12:13]
	v_and_b32_e32 v3, 63, v0
	v_cmp_gt_u32_e32 vcc, 64, v0
	v_lshlrev_b32_e32 v2, 2, v3
	s_and_saveexec_b64 s[0:1], vcc
	s_cbranch_execz .LBB538_6
; %bb.5:
	v_mov_b32_e32 v4, 0
	ds_write_b32 v2, v4
.LBB538_6:
	s_or_b64 exec, exec, s[0:1]
	v_mbcnt_lo_u32_b32 v4, -1, 0
	v_mbcnt_hi_u32_b32 v6, -1, v4
	v_and_b32_e32 v7, 63, v6
	v_cmp_gt_u32_e64 s[0:1], 32, v7
	v_cndmask_b32_e64 v4, 0, 1, s[0:1]
	v_lshlrev_b32_e32 v4, 5, v4
	v_add_lshl_u32 v4, v4, v6, 2
	ds_bpermute_b32 v4, v4, v1
	v_cmp_gt_u32_e64 s[0:1], 48, v7
	v_cndmask_b32_e64 v5, 0, 1, s[0:1]
	v_lshlrev_b32_e32 v5, 4, v5
	v_cmp_gt_u32_e64 s[0:1], 56, v7
	s_waitcnt lgkmcnt(0)
	v_add_f32_e32 v1, v1, v4
	v_add_lshl_u32 v4, v5, v6, 2
	ds_bpermute_b32 v4, v4, v1
	v_cndmask_b32_e64 v5, 0, 1, s[0:1]
	v_lshlrev_b32_e32 v5, 3, v5
	v_cmp_gt_u32_e64 s[0:1], 60, v7
	s_waitcnt lgkmcnt(0)
	v_add_f32_e32 v1, v1, v4
	v_add_lshl_u32 v4, v5, v6, 2
	ds_bpermute_b32 v4, v4, v1
	v_cndmask_b32_e64 v5, 0, 1, s[0:1]
	v_lshlrev_b32_e32 v5, 2, v5
	v_cmp_gt_u32_e64 s[0:1], 62, v7
	v_cndmask_b32_e64 v8, 0, 1, s[0:1]
	s_waitcnt lgkmcnt(0)
	v_add_f32_e32 v1, v1, v4
	v_add_lshl_u32 v4, v5, v6, 2
	ds_bpermute_b32 v5, v4, v1
	v_lshlrev_b32_e32 v8, 1, v8
	v_cmp_ne_u32_e64 s[0:1], 63, v7
	s_barrier
	s_waitcnt lgkmcnt(0)
	v_add_f32_e32 v1, v1, v5
	v_add_lshl_u32 v5, v8, v6, 2
	ds_bpermute_b32 v8, v5, v1
	v_addc_co_u32_e64 v6, s[0:1], 0, v6, s[0:1]
	v_lshlrev_b32_e32 v6, 2, v6
	v_cmp_eq_u32_e64 s[0:1], 0, v3
	s_waitcnt lgkmcnt(0)
	v_add_f32_e32 v1, v1, v8
	ds_bpermute_b32 v7, v6, v1
	s_and_saveexec_b64 s[4:5], s[0:1]
	s_cbranch_execz .LBB538_8
; %bb.7:
	v_lshrrev_b32_e32 v3, 4, v0
	s_waitcnt lgkmcnt(0)
	v_add_f32_e32 v1, v1, v7
	v_and_b32_e32 v3, 28, v3
	ds_write_b32 v3, v1
.LBB538_8:
	s_or_b64 exec, exec, s[4:5]
	v_cmp_gt_u32_e64 s[0:1], 8, v0
	v_mov_b32_e32 v1, 0
	s_waitcnt lgkmcnt(0)
	s_barrier
	s_and_saveexec_b64 s[4:5], s[0:1]
	s_cbranch_execnz .LBB538_12
; %bb.9:
	s_or_b64 exec, exec, s[4:5]
	s_and_saveexec_b64 s[0:1], vcc
	s_cbranch_execnz .LBB538_13
.LBB538_10:
	s_or_b64 exec, exec, s[0:1]
	v_cmp_eq_u32_e32 vcc, 0, v0
	s_and_saveexec_b64 s[0:1], vcc
	s_cbranch_execnz .LBB538_14
.LBB538_11:
	s_endpgm
.LBB538_12:
	ds_read_b32 v1, v2
	s_or_b64 exec, exec, s[4:5]
	s_and_saveexec_b64 s[0:1], vcc
	s_cbranch_execz .LBB538_10
.LBB538_13:
	s_waitcnt lgkmcnt(0)
	ds_bpermute_b32 v2, v4, v1
	s_waitcnt lgkmcnt(0)
	v_add_f32_e32 v1, v1, v2
	ds_bpermute_b32 v2, v5, v1
	s_waitcnt lgkmcnt(0)
	v_add_f32_e32 v1, v1, v2
	;; [unrolled: 3-line block ×3, first 2 shown]
	s_or_b64 exec, exec, s[0:1]
	v_cmp_eq_u32_e32 vcc, 0, v0
	s_and_saveexec_b64 s[0:1], vcc
	s_cbranch_execz .LBB538_11
.LBB538_14:
	s_cmp_lg_u32 s16, 1
	s_cbranch_scc0 .LBB538_16
; %bb.15:
	s_mul_hi_u32 s1, s16, s2
	s_mul_i32 s0, s16, s2
	s_lshl_b64 s[0:1], s[0:1], 2
	s_mov_b32 s7, 0
	s_add_u32 s4, s8, s0
	s_addc_u32 s5, s9, s1
	s_lshl_b64 s[0:1], s[6:7], 2
	s_add_u32 s0, s4, s0
	s_addc_u32 s1, s5, s1
	s_cbranch_execz .LBB538_17
	s_branch .LBB538_18
.LBB538_16:
                                        ; implicit-def: $sgpr0_sgpr1
.LBB538_17:
	s_lshl_b64 s[0:1], s[2:3], 2
	s_add_u32 s0, s10, s0
	s_addc_u32 s1, s11, s1
.LBB538_18:
	v_mov_b32_e32 v0, 0
	s_waitcnt lgkmcnt(0)
	global_store_dword v0, v1, s[0:1]
	s_endpgm
	.section	.rodata,"a",@progbits
	.p2align	6, 0x0
	.amdhsa_kernel _ZL24rocblas_dot_kernel_magsqIiLb0ELi512ELi4ELb1EfPK16rocblas_bfloat16fEviT5_lT_liPT6_PT4_
		.amdhsa_group_segment_fixed_size 256
		.amdhsa_private_segment_fixed_size 0
		.amdhsa_kernarg_size 320
		.amdhsa_user_sgpr_count 6
		.amdhsa_user_sgpr_private_segment_buffer 1
		.amdhsa_user_sgpr_dispatch_ptr 0
		.amdhsa_user_sgpr_queue_ptr 0
		.amdhsa_user_sgpr_kernarg_segment_ptr 1
		.amdhsa_user_sgpr_dispatch_id 0
		.amdhsa_user_sgpr_flat_scratch_init 0
		.amdhsa_user_sgpr_kernarg_preload_length 0
		.amdhsa_user_sgpr_kernarg_preload_offset 0
		.amdhsa_user_sgpr_private_segment_size 0
		.amdhsa_uses_dynamic_stack 0
		.amdhsa_system_sgpr_private_segment_wavefront_offset 0
		.amdhsa_system_sgpr_workgroup_id_x 1
		.amdhsa_system_sgpr_workgroup_id_y 0
		.amdhsa_system_sgpr_workgroup_id_z 1
		.amdhsa_system_sgpr_workgroup_info 0
		.amdhsa_system_vgpr_workitem_id 0
		.amdhsa_next_free_vgpr 9
		.amdhsa_next_free_sgpr 24
		.amdhsa_accum_offset 12
		.amdhsa_reserve_vcc 1
		.amdhsa_reserve_flat_scratch 0
		.amdhsa_float_round_mode_32 0
		.amdhsa_float_round_mode_16_64 0
		.amdhsa_float_denorm_mode_32 3
		.amdhsa_float_denorm_mode_16_64 3
		.amdhsa_dx10_clamp 1
		.amdhsa_ieee_mode 1
		.amdhsa_fp16_overflow 0
		.amdhsa_tg_split 0
		.amdhsa_exception_fp_ieee_invalid_op 0
		.amdhsa_exception_fp_denorm_src 0
		.amdhsa_exception_fp_ieee_div_zero 0
		.amdhsa_exception_fp_ieee_overflow 0
		.amdhsa_exception_fp_ieee_underflow 0
		.amdhsa_exception_fp_ieee_inexact 0
		.amdhsa_exception_int_div_zero 0
	.end_amdhsa_kernel
	.section	.text._ZL24rocblas_dot_kernel_magsqIiLb0ELi512ELi4ELb1EfPK16rocblas_bfloat16fEviT5_lT_liPT6_PT4_,"axG",@progbits,_ZL24rocblas_dot_kernel_magsqIiLb0ELi512ELi4ELb1EfPK16rocblas_bfloat16fEviT5_lT_liPT6_PT4_,comdat
.Lfunc_end538:
	.size	_ZL24rocblas_dot_kernel_magsqIiLb0ELi512ELi4ELb1EfPK16rocblas_bfloat16fEviT5_lT_liPT6_PT4_, .Lfunc_end538-_ZL24rocblas_dot_kernel_magsqIiLb0ELi512ELi4ELb1EfPK16rocblas_bfloat16fEviT5_lT_liPT6_PT4_
                                        ; -- End function
	.section	.AMDGPU.csdata,"",@progbits
; Kernel info:
; codeLenInByte = 864
; NumSgprs: 28
; NumVgprs: 9
; NumAgprs: 0
; TotalNumVgprs: 9
; ScratchSize: 0
; MemoryBound: 0
; FloatMode: 240
; IeeeMode: 1
; LDSByteSize: 256 bytes/workgroup (compile time only)
; SGPRBlocks: 3
; VGPRBlocks: 1
; NumSGPRsForWavesPerEU: 28
; NumVGPRsForWavesPerEU: 9
; AccumOffset: 12
; Occupancy: 8
; WaveLimiterHint : 0
; COMPUTE_PGM_RSRC2:SCRATCH_EN: 0
; COMPUTE_PGM_RSRC2:USER_SGPR: 6
; COMPUTE_PGM_RSRC2:TRAP_HANDLER: 0
; COMPUTE_PGM_RSRC2:TGID_X_EN: 1
; COMPUTE_PGM_RSRC2:TGID_Y_EN: 0
; COMPUTE_PGM_RSRC2:TGID_Z_EN: 1
; COMPUTE_PGM_RSRC2:TIDIG_COMP_CNT: 0
; COMPUTE_PGM_RSRC3_GFX90A:ACCUM_OFFSET: 2
; COMPUTE_PGM_RSRC3_GFX90A:TG_SPLIT: 0
	.section	.text._ZL30rocblas_reduction_kernel_part2ILi512ELi8E25rocblas_finalize_identityf16rocblas_bfloat16EviPT2_PT3_,"axG",@progbits,_ZL30rocblas_reduction_kernel_part2ILi512ELi8E25rocblas_finalize_identityf16rocblas_bfloat16EviPT2_PT3_,comdat
	.globl	_ZL30rocblas_reduction_kernel_part2ILi512ELi8E25rocblas_finalize_identityf16rocblas_bfloat16EviPT2_PT3_ ; -- Begin function _ZL30rocblas_reduction_kernel_part2ILi512ELi8E25rocblas_finalize_identityf16rocblas_bfloat16EviPT2_PT3_
	.p2align	8
	.type	_ZL30rocblas_reduction_kernel_part2ILi512ELi8E25rocblas_finalize_identityf16rocblas_bfloat16EviPT2_PT3_,@function
_ZL30rocblas_reduction_kernel_part2ILi512ELi8E25rocblas_finalize_identityf16rocblas_bfloat16EviPT2_PT3_: ; @_ZL30rocblas_reduction_kernel_part2ILi512ELi8E25rocblas_finalize_identityf16rocblas_bfloat16EviPT2_PT3_
; %bb.0:
	s_load_dword s12, s[4:5], 0x0
	s_load_dwordx4 s[0:3], s[4:5], 0x8
	v_lshlrev_b32_e32 v4, 3, v0
	s_mov_b32 s7, 0
	v_mov_b32_e32 v1, 0
	s_waitcnt lgkmcnt(0)
	s_ashr_i32 s8, s12, 31
	s_mul_i32 s5, s8, s6
	s_lshr_b32 s8, s8, 29
	s_add_i32 s8, s12, s8
	s_mul_hi_u32 s4, s12, s6
	s_and_b32 s13, s8, -8
	s_add_i32 s5, s4, s5
	s_mul_i32 s4, s12, s6
	v_cmp_gt_i32_e32 vcc, s13, v4
	s_and_saveexec_b64 s[8:9], vcc
	s_cbranch_execz .LBB539_4
; %bb.1:
	s_lshl_b64 s[10:11], s[4:5], 2
	s_add_u32 s10, s0, s10
	v_lshlrev_b32_e32 v2, 5, v0
	s_addc_u32 s11, s1, s11
	v_mov_b32_e32 v3, s11
	v_add_co_u32_e32 v2, vcc, s10, v2
	v_addc_co_u32_e32 v3, vcc, 0, v3, vcc
	v_add_co_u32_e32 v2, vcc, 28, v2
	v_mov_b32_e32 v1, 0
	v_addc_co_u32_e32 v3, vcc, 0, v3, vcc
	s_mov_b64 s[10:11], 0
.LBB539_2:                              ; =>This Inner Loop Header: Depth=1
	global_load_dwordx4 v[6:9], v[2:3], off offset:-28
	global_load_dwordx4 v[10:13], v[2:3], off offset:-12
	v_add_co_u32_e32 v2, vcc, 0x4000, v2
	v_add_u32_e32 v4, 0x1000, v4
	v_addc_co_u32_e32 v3, vcc, 0, v3, vcc
	v_cmp_le_i32_e32 vcc, s13, v4
	s_or_b64 s[10:11], vcc, s[10:11]
	s_waitcnt vmcnt(1)
	v_add_f32_e32 v1, v1, v6
	v_add_f32_e32 v1, v1, v7
	;; [unrolled: 1-line block ×4, first 2 shown]
	s_waitcnt vmcnt(0)
	v_add_f32_e32 v1, v1, v10
	v_add_f32_e32 v1, v1, v11
	;; [unrolled: 1-line block ×4, first 2 shown]
	s_andn2_b64 exec, exec, s[10:11]
	s_cbranch_execnz .LBB539_2
; %bb.3:
	s_or_b64 exec, exec, s[10:11]
.LBB539_4:
	s_or_b64 exec, exec, s[8:9]
	s_sub_i32 s8, s12, s13
	v_cmp_gt_u32_e32 vcc, s8, v0
	s_and_saveexec_b64 s[8:9], vcc
	s_cbranch_execz .LBB539_6
; %bb.5:
	s_lshl_b64 s[4:5], s[4:5], 2
	s_add_u32 s0, s0, s4
	v_xad_u32 v2, v0, -1, s12
	v_mov_b32_e32 v3, 0
	s_addc_u32 s1, s1, s5
	v_lshlrev_b64 v[2:3], 2, v[2:3]
	v_mov_b32_e32 v4, s1
	v_add_co_u32_e32 v2, vcc, s0, v2
	v_addc_co_u32_e32 v3, vcc, v4, v3, vcc
	global_load_dword v2, v[2:3], off
	s_waitcnt vmcnt(0)
	v_add_f32_e32 v1, v1, v2
.LBB539_6:
	s_or_b64 exec, exec, s[8:9]
	v_and_b32_e32 v3, 63, v0
	v_cmp_gt_u32_e32 vcc, 64, v0
	v_lshlrev_b32_e32 v2, 2, v3
	s_and_saveexec_b64 s[0:1], vcc
	s_cbranch_execz .LBB539_8
; %bb.7:
	v_mov_b32_e32 v4, 0
	ds_write_b32 v2, v4
.LBB539_8:
	s_or_b64 exec, exec, s[0:1]
	v_mbcnt_lo_u32_b32 v4, -1, 0
	v_mbcnt_hi_u32_b32 v6, -1, v4
	v_and_b32_e32 v7, 63, v6
	v_cmp_gt_u32_e64 s[0:1], 32, v7
	v_cndmask_b32_e64 v4, 0, 1, s[0:1]
	v_lshlrev_b32_e32 v4, 5, v4
	v_add_lshl_u32 v4, v4, v6, 2
	ds_bpermute_b32 v4, v4, v1
	v_cmp_gt_u32_e64 s[0:1], 48, v7
	v_cndmask_b32_e64 v5, 0, 1, s[0:1]
	v_lshlrev_b32_e32 v5, 4, v5
	v_cmp_gt_u32_e64 s[0:1], 56, v7
	s_waitcnt lgkmcnt(0)
	v_add_f32_e32 v1, v1, v4
	v_add_lshl_u32 v4, v5, v6, 2
	ds_bpermute_b32 v4, v4, v1
	v_cndmask_b32_e64 v5, 0, 1, s[0:1]
	v_lshlrev_b32_e32 v5, 3, v5
	v_cmp_gt_u32_e64 s[0:1], 60, v7
	s_waitcnt lgkmcnt(0)
	v_add_f32_e32 v1, v1, v4
	v_add_lshl_u32 v4, v5, v6, 2
	ds_bpermute_b32 v4, v4, v1
	v_cndmask_b32_e64 v5, 0, 1, s[0:1]
	v_lshlrev_b32_e32 v5, 2, v5
	v_cmp_gt_u32_e64 s[0:1], 62, v7
	v_cndmask_b32_e64 v8, 0, 1, s[0:1]
	s_waitcnt lgkmcnt(0)
	v_add_f32_e32 v1, v1, v4
	v_add_lshl_u32 v4, v5, v6, 2
	ds_bpermute_b32 v5, v4, v1
	v_lshlrev_b32_e32 v8, 1, v8
	v_cmp_ne_u32_e64 s[0:1], 63, v7
	s_barrier
	s_waitcnt lgkmcnt(0)
	v_add_f32_e32 v1, v1, v5
	v_add_lshl_u32 v5, v8, v6, 2
	ds_bpermute_b32 v8, v5, v1
	v_addc_co_u32_e64 v6, s[0:1], 0, v6, s[0:1]
	v_lshlrev_b32_e32 v6, 2, v6
	v_cmp_eq_u32_e64 s[0:1], 0, v3
	s_waitcnt lgkmcnt(0)
	v_add_f32_e32 v1, v1, v8
	ds_bpermute_b32 v7, v6, v1
	s_and_saveexec_b64 s[4:5], s[0:1]
	s_cbranch_execz .LBB539_10
; %bb.9:
	v_lshrrev_b32_e32 v3, 4, v0
	s_waitcnt lgkmcnt(0)
	v_add_f32_e32 v1, v1, v7
	v_and_b32_e32 v3, 28, v3
	ds_write_b32 v3, v1
.LBB539_10:
	s_or_b64 exec, exec, s[4:5]
	v_cmp_gt_u32_e64 s[0:1], 8, v0
	v_mov_b32_e32 v1, 0
	s_waitcnt lgkmcnt(0)
	s_barrier
	s_and_saveexec_b64 s[4:5], s[0:1]
	s_cbranch_execnz .LBB539_14
; %bb.11:
	s_or_b64 exec, exec, s[4:5]
	s_and_saveexec_b64 s[0:1], vcc
	s_cbranch_execnz .LBB539_15
.LBB539_12:
	s_or_b64 exec, exec, s[0:1]
	v_cmp_eq_u32_e32 vcc, 0, v0
	s_and_saveexec_b64 s[0:1], vcc
	s_cbranch_execnz .LBB539_16
.LBB539_13:
	s_endpgm
.LBB539_14:
	ds_read_b32 v1, v2
	s_or_b64 exec, exec, s[4:5]
	s_and_saveexec_b64 s[0:1], vcc
	s_cbranch_execz .LBB539_12
.LBB539_15:
	s_waitcnt lgkmcnt(0)
	ds_bpermute_b32 v2, v4, v1
	s_waitcnt lgkmcnt(0)
	v_add_f32_e32 v1, v1, v2
	ds_bpermute_b32 v2, v5, v1
	s_waitcnt lgkmcnt(0)
	v_add_f32_e32 v1, v1, v2
	;; [unrolled: 3-line block ×3, first 2 shown]
	s_or_b64 exec, exec, s[0:1]
	v_cmp_eq_u32_e32 vcc, 0, v0
	s_and_saveexec_b64 s[0:1], vcc
	s_cbranch_execz .LBB539_13
.LBB539_16:
	s_mov_b32 s0, 0x7f800000
	s_waitcnt lgkmcnt(0)
	v_and_b32_e32 v0, 0x7f800000, v1
	v_cmp_ne_u32_e32 vcc, s0, v0
                                        ; implicit-def: $vgpr0
	s_and_saveexec_b64 s[0:1], vcc
	s_xor_b64 s[0:1], exec, s[0:1]
; %bb.17:
	v_bfe_u32 v0, v1, 16, 1
	s_movk_i32 s4, 0x7fff
	v_add3_u32 v0, v1, v0, s4
                                        ; implicit-def: $vgpr1
; %bb.18:
	s_andn2_saveexec_b64 s[0:1], s[0:1]
; %bb.19:
	v_mov_b32_e32 v0, 0
	v_or_b32_e32 v2, 0x10000, v1
	v_cmp_eq_u32_sdwa vcc, v1, v0 src0_sel:WORD_0 src1_sel:DWORD
	v_cndmask_b32_e32 v0, v2, v1, vcc
; %bb.20:
	s_or_b64 exec, exec, s[0:1]
	s_lshl_b64 s[0:1], s[6:7], 1
	s_add_u32 s0, s2, s0
	s_addc_u32 s1, s3, s1
	v_mov_b32_e32 v1, 0
	global_store_short_d16_hi v1, v0, s[0:1]
	s_endpgm
	.section	.rodata,"a",@progbits
	.p2align	6, 0x0
	.amdhsa_kernel _ZL30rocblas_reduction_kernel_part2ILi512ELi8E25rocblas_finalize_identityf16rocblas_bfloat16EviPT2_PT3_
		.amdhsa_group_segment_fixed_size 256
		.amdhsa_private_segment_fixed_size 0
		.amdhsa_kernarg_size 24
		.amdhsa_user_sgpr_count 6
		.amdhsa_user_sgpr_private_segment_buffer 1
		.amdhsa_user_sgpr_dispatch_ptr 0
		.amdhsa_user_sgpr_queue_ptr 0
		.amdhsa_user_sgpr_kernarg_segment_ptr 1
		.amdhsa_user_sgpr_dispatch_id 0
		.amdhsa_user_sgpr_flat_scratch_init 0
		.amdhsa_user_sgpr_kernarg_preload_length 0
		.amdhsa_user_sgpr_kernarg_preload_offset 0
		.amdhsa_user_sgpr_private_segment_size 0
		.amdhsa_uses_dynamic_stack 0
		.amdhsa_system_sgpr_private_segment_wavefront_offset 0
		.amdhsa_system_sgpr_workgroup_id_x 1
		.amdhsa_system_sgpr_workgroup_id_y 0
		.amdhsa_system_sgpr_workgroup_id_z 0
		.amdhsa_system_sgpr_workgroup_info 0
		.amdhsa_system_vgpr_workitem_id 0
		.amdhsa_next_free_vgpr 14
		.amdhsa_next_free_sgpr 14
		.amdhsa_accum_offset 16
		.amdhsa_reserve_vcc 1
		.amdhsa_reserve_flat_scratch 0
		.amdhsa_float_round_mode_32 0
		.amdhsa_float_round_mode_16_64 0
		.amdhsa_float_denorm_mode_32 3
		.amdhsa_float_denorm_mode_16_64 3
		.amdhsa_dx10_clamp 1
		.amdhsa_ieee_mode 1
		.amdhsa_fp16_overflow 0
		.amdhsa_tg_split 0
		.amdhsa_exception_fp_ieee_invalid_op 0
		.amdhsa_exception_fp_denorm_src 0
		.amdhsa_exception_fp_ieee_div_zero 0
		.amdhsa_exception_fp_ieee_overflow 0
		.amdhsa_exception_fp_ieee_underflow 0
		.amdhsa_exception_fp_ieee_inexact 0
		.amdhsa_exception_int_div_zero 0
	.end_amdhsa_kernel
	.section	.text._ZL30rocblas_reduction_kernel_part2ILi512ELi8E25rocblas_finalize_identityf16rocblas_bfloat16EviPT2_PT3_,"axG",@progbits,_ZL30rocblas_reduction_kernel_part2ILi512ELi8E25rocblas_finalize_identityf16rocblas_bfloat16EviPT2_PT3_,comdat
.Lfunc_end539:
	.size	_ZL30rocblas_reduction_kernel_part2ILi512ELi8E25rocblas_finalize_identityf16rocblas_bfloat16EviPT2_PT3_, .Lfunc_end539-_ZL30rocblas_reduction_kernel_part2ILi512ELi8E25rocblas_finalize_identityf16rocblas_bfloat16EviPT2_PT3_
                                        ; -- End function
	.section	.AMDGPU.csdata,"",@progbits
; Kernel info:
; codeLenInByte = 912
; NumSgprs: 18
; NumVgprs: 14
; NumAgprs: 0
; TotalNumVgprs: 14
; ScratchSize: 0
; MemoryBound: 0
; FloatMode: 240
; IeeeMode: 1
; LDSByteSize: 256 bytes/workgroup (compile time only)
; SGPRBlocks: 2
; VGPRBlocks: 1
; NumSGPRsForWavesPerEU: 18
; NumVGPRsForWavesPerEU: 14
; AccumOffset: 16
; Occupancy: 8
; WaveLimiterHint : 0
; COMPUTE_PGM_RSRC2:SCRATCH_EN: 0
; COMPUTE_PGM_RSRC2:USER_SGPR: 6
; COMPUTE_PGM_RSRC2:TRAP_HANDLER: 0
; COMPUTE_PGM_RSRC2:TGID_X_EN: 1
; COMPUTE_PGM_RSRC2:TGID_Y_EN: 0
; COMPUTE_PGM_RSRC2:TGID_Z_EN: 0
; COMPUTE_PGM_RSRC2:TIDIG_COMP_CNT: 0
; COMPUTE_PGM_RSRC3_GFX90A:ACCUM_OFFSET: 3
; COMPUTE_PGM_RSRC3_GFX90A:TG_SPLIT: 0
	.section	.text._ZL28rocblas_dot_batched_4_kernelIlLi32ELi4ELb1Ef16rocblas_bfloat16PKS0_EviT5_lT_lS3_lS4_liPT4_,"axG",@progbits,_ZL28rocblas_dot_batched_4_kernelIlLi32ELi4ELb1Ef16rocblas_bfloat16PKS0_EviT5_lT_lS3_lS4_liPT4_,comdat
	.globl	_ZL28rocblas_dot_batched_4_kernelIlLi32ELi4ELb1Ef16rocblas_bfloat16PKS0_EviT5_lT_lS3_lS4_liPT4_ ; -- Begin function _ZL28rocblas_dot_batched_4_kernelIlLi32ELi4ELb1Ef16rocblas_bfloat16PKS0_EviT5_lT_lS3_lS4_liPT4_
	.p2align	8
	.type	_ZL28rocblas_dot_batched_4_kernelIlLi32ELi4ELb1Ef16rocblas_bfloat16PKS0_EviT5_lT_lS3_lS4_liPT4_,@function
_ZL28rocblas_dot_batched_4_kernelIlLi32ELi4ELb1Ef16rocblas_bfloat16PKS0_EviT5_lT_lS3_lS4_liPT4_: ; @_ZL28rocblas_dot_batched_4_kernelIlLi32ELi4ELb1Ef16rocblas_bfloat16PKS0_EviT5_lT_lS3_lS4_liPT4_
; %bb.0:
	s_load_dword s0, s[4:5], 0x48
	v_bfe_u32 v1, v0, 10, 10
	v_lshl_add_u32 v2, s6, 2, v1
	s_waitcnt lgkmcnt(0)
	v_cmp_gt_u32_e32 vcc, s0, v2
	s_and_saveexec_b64 s[0:1], vcc
	s_cbranch_execz .LBB540_11
; %bb.1:
	s_load_dword s16, s[4:5], 0x0
	s_load_dwordx2 s[0:1], s[4:5], 0x50
	v_mov_b32_e32 v3, 0
	v_and_b32_e32 v6, 0x3ff, v0
	v_mov_b32_e32 v7, v3
	s_waitcnt lgkmcnt(0)
	v_cmp_gt_i32_e32 vcc, s16, v6
	s_and_saveexec_b64 s[2:3], vcc
	s_cbranch_execz .LBB540_5
; %bb.2:
	s_load_dwordx4 s[20:23], s[4:5], 0x10
	s_load_dwordx2 s[6:7], s[4:5], 0x8
	s_load_dwordx8 s[8:15], s[4:5], 0x20
	s_load_dwordx2 s[18:19], s[4:5], 0x40
	s_waitcnt lgkmcnt(0)
	v_mad_u64_u32 v[0:1], s[4:5], s22, v6, 0
	v_mov_b32_e32 v4, v1
	v_mad_u64_u32 v[4:5], s[4:5], s23, v6, v[4:5]
	v_mov_b32_e32 v1, v4
	;; [unrolled: 2-line block ×4, first 2 shown]
	v_lshlrev_b64 v[0:1], 1, v[0:1]
	v_lshlrev_b64 v[4:5], 1, v[4:5]
	s_lshl_b64 s[4:5], s[20:21], 1
	v_add_co_u32_e32 v0, vcc, v0, v4
	s_add_u32 s4, s6, s4
	v_addc_co_u32_e32 v1, vcc, v1, v5, vcc
	s_addc_u32 s5, s7, s5
	v_mov_b32_e32 v4, s5
	v_add_co_u32_e32 v0, vcc, s4, v0
	v_addc_co_u32_e32 v1, vcc, v4, v1, vcc
	v_mad_u64_u32 v[4:5], s[6:7], s14, v6, 0
	v_mov_b32_e32 v8, v5
	v_mad_u64_u32 v[8:9], s[6:7], s15, v6, v[8:9]
	v_mov_b32_e32 v5, v8
	;; [unrolled: 2-line block ×4, first 2 shown]
	s_lshl_b64 s[4:5], s[22:23], 6
	v_lshlrev_b64 v[4:5], 1, v[4:5]
	v_lshlrev_b64 v[8:9], 1, v[8:9]
	s_lshl_b64 s[6:7], s[12:13], 1
	v_add_co_u32_e32 v4, vcc, v4, v8
	s_add_u32 s6, s10, s6
	v_addc_co_u32_e32 v5, vcc, v5, v9, vcc
	s_addc_u32 s7, s11, s7
	v_mov_b32_e32 v7, s7
	v_add_co_u32_e32 v4, vcc, s6, v4
	s_lshl_b64 s[8:9], s[14:15], 6
	v_addc_co_u32_e32 v5, vcc, v7, v5, vcc
	s_mov_b64 s[6:7], 0
	v_mov_b32_e32 v7, 0
	v_mov_b32_e32 v8, s5
	;; [unrolled: 1-line block ×4, first 2 shown]
.LBB540_3:                              ; =>This Inner Loop Header: Depth=1
	global_load_ushort v11, v[0:1], off
	global_load_ushort v12, v[4:5], off
	v_add_co_u32_e32 v0, vcc, s4, v0
	v_addc_co_u32_e32 v1, vcc, v1, v8, vcc
	v_add_co_u32_e32 v4, vcc, s8, v4
	v_add_u32_e32 v10, 32, v10
	v_addc_co_u32_e32 v5, vcc, v5, v9, vcc
	v_cmp_le_i32_e32 vcc, s16, v10
	s_or_b64 s[6:7], vcc, s[6:7]
	s_waitcnt vmcnt(1)
	v_lshlrev_b32_e32 v11, 16, v11
	s_waitcnt vmcnt(0)
	v_lshlrev_b32_e32 v12, 16, v12
	v_fmac_f32_e32 v7, v12, v11
	s_andn2_b64 exec, exec, s[6:7]
	s_cbranch_execnz .LBB540_3
; %bb.4:
	s_or_b64 exec, exec, s[6:7]
.LBB540_5:
	s_or_b64 exec, exec, s[2:3]
	v_mbcnt_lo_u32_b32 v0, -1, 0
	v_mbcnt_hi_u32_b32 v0, -1, v0
	v_and_b32_e32 v1, 63, v0
	v_cmp_gt_u32_e32 vcc, 48, v1
	v_cndmask_b32_e64 v4, 0, 1, vcc
	v_lshlrev_b32_e32 v4, 4, v4
	v_add_lshl_u32 v4, v4, v0, 2
	ds_bpermute_b32 v4, v4, v7
	v_cmp_gt_u32_e32 vcc, 56, v1
	v_cndmask_b32_e64 v5, 0, 1, vcc
	v_lshlrev_b32_e32 v5, 3, v5
	v_add_lshl_u32 v5, v5, v0, 2
	s_waitcnt lgkmcnt(0)
	v_add_f32_e32 v4, v7, v4
	ds_bpermute_b32 v5, v5, v4
	v_cmp_gt_u32_e32 vcc, 60, v1
	v_cndmask_b32_e64 v7, 0, 1, vcc
	v_lshlrev_b32_e32 v7, 2, v7
	v_cmp_gt_u32_e32 vcc, 62, v1
	s_waitcnt lgkmcnt(0)
	v_add_f32_e32 v4, v4, v5
	v_add_lshl_u32 v5, v7, v0, 2
	ds_bpermute_b32 v5, v5, v4
	v_cndmask_b32_e64 v7, 0, 1, vcc
	v_lshlrev_b32_e32 v7, 1, v7
	v_cmp_ne_u32_e32 vcc, 63, v1
	v_addc_co_u32_e32 v1, vcc, 0, v0, vcc
	s_waitcnt lgkmcnt(0)
	v_add_f32_e32 v4, v4, v5
	v_add_lshl_u32 v5, v7, v0, 2
	ds_bpermute_b32 v5, v5, v4
	v_lshlrev_b32_e32 v1, 2, v1
	v_cmp_eq_u32_e32 vcc, 0, v6
	s_waitcnt lgkmcnt(0)
	s_barrier
	v_add_f32_e32 v0, v4, v5
	ds_bpermute_b32 v1, v1, v0
	s_waitcnt lgkmcnt(0)
	s_and_b64 exec, exec, vcc
	s_cbranch_execz .LBB540_11
; %bb.6:
	v_add_f32_e32 v1, v0, v1
	s_mov_b32 s2, 0x7f800000
	v_and_b32_e32 v0, 0x7f800000, v1
	v_cmp_ne_u32_e32 vcc, s2, v0
                                        ; implicit-def: $vgpr0
	s_and_saveexec_b64 s[2:3], vcc
	s_xor_b64 s[2:3], exec, s[2:3]
; %bb.7:
	v_bfe_u32 v0, v1, 16, 1
	s_movk_i32 s4, 0x7fff
	v_add3_u32 v0, v1, v0, s4
                                        ; implicit-def: $vgpr1
; %bb.8:
	s_andn2_saveexec_b64 s[2:3], s[2:3]
; %bb.9:
	v_mov_b32_e32 v0, 0
	v_or_b32_e32 v4, 0x10000, v1
	v_cmp_eq_u32_sdwa vcc, v1, v0 src0_sel:WORD_0 src1_sel:DWORD
	v_cndmask_b32_e32 v0, v4, v1, vcc
; %bb.10:
	s_or_b64 exec, exec, s[2:3]
	v_lshlrev_b64 v[2:3], 1, v[2:3]
	v_mov_b32_e32 v1, s1
	v_add_co_u32_e32 v2, vcc, s0, v2
	v_addc_co_u32_e32 v3, vcc, v1, v3, vcc
	global_store_short_d16_hi v[2:3], v0, off
.LBB540_11:
	s_endpgm
	.section	.rodata,"a",@progbits
	.p2align	6, 0x0
	.amdhsa_kernel _ZL28rocblas_dot_batched_4_kernelIlLi32ELi4ELb1Ef16rocblas_bfloat16PKS0_EviT5_lT_lS3_lS4_liPT4_
		.amdhsa_group_segment_fixed_size 0
		.amdhsa_private_segment_fixed_size 0
		.amdhsa_kernarg_size 88
		.amdhsa_user_sgpr_count 6
		.amdhsa_user_sgpr_private_segment_buffer 1
		.amdhsa_user_sgpr_dispatch_ptr 0
		.amdhsa_user_sgpr_queue_ptr 0
		.amdhsa_user_sgpr_kernarg_segment_ptr 1
		.amdhsa_user_sgpr_dispatch_id 0
		.amdhsa_user_sgpr_flat_scratch_init 0
		.amdhsa_user_sgpr_kernarg_preload_length 0
		.amdhsa_user_sgpr_kernarg_preload_offset 0
		.amdhsa_user_sgpr_private_segment_size 0
		.amdhsa_uses_dynamic_stack 0
		.amdhsa_system_sgpr_private_segment_wavefront_offset 0
		.amdhsa_system_sgpr_workgroup_id_x 1
		.amdhsa_system_sgpr_workgroup_id_y 0
		.amdhsa_system_sgpr_workgroup_id_z 0
		.amdhsa_system_sgpr_workgroup_info 0
		.amdhsa_system_vgpr_workitem_id 1
		.amdhsa_next_free_vgpr 13
		.amdhsa_next_free_sgpr 24
		.amdhsa_accum_offset 16
		.amdhsa_reserve_vcc 1
		.amdhsa_reserve_flat_scratch 0
		.amdhsa_float_round_mode_32 0
		.amdhsa_float_round_mode_16_64 0
		.amdhsa_float_denorm_mode_32 3
		.amdhsa_float_denorm_mode_16_64 3
		.amdhsa_dx10_clamp 1
		.amdhsa_ieee_mode 1
		.amdhsa_fp16_overflow 0
		.amdhsa_tg_split 0
		.amdhsa_exception_fp_ieee_invalid_op 0
		.amdhsa_exception_fp_denorm_src 0
		.amdhsa_exception_fp_ieee_div_zero 0
		.amdhsa_exception_fp_ieee_overflow 0
		.amdhsa_exception_fp_ieee_underflow 0
		.amdhsa_exception_fp_ieee_inexact 0
		.amdhsa_exception_int_div_zero 0
	.end_amdhsa_kernel
	.section	.text._ZL28rocblas_dot_batched_4_kernelIlLi32ELi4ELb1Ef16rocblas_bfloat16PKS0_EviT5_lT_lS3_lS4_liPT4_,"axG",@progbits,_ZL28rocblas_dot_batched_4_kernelIlLi32ELi4ELb1Ef16rocblas_bfloat16PKS0_EviT5_lT_lS3_lS4_liPT4_,comdat
.Lfunc_end540:
	.size	_ZL28rocblas_dot_batched_4_kernelIlLi32ELi4ELb1Ef16rocblas_bfloat16PKS0_EviT5_lT_lS3_lS4_liPT4_, .Lfunc_end540-_ZL28rocblas_dot_batched_4_kernelIlLi32ELi4ELb1Ef16rocblas_bfloat16PKS0_EviT5_lT_lS3_lS4_liPT4_
                                        ; -- End function
	.section	.AMDGPU.csdata,"",@progbits
; Kernel info:
; codeLenInByte = 760
; NumSgprs: 28
; NumVgprs: 13
; NumAgprs: 0
; TotalNumVgprs: 13
; ScratchSize: 0
; MemoryBound: 0
; FloatMode: 240
; IeeeMode: 1
; LDSByteSize: 0 bytes/workgroup (compile time only)
; SGPRBlocks: 3
; VGPRBlocks: 1
; NumSGPRsForWavesPerEU: 28
; NumVGPRsForWavesPerEU: 13
; AccumOffset: 16
; Occupancy: 8
; WaveLimiterHint : 0
; COMPUTE_PGM_RSRC2:SCRATCH_EN: 0
; COMPUTE_PGM_RSRC2:USER_SGPR: 6
; COMPUTE_PGM_RSRC2:TRAP_HANDLER: 0
; COMPUTE_PGM_RSRC2:TGID_X_EN: 1
; COMPUTE_PGM_RSRC2:TGID_Y_EN: 0
; COMPUTE_PGM_RSRC2:TGID_Z_EN: 0
; COMPUTE_PGM_RSRC2:TIDIG_COMP_CNT: 1
; COMPUTE_PGM_RSRC3_GFX90A:ACCUM_OFFSET: 3
; COMPUTE_PGM_RSRC3_GFX90A:TG_SPLIT: 0
	.section	.text._ZL28rocblas_dot_batched_4_kernelIlLi64ELi4ELb1Ef16rocblas_bfloat16PKS0_EviT5_lT_lS3_lS4_liPT4_,"axG",@progbits,_ZL28rocblas_dot_batched_4_kernelIlLi64ELi4ELb1Ef16rocblas_bfloat16PKS0_EviT5_lT_lS3_lS4_liPT4_,comdat
	.globl	_ZL28rocblas_dot_batched_4_kernelIlLi64ELi4ELb1Ef16rocblas_bfloat16PKS0_EviT5_lT_lS3_lS4_liPT4_ ; -- Begin function _ZL28rocblas_dot_batched_4_kernelIlLi64ELi4ELb1Ef16rocblas_bfloat16PKS0_EviT5_lT_lS3_lS4_liPT4_
	.p2align	8
	.type	_ZL28rocblas_dot_batched_4_kernelIlLi64ELi4ELb1Ef16rocblas_bfloat16PKS0_EviT5_lT_lS3_lS4_liPT4_,@function
_ZL28rocblas_dot_batched_4_kernelIlLi64ELi4ELb1Ef16rocblas_bfloat16PKS0_EviT5_lT_lS3_lS4_liPT4_: ; @_ZL28rocblas_dot_batched_4_kernelIlLi64ELi4ELb1Ef16rocblas_bfloat16PKS0_EviT5_lT_lS3_lS4_liPT4_
; %bb.0:
	s_load_dword s0, s[4:5], 0x48
	v_bfe_u32 v1, v0, 10, 10
	v_lshl_add_u32 v2, s6, 2, v1
	s_waitcnt lgkmcnt(0)
	v_cmp_gt_u32_e32 vcc, s0, v2
	s_and_saveexec_b64 s[0:1], vcc
	s_cbranch_execz .LBB541_11
; %bb.1:
	s_load_dword s16, s[4:5], 0x0
	s_load_dwordx2 s[0:1], s[4:5], 0x50
	v_mov_b32_e32 v3, 0
	v_and_b32_e32 v6, 0x3ff, v0
	v_mov_b32_e32 v7, v3
	s_waitcnt lgkmcnt(0)
	v_cmp_gt_i32_e32 vcc, s16, v6
	s_and_saveexec_b64 s[2:3], vcc
	s_cbranch_execz .LBB541_5
; %bb.2:
	s_load_dwordx4 s[20:23], s[4:5], 0x10
	s_load_dwordx2 s[6:7], s[4:5], 0x8
	s_load_dwordx8 s[8:15], s[4:5], 0x20
	s_load_dwordx2 s[18:19], s[4:5], 0x40
	s_waitcnt lgkmcnt(0)
	v_mad_u64_u32 v[0:1], s[4:5], s22, v6, 0
	v_mov_b32_e32 v4, v1
	v_mad_u64_u32 v[4:5], s[4:5], s23, v6, v[4:5]
	v_mov_b32_e32 v1, v4
	;; [unrolled: 2-line block ×4, first 2 shown]
	v_lshlrev_b64 v[0:1], 1, v[0:1]
	v_lshlrev_b64 v[4:5], 1, v[4:5]
	s_lshl_b64 s[4:5], s[20:21], 1
	v_add_co_u32_e32 v0, vcc, v0, v4
	s_add_u32 s4, s6, s4
	v_addc_co_u32_e32 v1, vcc, v1, v5, vcc
	s_addc_u32 s5, s7, s5
	v_mov_b32_e32 v4, s5
	v_add_co_u32_e32 v0, vcc, s4, v0
	v_addc_co_u32_e32 v1, vcc, v4, v1, vcc
	v_mad_u64_u32 v[4:5], s[6:7], s14, v6, 0
	v_mov_b32_e32 v8, v5
	v_mad_u64_u32 v[8:9], s[6:7], s15, v6, v[8:9]
	v_mov_b32_e32 v5, v8
	;; [unrolled: 2-line block ×4, first 2 shown]
	s_lshl_b64 s[4:5], s[22:23], 7
	v_lshlrev_b64 v[4:5], 1, v[4:5]
	v_lshlrev_b64 v[8:9], 1, v[8:9]
	s_lshl_b64 s[6:7], s[12:13], 1
	v_add_co_u32_e32 v4, vcc, v4, v8
	s_add_u32 s6, s10, s6
	v_addc_co_u32_e32 v5, vcc, v5, v9, vcc
	s_addc_u32 s7, s11, s7
	v_mov_b32_e32 v7, s7
	v_add_co_u32_e32 v4, vcc, s6, v4
	s_lshl_b64 s[8:9], s[14:15], 7
	v_addc_co_u32_e32 v5, vcc, v7, v5, vcc
	s_mov_b64 s[6:7], 0
	v_mov_b32_e32 v7, 0
	v_mov_b32_e32 v8, s5
	;; [unrolled: 1-line block ×4, first 2 shown]
.LBB541_3:                              ; =>This Inner Loop Header: Depth=1
	global_load_ushort v11, v[0:1], off
	global_load_ushort v12, v[4:5], off
	v_add_co_u32_e32 v0, vcc, s4, v0
	v_addc_co_u32_e32 v1, vcc, v1, v8, vcc
	v_add_co_u32_e32 v4, vcc, s8, v4
	v_add_u32_e32 v10, 64, v10
	v_addc_co_u32_e32 v5, vcc, v5, v9, vcc
	v_cmp_le_i32_e32 vcc, s16, v10
	s_or_b64 s[6:7], vcc, s[6:7]
	s_waitcnt vmcnt(1)
	v_lshlrev_b32_e32 v11, 16, v11
	s_waitcnt vmcnt(0)
	v_lshlrev_b32_e32 v12, 16, v12
	v_fmac_f32_e32 v7, v12, v11
	s_andn2_b64 exec, exec, s[6:7]
	s_cbranch_execnz .LBB541_3
; %bb.4:
	s_or_b64 exec, exec, s[6:7]
.LBB541_5:
	s_or_b64 exec, exec, s[2:3]
	v_mbcnt_lo_u32_b32 v0, -1, 0
	v_mbcnt_hi_u32_b32 v0, -1, v0
	v_and_b32_e32 v1, 63, v0
	v_cmp_gt_u32_e32 vcc, 32, v1
	v_cndmask_b32_e64 v4, 0, 1, vcc
	v_lshlrev_b32_e32 v4, 5, v4
	v_add_lshl_u32 v4, v4, v0, 2
	ds_bpermute_b32 v4, v4, v7
	v_cmp_gt_u32_e32 vcc, 48, v1
	v_cndmask_b32_e64 v5, 0, 1, vcc
	v_lshlrev_b32_e32 v5, 4, v5
	v_add_lshl_u32 v5, v5, v0, 2
	s_waitcnt lgkmcnt(0)
	v_add_f32_e32 v4, v7, v4
	ds_bpermute_b32 v5, v5, v4
	v_cmp_gt_u32_e32 vcc, 56, v1
	v_cndmask_b32_e64 v7, 0, 1, vcc
	v_lshlrev_b32_e32 v7, 3, v7
	v_cmp_gt_u32_e32 vcc, 60, v1
	s_waitcnt lgkmcnt(0)
	v_add_f32_e32 v4, v4, v5
	v_add_lshl_u32 v5, v7, v0, 2
	ds_bpermute_b32 v5, v5, v4
	v_cndmask_b32_e64 v7, 0, 1, vcc
	v_lshlrev_b32_e32 v7, 2, v7
	v_cmp_gt_u32_e32 vcc, 62, v1
	s_waitcnt lgkmcnt(0)
	v_add_f32_e32 v4, v4, v5
	v_add_lshl_u32 v5, v7, v0, 2
	ds_bpermute_b32 v5, v5, v4
	v_cndmask_b32_e64 v7, 0, 1, vcc
	v_lshlrev_b32_e32 v7, 1, v7
	v_cmp_ne_u32_e32 vcc, 63, v1
	v_addc_co_u32_e32 v1, vcc, 0, v0, vcc
	s_waitcnt lgkmcnt(0)
	v_add_f32_e32 v4, v4, v5
	v_add_lshl_u32 v5, v7, v0, 2
	ds_bpermute_b32 v5, v5, v4
	v_lshlrev_b32_e32 v1, 2, v1
	v_cmp_eq_u32_e32 vcc, 0, v6
	s_barrier
	s_waitcnt lgkmcnt(0)
	v_add_f32_e32 v0, v4, v5
	ds_bpermute_b32 v1, v1, v0
	s_and_b64 exec, exec, vcc
	s_cbranch_execz .LBB541_11
; %bb.6:
	s_waitcnt lgkmcnt(0)
	v_add_f32_e32 v1, v0, v1
	s_mov_b32 s2, 0x7f800000
	v_and_b32_e32 v0, 0x7f800000, v1
	v_cmp_ne_u32_e32 vcc, s2, v0
                                        ; implicit-def: $vgpr0
	s_and_saveexec_b64 s[2:3], vcc
	s_xor_b64 s[2:3], exec, s[2:3]
; %bb.7:
	v_bfe_u32 v0, v1, 16, 1
	s_movk_i32 s4, 0x7fff
	v_add3_u32 v0, v1, v0, s4
                                        ; implicit-def: $vgpr1
; %bb.8:
	s_andn2_saveexec_b64 s[2:3], s[2:3]
; %bb.9:
	v_mov_b32_e32 v0, 0
	v_or_b32_e32 v4, 0x10000, v1
	v_cmp_eq_u32_sdwa vcc, v1, v0 src0_sel:WORD_0 src1_sel:DWORD
	v_cndmask_b32_e32 v0, v4, v1, vcc
; %bb.10:
	s_or_b64 exec, exec, s[2:3]
	v_lshlrev_b64 v[2:3], 1, v[2:3]
	v_mov_b32_e32 v1, s1
	v_add_co_u32_e32 v2, vcc, s0, v2
	v_addc_co_u32_e32 v3, vcc, v1, v3, vcc
	global_store_short_d16_hi v[2:3], v0, off
.LBB541_11:
	s_endpgm
	.section	.rodata,"a",@progbits
	.p2align	6, 0x0
	.amdhsa_kernel _ZL28rocblas_dot_batched_4_kernelIlLi64ELi4ELb1Ef16rocblas_bfloat16PKS0_EviT5_lT_lS3_lS4_liPT4_
		.amdhsa_group_segment_fixed_size 0
		.amdhsa_private_segment_fixed_size 0
		.amdhsa_kernarg_size 88
		.amdhsa_user_sgpr_count 6
		.amdhsa_user_sgpr_private_segment_buffer 1
		.amdhsa_user_sgpr_dispatch_ptr 0
		.amdhsa_user_sgpr_queue_ptr 0
		.amdhsa_user_sgpr_kernarg_segment_ptr 1
		.amdhsa_user_sgpr_dispatch_id 0
		.amdhsa_user_sgpr_flat_scratch_init 0
		.amdhsa_user_sgpr_kernarg_preload_length 0
		.amdhsa_user_sgpr_kernarg_preload_offset 0
		.amdhsa_user_sgpr_private_segment_size 0
		.amdhsa_uses_dynamic_stack 0
		.amdhsa_system_sgpr_private_segment_wavefront_offset 0
		.amdhsa_system_sgpr_workgroup_id_x 1
		.amdhsa_system_sgpr_workgroup_id_y 0
		.amdhsa_system_sgpr_workgroup_id_z 0
		.amdhsa_system_sgpr_workgroup_info 0
		.amdhsa_system_vgpr_workitem_id 1
		.amdhsa_next_free_vgpr 13
		.amdhsa_next_free_sgpr 24
		.amdhsa_accum_offset 16
		.amdhsa_reserve_vcc 1
		.amdhsa_reserve_flat_scratch 0
		.amdhsa_float_round_mode_32 0
		.amdhsa_float_round_mode_16_64 0
		.amdhsa_float_denorm_mode_32 3
		.amdhsa_float_denorm_mode_16_64 3
		.amdhsa_dx10_clamp 1
		.amdhsa_ieee_mode 1
		.amdhsa_fp16_overflow 0
		.amdhsa_tg_split 0
		.amdhsa_exception_fp_ieee_invalid_op 0
		.amdhsa_exception_fp_denorm_src 0
		.amdhsa_exception_fp_ieee_div_zero 0
		.amdhsa_exception_fp_ieee_overflow 0
		.amdhsa_exception_fp_ieee_underflow 0
		.amdhsa_exception_fp_ieee_inexact 0
		.amdhsa_exception_int_div_zero 0
	.end_amdhsa_kernel
	.section	.text._ZL28rocblas_dot_batched_4_kernelIlLi64ELi4ELb1Ef16rocblas_bfloat16PKS0_EviT5_lT_lS3_lS4_liPT4_,"axG",@progbits,_ZL28rocblas_dot_batched_4_kernelIlLi64ELi4ELb1Ef16rocblas_bfloat16PKS0_EviT5_lT_lS3_lS4_liPT4_,comdat
.Lfunc_end541:
	.size	_ZL28rocblas_dot_batched_4_kernelIlLi64ELi4ELb1Ef16rocblas_bfloat16PKS0_EviT5_lT_lS3_lS4_liPT4_, .Lfunc_end541-_ZL28rocblas_dot_batched_4_kernelIlLi64ELi4ELb1Ef16rocblas_bfloat16PKS0_EviT5_lT_lS3_lS4_liPT4_
                                        ; -- End function
	.section	.AMDGPU.csdata,"",@progbits
; Kernel info:
; codeLenInByte = 800
; NumSgprs: 28
; NumVgprs: 13
; NumAgprs: 0
; TotalNumVgprs: 13
; ScratchSize: 0
; MemoryBound: 0
; FloatMode: 240
; IeeeMode: 1
; LDSByteSize: 0 bytes/workgroup (compile time only)
; SGPRBlocks: 3
; VGPRBlocks: 1
; NumSGPRsForWavesPerEU: 28
; NumVGPRsForWavesPerEU: 13
; AccumOffset: 16
; Occupancy: 8
; WaveLimiterHint : 0
; COMPUTE_PGM_RSRC2:SCRATCH_EN: 0
; COMPUTE_PGM_RSRC2:USER_SGPR: 6
; COMPUTE_PGM_RSRC2:TRAP_HANDLER: 0
; COMPUTE_PGM_RSRC2:TGID_X_EN: 1
; COMPUTE_PGM_RSRC2:TGID_Y_EN: 0
; COMPUTE_PGM_RSRC2:TGID_Z_EN: 0
; COMPUTE_PGM_RSRC2:TIDIG_COMP_CNT: 1
; COMPUTE_PGM_RSRC3_GFX90A:ACCUM_OFFSET: 3
; COMPUTE_PGM_RSRC3_GFX90A:TG_SPLIT: 0
	.section	.text._ZL18rocblas_dot_kernelIlLb1ELi1024ELi32ELb1E16rocblas_bfloat16PKS0_fEviT5_lT_lS3_lS4_liPT6_PT4_,"axG",@progbits,_ZL18rocblas_dot_kernelIlLb1ELi1024ELi32ELb1E16rocblas_bfloat16PKS0_fEviT5_lT_lS3_lS4_liPT6_PT4_,comdat
	.globl	_ZL18rocblas_dot_kernelIlLb1ELi1024ELi32ELb1E16rocblas_bfloat16PKS0_fEviT5_lT_lS3_lS4_liPT6_PT4_ ; -- Begin function _ZL18rocblas_dot_kernelIlLb1ELi1024ELi32ELb1E16rocblas_bfloat16PKS0_fEviT5_lT_lS3_lS4_liPT6_PT4_
	.p2align	8
	.type	_ZL18rocblas_dot_kernelIlLb1ELi1024ELi32ELb1E16rocblas_bfloat16PKS0_fEviT5_lT_lS3_lS4_liPT6_PT4_,@function
_ZL18rocblas_dot_kernelIlLb1ELi1024ELi32ELb1E16rocblas_bfloat16PKS0_fEviT5_lT_lS3_lS4_liPT6_PT4_: ; @_ZL18rocblas_dot_kernelIlLb1ELi1024ELi32ELb1E16rocblas_bfloat16PKS0_fEviT5_lT_lS3_lS4_liPT6_PT4_
; %bb.0:
	s_mov_b32 s2, s7
	s_load_dword s18, s[4:5], 0x0
	s_load_dwordx2 s[6:7], s[4:5], 0x58
	s_mov_b32 s3, 0
	v_mov_b32_e32 v6, 0
	s_waitcnt lgkmcnt(0)
	v_cmp_gt_i32_e32 vcc, s18, v0
	s_and_saveexec_b64 s[16:17], vcc
	s_cbranch_execz .LBB542_4
; %bb.1:
	s_load_dword s19, s[4:5], 0x60
	s_load_dwordx2 s[0:1], s[4:5], 0x40
	s_load_dwordx8 s[8:15], s[4:5], 0x20
	s_load_dwordx2 s[24:25], s[4:5], 0x8
	s_load_dwordx4 s[20:23], s[4:5], 0x10
	s_waitcnt lgkmcnt(0)
	s_lshl_b32 s19, s19, 10
	s_mul_i32 s1, s1, s2
	s_mul_i32 s4, s9, s2
	s_mul_hi_u32 s5, s8, s2
	s_add_i32 s5, s5, s4
	s_mul_i32 s4, s8, s2
	v_mad_u64_u32 v[2:3], s[8:9], s22, v0, 0
	v_mov_b32_e32 v4, v3
	v_mad_u64_u32 v[4:5], s[8:9], s23, v0, v[4:5]
	s_lshl_b64 s[4:5], s[4:5], 1
	s_lshl_b64 s[8:9], s[20:21], 1
	s_add_u32 s8, s24, s8
	s_addc_u32 s9, s25, s9
	v_mov_b32_e32 v3, v4
	s_add_u32 s4, s8, s4
	v_lshlrev_b64 v[2:3], 1, v[2:3]
	s_addc_u32 s5, s9, s5
	v_mov_b32_e32 v4, s5
	v_add_co_u32_e32 v2, vcc, s4, v2
	s_ashr_i32 s20, s19, 31
	s_mul_hi_u32 s8, s0, s2
	v_addc_co_u32_e32 v3, vcc, v4, v3, vcc
	s_mul_i32 s4, s22, s20
	s_mul_hi_u32 s5, s22, s19
	s_add_i32 s1, s8, s1
	v_mad_u64_u32 v[4:5], s[8:9], s14, v0, 0
	s_add_i32 s4, s5, s4
	s_mul_i32 s5, s23, s19
	v_mov_b32_e32 v6, v5
	s_add_i32 s5, s4, s5
	s_mul_i32 s4, s22, s19
	s_mul_i32 s0, s0, s2
	v_mad_u64_u32 v[6:7], s[8:9], s15, v0, v[6:7]
	s_lshl_b64 s[4:5], s[4:5], 1
	s_lshl_b64 s[0:1], s[0:1], 1
	;; [unrolled: 1-line block ×3, first 2 shown]
	s_add_u32 s8, s10, s8
	s_addc_u32 s9, s11, s9
	v_mov_b32_e32 v5, v6
	s_add_u32 s0, s8, s0
	v_lshlrev_b64 v[4:5], 1, v[4:5]
	s_addc_u32 s1, s9, s1
	v_mov_b32_e32 v6, s1
	v_add_co_u32_e32 v4, vcc, s0, v4
	s_mul_i32 s0, s14, s20
	s_mul_hi_u32 s1, s14, s19
	s_add_i32 s0, s1, s0
	s_mul_i32 s1, s15, s19
	s_add_i32 s1, s0, s1
	s_mul_i32 s0, s14, s19
	s_lshl_b64 s[10:11], s[0:1], 1
	v_or_b32_e32 v1, s19, v0
	v_addc_co_u32_e32 v5, vcc, v6, v5, vcc
	s_mov_b64 s[8:9], 0
	v_mov_b32_e32 v6, 0
	v_mov_b32_e32 v7, s5
	;; [unrolled: 1-line block ×3, first 2 shown]
	s_mov_b32 s5, s3
.LBB542_2:                              ; =>This Inner Loop Header: Depth=1
	global_load_ushort v9, v[4:5], off
	global_load_ushort v10, v[2:3], off
	v_add_co_u32_e64 v2, s[0:1], s4, v2
	v_addc_co_u32_e64 v3, s[0:1], v3, v7, s[0:1]
	s_add_i32 s11, s5, 1
	v_add_co_u32_e64 v4, s[0:1], s10, v4
	v_addc_co_u32_e64 v5, s[0:1], v5, v8, s[0:1]
	s_cmp_gt_u32 s5, 30
	v_cmp_le_i32_e32 vcc, s18, v1
	s_cselect_b64 s[0:1], -1, 0
	s_or_b64 s[0:1], s[0:1], vcc
	s_and_b64 s[0:1], exec, s[0:1]
	v_add_u32_e32 v1, s19, v1
	s_mov_b32 s5, s11
	s_or_b64 s[8:9], s[0:1], s[8:9]
	s_waitcnt vmcnt(1)
	v_lshlrev_b32_e32 v9, 16, v9
	s_waitcnt vmcnt(0)
	v_lshlrev_b32_e32 v10, 16, v10
	v_fmac_f32_e32 v6, v10, v9
	s_andn2_b64 exec, exec, s[8:9]
	s_cbranch_execnz .LBB542_2
; %bb.3:
	s_or_b64 exec, exec, s[8:9]
.LBB542_4:
	s_or_b64 exec, exec, s[16:17]
	v_and_b32_e32 v2, 63, v0
	v_cmp_gt_u32_e32 vcc, 64, v0
	v_lshlrev_b32_e32 v1, 2, v2
	s_and_saveexec_b64 s[0:1], vcc
	s_cbranch_execz .LBB542_6
; %bb.5:
	v_mov_b32_e32 v3, 0
	ds_write_b32 v1, v3
.LBB542_6:
	s_or_b64 exec, exec, s[0:1]
	v_mbcnt_lo_u32_b32 v3, -1, 0
	v_mbcnt_hi_u32_b32 v7, -1, v3
	v_and_b32_e32 v8, 63, v7
	v_cmp_gt_u32_e64 s[0:1], 32, v8
	v_cndmask_b32_e64 v3, 0, 1, s[0:1]
	v_lshlrev_b32_e32 v3, 5, v3
	v_add_lshl_u32 v3, v3, v7, 2
	ds_bpermute_b32 v3, v3, v6
	v_cmp_gt_u32_e64 s[0:1], 48, v8
	v_cndmask_b32_e64 v4, 0, 1, s[0:1]
	v_lshlrev_b32_e32 v4, 4, v4
	v_add_lshl_u32 v4, v4, v7, 2
	s_waitcnt lgkmcnt(0)
	v_add_f32_e32 v3, v6, v3
	ds_bpermute_b32 v4, v4, v3
	v_cmp_gt_u32_e64 s[0:1], 56, v8
	v_cndmask_b32_e64 v5, 0, 1, s[0:1]
	v_lshlrev_b32_e32 v5, 3, v5
	v_cmp_gt_u32_e64 s[0:1], 60, v8
	s_waitcnt lgkmcnt(0)
	v_add_f32_e32 v4, v3, v4
	v_add_lshl_u32 v3, v5, v7, 2
	ds_bpermute_b32 v5, v3, v4
	v_cndmask_b32_e64 v6, 0, 1, s[0:1]
	v_lshlrev_b32_e32 v6, 2, v6
	v_cmp_gt_u32_e64 s[0:1], 62, v8
	v_cndmask_b32_e64 v9, 0, 1, s[0:1]
	s_waitcnt lgkmcnt(0)
	v_add_f32_e32 v5, v4, v5
	v_add_lshl_u32 v4, v6, v7, 2
	ds_bpermute_b32 v6, v4, v5
	v_lshlrev_b32_e32 v9, 1, v9
	v_cmp_ne_u32_e64 s[0:1], 63, v8
	v_addc_co_u32_e64 v8, s[0:1], 0, v7, s[0:1]
	s_waitcnt lgkmcnt(0)
	v_add_f32_e32 v6, v5, v6
	v_add_lshl_u32 v5, v9, v7, 2
	ds_bpermute_b32 v9, v5, v6
	v_cmp_eq_u32_e64 s[0:1], 0, v2
	s_waitcnt lgkmcnt(0)
	s_barrier
	v_add_f32_e32 v7, v6, v9
	v_lshlrev_b32_e32 v6, 2, v8
	ds_bpermute_b32 v8, v6, v7
	s_and_saveexec_b64 s[4:5], s[0:1]
	s_cbranch_execz .LBB542_8
; %bb.7:
	s_waitcnt lgkmcnt(0)
	v_add_f32_e32 v2, v7, v8
	v_lshrrev_b32_e32 v7, 4, v0
	v_and_b32_e32 v7, 60, v7
	ds_write_b32 v7, v2
.LBB542_8:
	s_or_b64 exec, exec, s[4:5]
	v_cmp_gt_u32_e64 s[0:1], 16, v0
	v_mov_b32_e32 v2, 0
	s_waitcnt lgkmcnt(0)
	s_barrier
	s_and_saveexec_b64 s[4:5], s[0:1]
	s_cbranch_execnz .LBB542_12
; %bb.9:
	s_or_b64 exec, exec, s[4:5]
	s_and_saveexec_b64 s[0:1], vcc
	s_cbranch_execnz .LBB542_13
.LBB542_10:
	s_or_b64 exec, exec, s[0:1]
	v_cmp_eq_u32_e32 vcc, 0, v0
	s_and_saveexec_b64 s[0:1], vcc
	s_cbranch_execnz .LBB542_14
.LBB542_11:
	s_endpgm
.LBB542_12:
	ds_read_b32 v2, v1
	s_or_b64 exec, exec, s[4:5]
	s_and_saveexec_b64 s[0:1], vcc
	s_cbranch_execz .LBB542_10
.LBB542_13:
	s_waitcnt lgkmcnt(0)
	ds_bpermute_b32 v1, v3, v2
	s_waitcnt lgkmcnt(0)
	v_add_f32_e32 v1, v2, v1
	ds_bpermute_b32 v2, v4, v1
	s_waitcnt lgkmcnt(0)
	v_add_f32_e32 v1, v1, v2
	;; [unrolled: 3-line block ×4, first 2 shown]
	s_or_b64 exec, exec, s[0:1]
	v_cmp_eq_u32_e32 vcc, 0, v0
	s_and_saveexec_b64 s[0:1], vcc
	s_cbranch_execz .LBB542_11
.LBB542_14:
	s_mov_b32 s0, 0x7f800000
	s_waitcnt lgkmcnt(0)
	v_and_b32_e32 v0, 0x7f800000, v2
	v_cmp_ne_u32_e32 vcc, s0, v0
                                        ; implicit-def: $vgpr0
	s_and_saveexec_b64 s[0:1], vcc
	s_xor_b64 s[0:1], exec, s[0:1]
; %bb.15:
	v_bfe_u32 v0, v2, 16, 1
	s_movk_i32 s4, 0x7fff
	v_add3_u32 v0, v2, v0, s4
                                        ; implicit-def: $vgpr2
; %bb.16:
	s_andn2_saveexec_b64 s[0:1], s[0:1]
; %bb.17:
	v_mov_b32_e32 v0, 0
	v_or_b32_e32 v1, 0x10000, v2
	v_cmp_eq_u32_sdwa vcc, v2, v0 src0_sel:WORD_0 src1_sel:DWORD
	v_cndmask_b32_e32 v0, v1, v2, vcc
; %bb.18:
	s_or_b64 exec, exec, s[0:1]
	s_lshl_b64 s[0:1], s[2:3], 1
	s_add_u32 s0, s6, s0
	s_addc_u32 s1, s7, s1
	v_mov_b32_e32 v1, 0
	global_store_short_d16_hi v1, v0, s[0:1]
	s_endpgm
	.section	.rodata,"a",@progbits
	.p2align	6, 0x0
	.amdhsa_kernel _ZL18rocblas_dot_kernelIlLb1ELi1024ELi32ELb1E16rocblas_bfloat16PKS0_fEviT5_lT_lS3_lS4_liPT6_PT4_
		.amdhsa_group_segment_fixed_size 256
		.amdhsa_private_segment_fixed_size 0
		.amdhsa_kernarg_size 352
		.amdhsa_user_sgpr_count 6
		.amdhsa_user_sgpr_private_segment_buffer 1
		.amdhsa_user_sgpr_dispatch_ptr 0
		.amdhsa_user_sgpr_queue_ptr 0
		.amdhsa_user_sgpr_kernarg_segment_ptr 1
		.amdhsa_user_sgpr_dispatch_id 0
		.amdhsa_user_sgpr_flat_scratch_init 0
		.amdhsa_user_sgpr_kernarg_preload_length 0
		.amdhsa_user_sgpr_kernarg_preload_offset 0
		.amdhsa_user_sgpr_private_segment_size 0
		.amdhsa_uses_dynamic_stack 0
		.amdhsa_system_sgpr_private_segment_wavefront_offset 0
		.amdhsa_system_sgpr_workgroup_id_x 1
		.amdhsa_system_sgpr_workgroup_id_y 0
		.amdhsa_system_sgpr_workgroup_id_z 1
		.amdhsa_system_sgpr_workgroup_info 0
		.amdhsa_system_vgpr_workitem_id 0
		.amdhsa_next_free_vgpr 11
		.amdhsa_next_free_sgpr 26
		.amdhsa_accum_offset 12
		.amdhsa_reserve_vcc 1
		.amdhsa_reserve_flat_scratch 0
		.amdhsa_float_round_mode_32 0
		.amdhsa_float_round_mode_16_64 0
		.amdhsa_float_denorm_mode_32 3
		.amdhsa_float_denorm_mode_16_64 3
		.amdhsa_dx10_clamp 1
		.amdhsa_ieee_mode 1
		.amdhsa_fp16_overflow 0
		.amdhsa_tg_split 0
		.amdhsa_exception_fp_ieee_invalid_op 0
		.amdhsa_exception_fp_denorm_src 0
		.amdhsa_exception_fp_ieee_div_zero 0
		.amdhsa_exception_fp_ieee_overflow 0
		.amdhsa_exception_fp_ieee_underflow 0
		.amdhsa_exception_fp_ieee_inexact 0
		.amdhsa_exception_int_div_zero 0
	.end_amdhsa_kernel
	.section	.text._ZL18rocblas_dot_kernelIlLb1ELi1024ELi32ELb1E16rocblas_bfloat16PKS0_fEviT5_lT_lS3_lS4_liPT6_PT4_,"axG",@progbits,_ZL18rocblas_dot_kernelIlLb1ELi1024ELi32ELb1E16rocblas_bfloat16PKS0_fEviT5_lT_lS3_lS4_liPT6_PT4_,comdat
.Lfunc_end542:
	.size	_ZL18rocblas_dot_kernelIlLb1ELi1024ELi32ELb1E16rocblas_bfloat16PKS0_fEviT5_lT_lS3_lS4_liPT6_PT4_, .Lfunc_end542-_ZL18rocblas_dot_kernelIlLb1ELi1024ELi32ELb1E16rocblas_bfloat16PKS0_fEviT5_lT_lS3_lS4_liPT6_PT4_
                                        ; -- End function
	.section	.AMDGPU.csdata,"",@progbits
; Kernel info:
; codeLenInByte = 1092
; NumSgprs: 30
; NumVgprs: 11
; NumAgprs: 0
; TotalNumVgprs: 11
; ScratchSize: 0
; MemoryBound: 0
; FloatMode: 240
; IeeeMode: 1
; LDSByteSize: 256 bytes/workgroup (compile time only)
; SGPRBlocks: 3
; VGPRBlocks: 1
; NumSGPRsForWavesPerEU: 30
; NumVGPRsForWavesPerEU: 11
; AccumOffset: 12
; Occupancy: 8
; WaveLimiterHint : 0
; COMPUTE_PGM_RSRC2:SCRATCH_EN: 0
; COMPUTE_PGM_RSRC2:USER_SGPR: 6
; COMPUTE_PGM_RSRC2:TRAP_HANDLER: 0
; COMPUTE_PGM_RSRC2:TGID_X_EN: 1
; COMPUTE_PGM_RSRC2:TGID_Y_EN: 0
; COMPUTE_PGM_RSRC2:TGID_Z_EN: 1
; COMPUTE_PGM_RSRC2:TIDIG_COMP_CNT: 0
; COMPUTE_PGM_RSRC3_GFX90A:ACCUM_OFFSET: 2
; COMPUTE_PGM_RSRC3_GFX90A:TG_SPLIT: 0
	.section	.text._ZL24rocblas_dot_kernel_magsqIlLb1ELi1024ELi32ELb1E16rocblas_bfloat16PKS0_fEviT5_lT_liPT6_PT4_,"axG",@progbits,_ZL24rocblas_dot_kernel_magsqIlLb1ELi1024ELi32ELb1E16rocblas_bfloat16PKS0_fEviT5_lT_liPT6_PT4_,comdat
	.globl	_ZL24rocblas_dot_kernel_magsqIlLb1ELi1024ELi32ELb1E16rocblas_bfloat16PKS0_fEviT5_lT_liPT6_PT4_ ; -- Begin function _ZL24rocblas_dot_kernel_magsqIlLb1ELi1024ELi32ELb1E16rocblas_bfloat16PKS0_fEviT5_lT_liPT6_PT4_
	.p2align	8
	.type	_ZL24rocblas_dot_kernel_magsqIlLb1ELi1024ELi32ELb1E16rocblas_bfloat16PKS0_fEviT5_lT_liPT6_PT4_,@function
_ZL24rocblas_dot_kernel_magsqIlLb1ELi1024ELi32ELb1E16rocblas_bfloat16PKS0_fEviT5_lT_liPT6_PT4_: ; @_ZL24rocblas_dot_kernel_magsqIlLb1ELi1024ELi32ELb1E16rocblas_bfloat16PKS0_fEviT5_lT_liPT6_PT4_
; %bb.0:
	s_mov_b32 s2, s7
	s_load_dword s12, s[4:5], 0x0
	s_load_dwordx2 s[6:7], s[4:5], 0x38
	s_mov_b32 s3, 0
	v_mov_b32_e32 v1, 0
	s_waitcnt lgkmcnt(0)
	v_cmp_gt_i32_e32 vcc, s12, v0
	s_and_saveexec_b64 s[8:9], vcc
	s_cbranch_execz .LBB543_4
; %bb.1:
	s_load_dword s13, s[4:5], 0x40
	s_load_dwordx2 s[0:1], s[4:5], 0x20
	s_load_dwordx2 s[10:11], s[4:5], 0x8
	s_load_dwordx4 s[16:19], s[4:5], 0x10
	s_waitcnt lgkmcnt(0)
	s_lshl_b32 s13, s13, 10
	s_mul_i32 s1, s1, s2
	s_mul_hi_u32 s4, s0, s2
	s_add_i32 s1, s4, s1
	v_mad_u64_u32 v[2:3], s[4:5], s18, v0, 0
	v_mov_b32_e32 v6, v3
	s_mul_i32 s0, s0, s2
	v_mad_u64_u32 v[6:7], s[4:5], s19, v0, v[6:7]
	s_lshl_b64 s[0:1], s[0:1], 1
	s_lshl_b64 s[4:5], s[16:17], 1
	s_add_u32 s4, s10, s4
	v_mov_b32_e32 v3, v6
	s_addc_u32 s5, s11, s5
	v_lshlrev_b64 v[2:3], 1, v[2:3]
	s_add_u32 s0, s4, s0
	s_addc_u32 s1, s5, s1
	v_add_co_u32_e32 v2, vcc, s0, v2
	s_ashr_i32 s0, s13, 31
	v_mov_b32_e32 v1, s1
	s_mul_i32 s0, s18, s0
	s_mul_hi_u32 s1, s18, s13
	s_add_i32 s0, s1, s0
	s_mul_i32 s1, s19, s13
	s_add_i32 s1, s0, s1
	s_mul_i32 s0, s18, s13
	s_lshl_b64 s[10:11], s[0:1], 1
	v_or_b32_e32 v4, s13, v0
	v_addc_co_u32_e32 v3, vcc, v1, v3, vcc
	s_mov_b64 s[4:5], 0
	v_mov_b32_e32 v1, 0
	v_mov_b32_e32 v5, s11
	s_mov_b32 s11, s3
.LBB543_2:                              ; =>This Inner Loop Header: Depth=1
	global_load_ushort v6, v[2:3], off
	s_add_i32 s14, s11, 1
	v_add_co_u32_e64 v2, s[0:1], s10, v2
	v_addc_co_u32_e64 v3, s[0:1], v3, v5, s[0:1]
	s_cmp_gt_u32 s11, 30
	v_cmp_le_i32_e32 vcc, s12, v4
	s_cselect_b64 s[0:1], -1, 0
	s_or_b64 s[0:1], s[0:1], vcc
	s_and_b64 s[0:1], exec, s[0:1]
	v_add_u32_e32 v4, s13, v4
	s_mov_b32 s11, s14
	s_or_b64 s[4:5], s[0:1], s[4:5]
	s_waitcnt vmcnt(0)
	v_lshlrev_b32_e32 v6, 16, v6
	v_fmac_f32_e32 v1, v6, v6
	s_andn2_b64 exec, exec, s[4:5]
	s_cbranch_execnz .LBB543_2
; %bb.3:
	s_or_b64 exec, exec, s[4:5]
.LBB543_4:
	s_or_b64 exec, exec, s[8:9]
	v_and_b32_e32 v3, 63, v0
	v_cmp_gt_u32_e32 vcc, 64, v0
	v_lshlrev_b32_e32 v2, 2, v3
	s_and_saveexec_b64 s[0:1], vcc
	s_cbranch_execz .LBB543_6
; %bb.5:
	v_mov_b32_e32 v4, 0
	ds_write_b32 v2, v4
.LBB543_6:
	s_or_b64 exec, exec, s[0:1]
	v_mbcnt_lo_u32_b32 v4, -1, 0
	v_mbcnt_hi_u32_b32 v6, -1, v4
	v_and_b32_e32 v7, 63, v6
	v_cmp_gt_u32_e64 s[0:1], 32, v7
	v_cndmask_b32_e64 v4, 0, 1, s[0:1]
	v_lshlrev_b32_e32 v4, 5, v4
	v_add_lshl_u32 v4, v4, v6, 2
	ds_bpermute_b32 v4, v4, v1
	v_cmp_gt_u32_e64 s[0:1], 48, v7
	v_cndmask_b32_e64 v5, 0, 1, s[0:1]
	v_lshlrev_b32_e32 v5, 4, v5
	v_cmp_gt_u32_e64 s[0:1], 56, v7
	s_waitcnt lgkmcnt(0)
	v_add_f32_e32 v1, v1, v4
	v_add_lshl_u32 v4, v5, v6, 2
	ds_bpermute_b32 v4, v4, v1
	v_cndmask_b32_e64 v5, 0, 1, s[0:1]
	v_lshlrev_b32_e32 v5, 3, v5
	v_cmp_gt_u32_e64 s[0:1], 60, v7
	v_cndmask_b32_e64 v8, 0, 1, s[0:1]
	s_waitcnt lgkmcnt(0)
	v_add_f32_e32 v4, v1, v4
	v_add_lshl_u32 v1, v5, v6, 2
	ds_bpermute_b32 v5, v1, v4
	v_lshlrev_b32_e32 v8, 2, v8
	v_cmp_gt_u32_e64 s[0:1], 62, v7
	v_cndmask_b32_e64 v9, 0, 1, s[0:1]
	v_lshlrev_b32_e32 v9, 1, v9
	s_waitcnt lgkmcnt(0)
	v_add_f32_e32 v5, v4, v5
	v_add_lshl_u32 v4, v8, v6, 2
	ds_bpermute_b32 v8, v4, v5
	v_cmp_ne_u32_e64 s[0:1], 63, v7
	s_waitcnt lgkmcnt(0)
	s_barrier
	v_add_f32_e32 v8, v5, v8
	v_add_lshl_u32 v5, v9, v6, 2
	ds_bpermute_b32 v9, v5, v8
	v_addc_co_u32_e64 v6, s[0:1], 0, v6, s[0:1]
	v_lshlrev_b32_e32 v6, 2, v6
	v_cmp_eq_u32_e64 s[0:1], 0, v3
	s_waitcnt lgkmcnt(0)
	v_add_f32_e32 v7, v8, v9
	ds_bpermute_b32 v8, v6, v7
	s_and_saveexec_b64 s[4:5], s[0:1]
	s_cbranch_execz .LBB543_8
; %bb.7:
	s_waitcnt lgkmcnt(0)
	v_add_f32_e32 v3, v7, v8
	v_lshrrev_b32_e32 v7, 4, v0
	v_and_b32_e32 v7, 60, v7
	ds_write_b32 v7, v3
.LBB543_8:
	s_or_b64 exec, exec, s[4:5]
	v_cmp_gt_u32_e64 s[0:1], 16, v0
	v_mov_b32_e32 v3, 0
	s_waitcnt lgkmcnt(0)
	s_barrier
	s_and_saveexec_b64 s[4:5], s[0:1]
	s_cbranch_execnz .LBB543_12
; %bb.9:
	s_or_b64 exec, exec, s[4:5]
	s_and_saveexec_b64 s[0:1], vcc
	s_cbranch_execnz .LBB543_13
.LBB543_10:
	s_or_b64 exec, exec, s[0:1]
	v_cmp_eq_u32_e32 vcc, 0, v0
	s_and_saveexec_b64 s[0:1], vcc
	s_cbranch_execnz .LBB543_14
.LBB543_11:
	s_endpgm
.LBB543_12:
	ds_read_b32 v3, v2
	s_or_b64 exec, exec, s[4:5]
	s_and_saveexec_b64 s[0:1], vcc
	s_cbranch_execz .LBB543_10
.LBB543_13:
	s_waitcnt lgkmcnt(0)
	ds_bpermute_b32 v1, v1, v3
	s_waitcnt lgkmcnt(0)
	v_add_f32_e32 v1, v3, v1
	ds_bpermute_b32 v2, v4, v1
	s_waitcnt lgkmcnt(0)
	v_add_f32_e32 v1, v1, v2
	;; [unrolled: 3-line block ×4, first 2 shown]
	s_or_b64 exec, exec, s[0:1]
	v_cmp_eq_u32_e32 vcc, 0, v0
	s_and_saveexec_b64 s[0:1], vcc
	s_cbranch_execz .LBB543_11
.LBB543_14:
	s_mov_b32 s0, 0x7f800000
	s_waitcnt lgkmcnt(0)
	v_and_b32_e32 v0, 0x7f800000, v3
	v_cmp_ne_u32_e32 vcc, s0, v0
                                        ; implicit-def: $vgpr0
	s_and_saveexec_b64 s[0:1], vcc
	s_xor_b64 s[0:1], exec, s[0:1]
; %bb.15:
	v_bfe_u32 v0, v3, 16, 1
	s_movk_i32 s4, 0x7fff
	v_add3_u32 v0, v3, v0, s4
                                        ; implicit-def: $vgpr3
; %bb.16:
	s_andn2_saveexec_b64 s[0:1], s[0:1]
; %bb.17:
	v_mov_b32_e32 v0, 0
	v_or_b32_e32 v1, 0x10000, v3
	v_cmp_eq_u32_sdwa vcc, v3, v0 src0_sel:WORD_0 src1_sel:DWORD
	v_cndmask_b32_e32 v0, v1, v3, vcc
; %bb.18:
	s_or_b64 exec, exec, s[0:1]
	s_lshl_b64 s[0:1], s[2:3], 1
	s_add_u32 s0, s6, s0
	s_addc_u32 s1, s7, s1
	v_mov_b32_e32 v1, 0
	global_store_short_d16_hi v1, v0, s[0:1]
	s_endpgm
	.section	.rodata,"a",@progbits
	.p2align	6, 0x0
	.amdhsa_kernel _ZL24rocblas_dot_kernel_magsqIlLb1ELi1024ELi32ELb1E16rocblas_bfloat16PKS0_fEviT5_lT_liPT6_PT4_
		.amdhsa_group_segment_fixed_size 256
		.amdhsa_private_segment_fixed_size 0
		.amdhsa_kernarg_size 320
		.amdhsa_user_sgpr_count 6
		.amdhsa_user_sgpr_private_segment_buffer 1
		.amdhsa_user_sgpr_dispatch_ptr 0
		.amdhsa_user_sgpr_queue_ptr 0
		.amdhsa_user_sgpr_kernarg_segment_ptr 1
		.amdhsa_user_sgpr_dispatch_id 0
		.amdhsa_user_sgpr_flat_scratch_init 0
		.amdhsa_user_sgpr_kernarg_preload_length 0
		.amdhsa_user_sgpr_kernarg_preload_offset 0
		.amdhsa_user_sgpr_private_segment_size 0
		.amdhsa_uses_dynamic_stack 0
		.amdhsa_system_sgpr_private_segment_wavefront_offset 0
		.amdhsa_system_sgpr_workgroup_id_x 1
		.amdhsa_system_sgpr_workgroup_id_y 0
		.amdhsa_system_sgpr_workgroup_id_z 1
		.amdhsa_system_sgpr_workgroup_info 0
		.amdhsa_system_vgpr_workitem_id 0
		.amdhsa_next_free_vgpr 10
		.amdhsa_next_free_sgpr 20
		.amdhsa_accum_offset 12
		.amdhsa_reserve_vcc 1
		.amdhsa_reserve_flat_scratch 0
		.amdhsa_float_round_mode_32 0
		.amdhsa_float_round_mode_16_64 0
		.amdhsa_float_denorm_mode_32 3
		.amdhsa_float_denorm_mode_16_64 3
		.amdhsa_dx10_clamp 1
		.amdhsa_ieee_mode 1
		.amdhsa_fp16_overflow 0
		.amdhsa_tg_split 0
		.amdhsa_exception_fp_ieee_invalid_op 0
		.amdhsa_exception_fp_denorm_src 0
		.amdhsa_exception_fp_ieee_div_zero 0
		.amdhsa_exception_fp_ieee_overflow 0
		.amdhsa_exception_fp_ieee_underflow 0
		.amdhsa_exception_fp_ieee_inexact 0
		.amdhsa_exception_int_div_zero 0
	.end_amdhsa_kernel
	.section	.text._ZL24rocblas_dot_kernel_magsqIlLb1ELi1024ELi32ELb1E16rocblas_bfloat16PKS0_fEviT5_lT_liPT6_PT4_,"axG",@progbits,_ZL24rocblas_dot_kernel_magsqIlLb1ELi1024ELi32ELb1E16rocblas_bfloat16PKS0_fEviT5_lT_liPT6_PT4_,comdat
.Lfunc_end543:
	.size	_ZL24rocblas_dot_kernel_magsqIlLb1ELi1024ELi32ELb1E16rocblas_bfloat16PKS0_fEviT5_lT_liPT6_PT4_, .Lfunc_end543-_ZL24rocblas_dot_kernel_magsqIlLb1ELi1024ELi32ELb1E16rocblas_bfloat16PKS0_fEviT5_lT_liPT6_PT4_
                                        ; -- End function
	.section	.AMDGPU.csdata,"",@progbits
; Kernel info:
; codeLenInByte = 936
; NumSgprs: 24
; NumVgprs: 10
; NumAgprs: 0
; TotalNumVgprs: 10
; ScratchSize: 0
; MemoryBound: 0
; FloatMode: 240
; IeeeMode: 1
; LDSByteSize: 256 bytes/workgroup (compile time only)
; SGPRBlocks: 2
; VGPRBlocks: 1
; NumSGPRsForWavesPerEU: 24
; NumVGPRsForWavesPerEU: 10
; AccumOffset: 12
; Occupancy: 8
; WaveLimiterHint : 0
; COMPUTE_PGM_RSRC2:SCRATCH_EN: 0
; COMPUTE_PGM_RSRC2:USER_SGPR: 6
; COMPUTE_PGM_RSRC2:TRAP_HANDLER: 0
; COMPUTE_PGM_RSRC2:TGID_X_EN: 1
; COMPUTE_PGM_RSRC2:TGID_Y_EN: 0
; COMPUTE_PGM_RSRC2:TGID_Z_EN: 1
; COMPUTE_PGM_RSRC2:TIDIG_COMP_CNT: 0
; COMPUTE_PGM_RSRC3_GFX90A:ACCUM_OFFSET: 2
; COMPUTE_PGM_RSRC3_GFX90A:TG_SPLIT: 0
	.section	.text._ZL18rocblas_dot_kernelIlLb0ELi512ELi8ELb1E16rocblas_bfloat16PKS0_fEviT5_lT_lS3_lS4_liPT6_PT4_,"axG",@progbits,_ZL18rocblas_dot_kernelIlLb0ELi512ELi8ELb1E16rocblas_bfloat16PKS0_fEviT5_lT_lS3_lS4_liPT6_PT4_,comdat
	.globl	_ZL18rocblas_dot_kernelIlLb0ELi512ELi8ELb1E16rocblas_bfloat16PKS0_fEviT5_lT_lS3_lS4_liPT6_PT4_ ; -- Begin function _ZL18rocblas_dot_kernelIlLb0ELi512ELi8ELb1E16rocblas_bfloat16PKS0_fEviT5_lT_lS3_lS4_liPT6_PT4_
	.p2align	8
	.type	_ZL18rocblas_dot_kernelIlLb0ELi512ELi8ELb1E16rocblas_bfloat16PKS0_fEviT5_lT_lS3_lS4_liPT6_PT4_,@function
_ZL18rocblas_dot_kernelIlLb0ELi512ELi8ELb1E16rocblas_bfloat16PKS0_fEviT5_lT_lS3_lS4_liPT6_PT4_: ; @_ZL18rocblas_dot_kernelIlLb0ELi512ELi8ELb1E16rocblas_bfloat16PKS0_fEviT5_lT_lS3_lS4_liPT6_PT4_
; %bb.0:
	s_mov_b32 s2, s7
	s_load_dword s22, s[4:5], 0x60
	s_load_dword s7, s[4:5], 0x0
	s_load_dwordx4 s[16:19], s[4:5], 0x50
	v_lshl_or_b32 v4, s6, 9, v0
	s_mov_b32 s3, 0
	v_mov_b32_e32 v6, 0
	s_waitcnt lgkmcnt(0)
	v_cmp_gt_i32_e32 vcc, s7, v4
	s_and_saveexec_b64 s[20:21], vcc
	s_cbranch_execz .LBB544_4
; %bb.1:
	s_load_dwordx8 s[8:15], s[4:5], 0x20
	s_load_dwordx2 s[0:1], s[4:5], 0x8
	s_load_dwordx4 s[24:27], s[4:5], 0x10
	s_load_dwordx2 s[28:29], s[4:5], 0x40
	s_lshl_b32 s23, s22, 9
	v_ashrrev_i32_e32 v5, 31, v4
	v_add_u32_e32 v1, s23, v4
	s_waitcnt lgkmcnt(0)
	v_mad_u64_u32 v[2:3], s[4:5], s26, v4, 0
	s_mul_i32 s4, s9, s2
	s_mul_hi_u32 s5, s8, s2
	s_add_i32 s5, s5, s4
	s_mul_i32 s4, s8, s2
	s_lshl_b64 s[4:5], s[4:5], 1
	s_lshl_b64 s[8:9], s[24:25], 1
	s_add_u32 s0, s0, s8
	v_mul_lo_u32 v6, s27, v4
	v_mul_lo_u32 v7, s26, v5
	s_addc_u32 s1, s1, s9
	v_add3_u32 v3, v3, v7, v6
	s_add_u32 s0, s0, s4
	v_lshlrev_b64 v[2:3], 1, v[2:3]
	s_addc_u32 s1, s1, s5
	s_ashr_i32 s24, s23, 31
	v_mov_b32_e32 v6, s1
	v_add_co_u32_e32 v2, vcc, s0, v2
	s_mul_i32 s0, s26, s24
	s_mul_hi_u32 s1, s26, s23
	s_add_i32 s0, s1, s0
	s_mul_i32 s1, s27, s23
	s_add_i32 s1, s0, s1
	s_mul_i32 s0, s26, s23
	v_addc_co_u32_e32 v3, vcc, v6, v3, vcc
	s_lshl_b64 s[4:5], s[0:1], 1
	v_mul_lo_u32 v6, s15, v4
	v_mul_lo_u32 v7, s14, v5
	v_mad_u64_u32 v[4:5], s[0:1], s14, v4, 0
	s_mul_i32 s0, s29, s2
	s_mul_hi_u32 s1, s28, s2
	s_add_i32 s1, s1, s0
	s_mul_i32 s0, s28, s2
	s_lshl_b64 s[0:1], s[0:1], 1
	s_lshl_b64 s[8:9], s[12:13], 1
	s_add_u32 s8, s10, s8
	s_addc_u32 s9, s11, s9
	v_add3_u32 v5, v5, v7, v6
	s_add_u32 s0, s8, s0
	v_lshlrev_b64 v[4:5], 1, v[4:5]
	s_addc_u32 s1, s9, s1
	v_mov_b32_e32 v6, s1
	v_add_co_u32_e32 v4, vcc, s0, v4
	s_mul_i32 s0, s14, s24
	s_mul_hi_u32 s1, s14, s23
	s_add_i32 s0, s1, s0
	s_mul_i32 s1, s15, s23
	s_add_i32 s1, s0, s1
	s_mul_i32 s0, s14, s23
	s_lshl_b64 s[10:11], s[0:1], 1
	v_addc_co_u32_e32 v5, vcc, v6, v5, vcc
	s_mov_b64 s[8:9], 0
	v_mov_b32_e32 v6, 0
	v_mov_b32_e32 v7, s5
	;; [unrolled: 1-line block ×3, first 2 shown]
	s_mov_b32 s5, s3
.LBB544_2:                              ; =>This Inner Loop Header: Depth=1
	global_load_ushort v9, v[4:5], off
	global_load_ushort v10, v[2:3], off
	v_add_co_u32_e64 v2, s[0:1], s4, v2
	v_addc_co_u32_e64 v3, s[0:1], v3, v7, s[0:1]
	s_add_i32 s11, s5, 1
	v_add_co_u32_e64 v4, s[0:1], s10, v4
	v_addc_co_u32_e64 v5, s[0:1], v5, v8, s[0:1]
	s_cmp_gt_u32 s5, 6
	v_cmp_le_i32_e32 vcc, s7, v1
	s_cselect_b64 s[0:1], -1, 0
	s_or_b64 s[0:1], s[0:1], vcc
	s_and_b64 s[0:1], exec, s[0:1]
	v_add_u32_e32 v1, s23, v1
	s_mov_b32 s5, s11
	s_or_b64 s[8:9], s[0:1], s[8:9]
	s_waitcnt vmcnt(1)
	v_lshlrev_b32_e32 v9, 16, v9
	s_waitcnt vmcnt(0)
	v_lshlrev_b32_e32 v10, 16, v10
	v_fmac_f32_e32 v6, v10, v9
	s_andn2_b64 exec, exec, s[8:9]
	s_cbranch_execnz .LBB544_2
; %bb.3:
	s_or_b64 exec, exec, s[8:9]
.LBB544_4:
	s_or_b64 exec, exec, s[20:21]
	v_and_b32_e32 v1, 63, v0
	v_cmp_gt_u32_e32 vcc, 64, v0
	v_lshlrev_b32_e32 v2, 2, v1
	s_and_saveexec_b64 s[0:1], vcc
	s_cbranch_execz .LBB544_6
; %bb.5:
	v_mov_b32_e32 v3, 0
	ds_write_b32 v2, v3
.LBB544_6:
	s_or_b64 exec, exec, s[0:1]
	v_mbcnt_lo_u32_b32 v3, -1, 0
	v_mbcnt_hi_u32_b32 v5, -1, v3
	v_and_b32_e32 v7, 63, v5
	v_cmp_gt_u32_e64 s[0:1], 32, v7
	v_cndmask_b32_e64 v3, 0, 1, s[0:1]
	v_lshlrev_b32_e32 v3, 5, v3
	v_add_lshl_u32 v3, v3, v5, 2
	ds_bpermute_b32 v3, v3, v6
	v_cmp_gt_u32_e64 s[0:1], 48, v7
	v_cndmask_b32_e64 v4, 0, 1, s[0:1]
	v_lshlrev_b32_e32 v4, 4, v4
	v_add_lshl_u32 v4, v4, v5, 2
	s_waitcnt lgkmcnt(0)
	v_add_f32_e32 v3, v6, v3
	ds_bpermute_b32 v4, v4, v3
	v_cmp_gt_u32_e64 s[0:1], 56, v7
	v_cndmask_b32_e64 v6, 0, 1, s[0:1]
	v_lshlrev_b32_e32 v6, 3, v6
	v_cmp_gt_u32_e64 s[0:1], 60, v7
	s_waitcnt lgkmcnt(0)
	v_add_f32_e32 v3, v3, v4
	v_add_lshl_u32 v4, v6, v5, 2
	ds_bpermute_b32 v4, v4, v3
	v_cndmask_b32_e64 v6, 0, 1, s[0:1]
	v_lshlrev_b32_e32 v6, 2, v6
	v_cmp_gt_u32_e64 s[0:1], 62, v7
	v_cndmask_b32_e64 v8, 0, 1, s[0:1]
	s_waitcnt lgkmcnt(0)
	v_add_f32_e32 v4, v3, v4
	v_add_lshl_u32 v3, v6, v5, 2
	ds_bpermute_b32 v6, v3, v4
	v_lshlrev_b32_e32 v8, 1, v8
	v_cmp_ne_u32_e64 s[0:1], 63, v7
	s_waitcnt lgkmcnt(0)
	s_barrier
	v_add_f32_e32 v6, v4, v6
	v_add_lshl_u32 v4, v8, v5, 2
	ds_bpermute_b32 v8, v4, v6
	v_addc_co_u32_e64 v5, s[0:1], 0, v5, s[0:1]
	v_lshlrev_b32_e32 v5, 2, v5
	v_cmp_eq_u32_e64 s[0:1], 0, v1
	s_waitcnt lgkmcnt(0)
	v_add_f32_e32 v6, v6, v8
	ds_bpermute_b32 v7, v5, v6
	s_waitcnt lgkmcnt(0)
	s_and_saveexec_b64 s[4:5], s[0:1]
	s_cbranch_execz .LBB544_8
; %bb.7:
	v_add_f32_e32 v1, v6, v7
	v_lshrrev_b32_e32 v6, 4, v0
	v_and_b32_e32 v6, 28, v6
	ds_write_b32 v6, v1
.LBB544_8:
	s_or_b64 exec, exec, s[4:5]
	v_cmp_gt_u32_e64 s[0:1], 8, v0
	v_mov_b32_e32 v1, 0
	s_waitcnt lgkmcnt(0)
	s_barrier
	s_and_saveexec_b64 s[4:5], s[0:1]
	s_cbranch_execnz .LBB544_12
; %bb.9:
	s_or_b64 exec, exec, s[4:5]
	s_and_saveexec_b64 s[0:1], vcc
	s_cbranch_execnz .LBB544_13
.LBB544_10:
	s_or_b64 exec, exec, s[0:1]
	v_cmp_eq_u32_e32 vcc, 0, v0
	s_and_saveexec_b64 s[0:1], vcc
	s_cbranch_execnz .LBB544_14
.LBB544_11:
	s_endpgm
.LBB544_12:
	ds_read_b32 v1, v2
	s_or_b64 exec, exec, s[4:5]
	s_and_saveexec_b64 s[0:1], vcc
	s_cbranch_execz .LBB544_10
.LBB544_13:
	s_waitcnt lgkmcnt(0)
	ds_bpermute_b32 v2, v3, v1
	s_waitcnt lgkmcnt(0)
	v_add_f32_e32 v1, v1, v2
	ds_bpermute_b32 v2, v4, v1
	s_waitcnt lgkmcnt(0)
	v_add_f32_e32 v1, v1, v2
	;; [unrolled: 3-line block ×3, first 2 shown]
	s_or_b64 exec, exec, s[0:1]
	v_cmp_eq_u32_e32 vcc, 0, v0
	s_and_saveexec_b64 s[0:1], vcc
	s_cbranch_execz .LBB544_11
.LBB544_14:
	s_cmp_lg_u32 s22, 1
	s_mov_b64 s[0:1], -1
	s_cbranch_scc0 .LBB544_16
; %bb.15:
	s_mul_hi_u32 s1, s22, s2
	s_mul_i32 s0, s22, s2
	s_lshl_b64 s[0:1], s[0:1], 2
	s_mov_b32 s7, 0
	s_add_u32 s4, s16, s0
	s_addc_u32 s5, s17, s1
	s_lshl_b64 s[0:1], s[6:7], 2
	s_add_u32 s0, s4, s0
	s_addc_u32 s1, s5, s1
	v_mov_b32_e32 v0, 0
	s_waitcnt lgkmcnt(0)
	global_store_dword v0, v1, s[0:1]
	s_mov_b64 s[0:1], 0
.LBB544_16:
	s_andn2_b64 vcc, exec, s[0:1]
	s_cbranch_vccnz .LBB544_11
; %bb.17:
	s_mov_b32 s0, 0x7f800000
	s_waitcnt lgkmcnt(0)
	v_and_b32_e32 v0, 0x7f800000, v1
	v_cmp_ne_u32_e32 vcc, s0, v0
                                        ; implicit-def: $vgpr0
	s_and_saveexec_b64 s[0:1], vcc
	s_xor_b64 s[0:1], exec, s[0:1]
; %bb.18:
	v_bfe_u32 v0, v1, 16, 1
	s_movk_i32 s4, 0x7fff
	v_add3_u32 v0, v1, v0, s4
                                        ; implicit-def: $vgpr1
; %bb.19:
	s_andn2_saveexec_b64 s[0:1], s[0:1]
; %bb.20:
	v_mov_b32_e32 v0, 0
	v_or_b32_e32 v2, 0x10000, v1
	v_cmp_eq_u32_sdwa vcc, v1, v0 src0_sel:WORD_0 src1_sel:DWORD
	v_cndmask_b32_e32 v0, v2, v1, vcc
; %bb.21:
	s_or_b64 exec, exec, s[0:1]
	s_lshl_b64 s[0:1], s[2:3], 1
	s_add_u32 s0, s18, s0
	s_addc_u32 s1, s19, s1
	v_mov_b32_e32 v1, 0
	global_store_short_d16_hi v1, v0, s[0:1]
	s_endpgm
	.section	.rodata,"a",@progbits
	.p2align	6, 0x0
	.amdhsa_kernel _ZL18rocblas_dot_kernelIlLb0ELi512ELi8ELb1E16rocblas_bfloat16PKS0_fEviT5_lT_lS3_lS4_liPT6_PT4_
		.amdhsa_group_segment_fixed_size 256
		.amdhsa_private_segment_fixed_size 0
		.amdhsa_kernarg_size 352
		.amdhsa_user_sgpr_count 6
		.amdhsa_user_sgpr_private_segment_buffer 1
		.amdhsa_user_sgpr_dispatch_ptr 0
		.amdhsa_user_sgpr_queue_ptr 0
		.amdhsa_user_sgpr_kernarg_segment_ptr 1
		.amdhsa_user_sgpr_dispatch_id 0
		.amdhsa_user_sgpr_flat_scratch_init 0
		.amdhsa_user_sgpr_kernarg_preload_length 0
		.amdhsa_user_sgpr_kernarg_preload_offset 0
		.amdhsa_user_sgpr_private_segment_size 0
		.amdhsa_uses_dynamic_stack 0
		.amdhsa_system_sgpr_private_segment_wavefront_offset 0
		.amdhsa_system_sgpr_workgroup_id_x 1
		.amdhsa_system_sgpr_workgroup_id_y 0
		.amdhsa_system_sgpr_workgroup_id_z 1
		.amdhsa_system_sgpr_workgroup_info 0
		.amdhsa_system_vgpr_workitem_id 0
		.amdhsa_next_free_vgpr 11
		.amdhsa_next_free_sgpr 30
		.amdhsa_accum_offset 12
		.amdhsa_reserve_vcc 1
		.amdhsa_reserve_flat_scratch 0
		.amdhsa_float_round_mode_32 0
		.amdhsa_float_round_mode_16_64 0
		.amdhsa_float_denorm_mode_32 3
		.amdhsa_float_denorm_mode_16_64 3
		.amdhsa_dx10_clamp 1
		.amdhsa_ieee_mode 1
		.amdhsa_fp16_overflow 0
		.amdhsa_tg_split 0
		.amdhsa_exception_fp_ieee_invalid_op 0
		.amdhsa_exception_fp_denorm_src 0
		.amdhsa_exception_fp_ieee_div_zero 0
		.amdhsa_exception_fp_ieee_overflow 0
		.amdhsa_exception_fp_ieee_underflow 0
		.amdhsa_exception_fp_ieee_inexact 0
		.amdhsa_exception_int_div_zero 0
	.end_amdhsa_kernel
	.section	.text._ZL18rocblas_dot_kernelIlLb0ELi512ELi8ELb1E16rocblas_bfloat16PKS0_fEviT5_lT_lS3_lS4_liPT6_PT4_,"axG",@progbits,_ZL18rocblas_dot_kernelIlLb0ELi512ELi8ELb1E16rocblas_bfloat16PKS0_fEviT5_lT_lS3_lS4_liPT6_PT4_,comdat
.Lfunc_end544:
	.size	_ZL18rocblas_dot_kernelIlLb0ELi512ELi8ELb1E16rocblas_bfloat16PKS0_fEviT5_lT_lS3_lS4_liPT6_PT4_, .Lfunc_end544-_ZL18rocblas_dot_kernelIlLb0ELi512ELi8ELb1E16rocblas_bfloat16PKS0_fEviT5_lT_lS3_lS4_liPT6_PT4_
                                        ; -- End function
	.section	.AMDGPU.csdata,"",@progbits
; Kernel info:
; codeLenInByte = 1180
; NumSgprs: 34
; NumVgprs: 11
; NumAgprs: 0
; TotalNumVgprs: 11
; ScratchSize: 0
; MemoryBound: 0
; FloatMode: 240
; IeeeMode: 1
; LDSByteSize: 256 bytes/workgroup (compile time only)
; SGPRBlocks: 4
; VGPRBlocks: 1
; NumSGPRsForWavesPerEU: 34
; NumVGPRsForWavesPerEU: 11
; AccumOffset: 12
; Occupancy: 8
; WaveLimiterHint : 0
; COMPUTE_PGM_RSRC2:SCRATCH_EN: 0
; COMPUTE_PGM_RSRC2:USER_SGPR: 6
; COMPUTE_PGM_RSRC2:TRAP_HANDLER: 0
; COMPUTE_PGM_RSRC2:TGID_X_EN: 1
; COMPUTE_PGM_RSRC2:TGID_Y_EN: 0
; COMPUTE_PGM_RSRC2:TGID_Z_EN: 1
; COMPUTE_PGM_RSRC2:TIDIG_COMP_CNT: 0
; COMPUTE_PGM_RSRC3_GFX90A:ACCUM_OFFSET: 2
; COMPUTE_PGM_RSRC3_GFX90A:TG_SPLIT: 0
	.section	.text._ZL24rocblas_dot_kernel_magsqIlLb0ELi512ELi8ELb1E16rocblas_bfloat16PKS0_fEviT5_lT_liPT6_PT4_,"axG",@progbits,_ZL24rocblas_dot_kernel_magsqIlLb0ELi512ELi8ELb1E16rocblas_bfloat16PKS0_fEviT5_lT_liPT6_PT4_,comdat
	.globl	_ZL24rocblas_dot_kernel_magsqIlLb0ELi512ELi8ELb1E16rocblas_bfloat16PKS0_fEviT5_lT_liPT6_PT4_ ; -- Begin function _ZL24rocblas_dot_kernel_magsqIlLb0ELi512ELi8ELb1E16rocblas_bfloat16PKS0_fEviT5_lT_liPT6_PT4_
	.p2align	8
	.type	_ZL24rocblas_dot_kernel_magsqIlLb0ELi512ELi8ELb1E16rocblas_bfloat16PKS0_fEviT5_lT_liPT6_PT4_,@function
_ZL24rocblas_dot_kernel_magsqIlLb0ELi512ELi8ELb1E16rocblas_bfloat16PKS0_fEviT5_lT_liPT6_PT4_: ; @_ZL24rocblas_dot_kernel_magsqIlLb0ELi512ELi8ELb1E16rocblas_bfloat16PKS0_fEviT5_lT_liPT6_PT4_
; %bb.0:
	s_mov_b32 s2, s7
	s_load_dword s7, s[4:5], 0x0
	s_load_dwordx4 s[8:11], s[4:5], 0x30
	s_load_dword s16, s[4:5], 0x40
	v_lshl_or_b32 v2, s6, 9, v0
	s_mov_b32 s3, 0
	s_waitcnt lgkmcnt(0)
	v_cmp_gt_i32_e32 vcc, s7, v2
	v_mov_b32_e32 v1, 0
	s_and_saveexec_b64 s[12:13], vcc
	s_cbranch_execz .LBB545_4
; %bb.1:
	s_load_dwordx2 s[0:1], s[4:5], 0x8
	s_load_dwordx4 s[20:23], s[4:5], 0x10
	s_load_dwordx2 s[14:15], s[4:5], 0x20
	s_lshl_b32 s17, s16, 9
	v_add_u32_e32 v4, s17, v2
	v_ashrrev_i32_e32 v1, 31, v2
	s_waitcnt lgkmcnt(0)
	v_mul_lo_u32 v5, s23, v2
	v_mad_u64_u32 v[2:3], s[4:5], s22, v2, 0
	s_mul_i32 s4, s15, s2
	s_mul_hi_u32 s5, s14, s2
	s_add_i32 s5, s5, s4
	s_mul_i32 s4, s14, s2
	s_lshl_b64 s[4:5], s[4:5], 1
	s_lshl_b64 s[14:15], s[20:21], 1
	v_mul_lo_u32 v1, s22, v1
	s_add_u32 s0, s0, s14
	v_add3_u32 v3, v3, v1, v5
	s_addc_u32 s1, s1, s15
	v_lshlrev_b64 v[2:3], 1, v[2:3]
	s_add_u32 s0, s0, s4
	s_addc_u32 s1, s1, s5
	v_add_co_u32_e32 v2, vcc, s0, v2
	s_ashr_i32 s0, s17, 31
	v_mov_b32_e32 v1, s1
	s_mul_i32 s0, s22, s0
	s_mul_hi_u32 s1, s22, s17
	s_add_i32 s0, s1, s0
	s_mul_i32 s1, s23, s17
	s_add_i32 s1, s0, s1
	s_mul_i32 s0, s22, s17
	s_lshl_b64 s[14:15], s[0:1], 1
	v_addc_co_u32_e32 v3, vcc, v1, v3, vcc
	s_mov_b64 s[4:5], 0
	v_mov_b32_e32 v1, 0
	v_mov_b32_e32 v5, s15
	s_mov_b32 s15, s3
.LBB545_2:                              ; =>This Inner Loop Header: Depth=1
	global_load_ushort v6, v[2:3], off
	s_add_i32 s18, s15, 1
	v_add_co_u32_e64 v2, s[0:1], s14, v2
	v_addc_co_u32_e64 v3, s[0:1], v3, v5, s[0:1]
	s_cmp_gt_u32 s15, 6
	v_cmp_le_i32_e32 vcc, s7, v4
	s_cselect_b64 s[0:1], -1, 0
	s_or_b64 s[0:1], s[0:1], vcc
	s_and_b64 s[0:1], exec, s[0:1]
	v_add_u32_e32 v4, s17, v4
	s_mov_b32 s15, s18
	s_or_b64 s[4:5], s[0:1], s[4:5]
	s_waitcnt vmcnt(0)
	v_lshlrev_b32_e32 v6, 16, v6
	v_fmac_f32_e32 v1, v6, v6
	s_andn2_b64 exec, exec, s[4:5]
	s_cbranch_execnz .LBB545_2
; %bb.3:
	s_or_b64 exec, exec, s[4:5]
.LBB545_4:
	s_or_b64 exec, exec, s[12:13]
	v_and_b32_e32 v3, 63, v0
	v_cmp_gt_u32_e32 vcc, 64, v0
	v_lshlrev_b32_e32 v2, 2, v3
	s_and_saveexec_b64 s[0:1], vcc
	s_cbranch_execz .LBB545_6
; %bb.5:
	v_mov_b32_e32 v4, 0
	ds_write_b32 v2, v4
.LBB545_6:
	s_or_b64 exec, exec, s[0:1]
	v_mbcnt_lo_u32_b32 v4, -1, 0
	v_mbcnt_hi_u32_b32 v6, -1, v4
	v_and_b32_e32 v7, 63, v6
	v_cmp_gt_u32_e64 s[0:1], 32, v7
	v_cndmask_b32_e64 v4, 0, 1, s[0:1]
	v_lshlrev_b32_e32 v4, 5, v4
	v_add_lshl_u32 v4, v4, v6, 2
	ds_bpermute_b32 v4, v4, v1
	v_cmp_gt_u32_e64 s[0:1], 48, v7
	v_cndmask_b32_e64 v5, 0, 1, s[0:1]
	v_lshlrev_b32_e32 v5, 4, v5
	v_cmp_gt_u32_e64 s[0:1], 56, v7
	s_waitcnt lgkmcnt(0)
	v_add_f32_e32 v1, v1, v4
	v_add_lshl_u32 v4, v5, v6, 2
	ds_bpermute_b32 v4, v4, v1
	v_cndmask_b32_e64 v5, 0, 1, s[0:1]
	v_lshlrev_b32_e32 v5, 3, v5
	v_cmp_gt_u32_e64 s[0:1], 60, v7
	s_waitcnt lgkmcnt(0)
	v_add_f32_e32 v1, v1, v4
	v_add_lshl_u32 v4, v5, v6, 2
	ds_bpermute_b32 v4, v4, v1
	v_cndmask_b32_e64 v5, 0, 1, s[0:1]
	v_lshlrev_b32_e32 v5, 2, v5
	v_cmp_gt_u32_e64 s[0:1], 62, v7
	v_cndmask_b32_e64 v8, 0, 1, s[0:1]
	s_waitcnt lgkmcnt(0)
	v_add_f32_e32 v1, v1, v4
	v_add_lshl_u32 v4, v5, v6, 2
	ds_bpermute_b32 v5, v4, v1
	v_lshlrev_b32_e32 v8, 1, v8
	v_cmp_ne_u32_e64 s[0:1], 63, v7
	s_barrier
	s_waitcnt lgkmcnt(0)
	v_add_f32_e32 v1, v1, v5
	v_add_lshl_u32 v5, v8, v6, 2
	ds_bpermute_b32 v8, v5, v1
	v_addc_co_u32_e64 v6, s[0:1], 0, v6, s[0:1]
	v_lshlrev_b32_e32 v6, 2, v6
	v_cmp_eq_u32_e64 s[0:1], 0, v3
	s_waitcnt lgkmcnt(0)
	v_add_f32_e32 v1, v1, v8
	ds_bpermute_b32 v7, v6, v1
	s_and_saveexec_b64 s[4:5], s[0:1]
	s_cbranch_execz .LBB545_8
; %bb.7:
	v_lshrrev_b32_e32 v3, 4, v0
	s_waitcnt lgkmcnt(0)
	v_add_f32_e32 v1, v1, v7
	v_and_b32_e32 v3, 28, v3
	ds_write_b32 v3, v1
.LBB545_8:
	s_or_b64 exec, exec, s[4:5]
	v_cmp_gt_u32_e64 s[0:1], 8, v0
	v_mov_b32_e32 v1, 0
	s_waitcnt lgkmcnt(0)
	s_barrier
	s_and_saveexec_b64 s[4:5], s[0:1]
	s_cbranch_execnz .LBB545_12
; %bb.9:
	s_or_b64 exec, exec, s[4:5]
	s_and_saveexec_b64 s[0:1], vcc
	s_cbranch_execnz .LBB545_13
.LBB545_10:
	s_or_b64 exec, exec, s[0:1]
	v_cmp_eq_u32_e32 vcc, 0, v0
	s_and_saveexec_b64 s[0:1], vcc
	s_cbranch_execnz .LBB545_14
.LBB545_11:
	s_endpgm
.LBB545_12:
	ds_read_b32 v1, v2
	s_or_b64 exec, exec, s[4:5]
	s_and_saveexec_b64 s[0:1], vcc
	s_cbranch_execz .LBB545_10
.LBB545_13:
	s_waitcnt lgkmcnt(0)
	ds_bpermute_b32 v2, v4, v1
	s_waitcnt lgkmcnt(0)
	v_add_f32_e32 v1, v1, v2
	ds_bpermute_b32 v2, v5, v1
	s_waitcnt lgkmcnt(0)
	v_add_f32_e32 v1, v1, v2
	ds_bpermute_b32 v2, v6, v1
	s_waitcnt lgkmcnt(0)
	v_add_f32_e32 v1, v1, v2
	s_or_b64 exec, exec, s[0:1]
	v_cmp_eq_u32_e32 vcc, 0, v0
	s_and_saveexec_b64 s[0:1], vcc
	s_cbranch_execz .LBB545_11
.LBB545_14:
	s_cmp_lg_u32 s16, 1
	s_mov_b64 s[0:1], -1
	s_cbranch_scc0 .LBB545_16
; %bb.15:
	s_mul_hi_u32 s1, s16, s2
	s_mul_i32 s0, s16, s2
	s_lshl_b64 s[0:1], s[0:1], 2
	s_mov_b32 s7, 0
	s_add_u32 s4, s8, s0
	s_addc_u32 s5, s9, s1
	s_lshl_b64 s[0:1], s[6:7], 2
	s_add_u32 s0, s4, s0
	s_addc_u32 s1, s5, s1
	v_mov_b32_e32 v0, 0
	s_waitcnt lgkmcnt(0)
	global_store_dword v0, v1, s[0:1]
	s_mov_b64 s[0:1], 0
.LBB545_16:
	s_andn2_b64 vcc, exec, s[0:1]
	s_cbranch_vccnz .LBB545_11
; %bb.17:
	s_mov_b32 s0, 0x7f800000
	s_waitcnt lgkmcnt(0)
	v_and_b32_e32 v0, 0x7f800000, v1
	v_cmp_ne_u32_e32 vcc, s0, v0
                                        ; implicit-def: $vgpr0
	s_and_saveexec_b64 s[0:1], vcc
	s_xor_b64 s[0:1], exec, s[0:1]
; %bb.18:
	v_bfe_u32 v0, v1, 16, 1
	s_movk_i32 s4, 0x7fff
	v_add3_u32 v0, v1, v0, s4
                                        ; implicit-def: $vgpr1
; %bb.19:
	s_andn2_saveexec_b64 s[0:1], s[0:1]
; %bb.20:
	v_mov_b32_e32 v0, 0
	v_or_b32_e32 v2, 0x10000, v1
	v_cmp_eq_u32_sdwa vcc, v1, v0 src0_sel:WORD_0 src1_sel:DWORD
	v_cndmask_b32_e32 v0, v2, v1, vcc
; %bb.21:
	s_or_b64 exec, exec, s[0:1]
	s_lshl_b64 s[0:1], s[2:3], 1
	s_add_u32 s0, s10, s0
	s_addc_u32 s1, s11, s1
	v_mov_b32_e32 v1, 0
	global_store_short_d16_hi v1, v0, s[0:1]
	s_endpgm
	.section	.rodata,"a",@progbits
	.p2align	6, 0x0
	.amdhsa_kernel _ZL24rocblas_dot_kernel_magsqIlLb0ELi512ELi8ELb1E16rocblas_bfloat16PKS0_fEviT5_lT_liPT6_PT4_
		.amdhsa_group_segment_fixed_size 256
		.amdhsa_private_segment_fixed_size 0
		.amdhsa_kernarg_size 320
		.amdhsa_user_sgpr_count 6
		.amdhsa_user_sgpr_private_segment_buffer 1
		.amdhsa_user_sgpr_dispatch_ptr 0
		.amdhsa_user_sgpr_queue_ptr 0
		.amdhsa_user_sgpr_kernarg_segment_ptr 1
		.amdhsa_user_sgpr_dispatch_id 0
		.amdhsa_user_sgpr_flat_scratch_init 0
		.amdhsa_user_sgpr_kernarg_preload_length 0
		.amdhsa_user_sgpr_kernarg_preload_offset 0
		.amdhsa_user_sgpr_private_segment_size 0
		.amdhsa_uses_dynamic_stack 0
		.amdhsa_system_sgpr_private_segment_wavefront_offset 0
		.amdhsa_system_sgpr_workgroup_id_x 1
		.amdhsa_system_sgpr_workgroup_id_y 0
		.amdhsa_system_sgpr_workgroup_id_z 1
		.amdhsa_system_sgpr_workgroup_info 0
		.amdhsa_system_vgpr_workitem_id 0
		.amdhsa_next_free_vgpr 9
		.amdhsa_next_free_sgpr 24
		.amdhsa_accum_offset 12
		.amdhsa_reserve_vcc 1
		.amdhsa_reserve_flat_scratch 0
		.amdhsa_float_round_mode_32 0
		.amdhsa_float_round_mode_16_64 0
		.amdhsa_float_denorm_mode_32 3
		.amdhsa_float_denorm_mode_16_64 3
		.amdhsa_dx10_clamp 1
		.amdhsa_ieee_mode 1
		.amdhsa_fp16_overflow 0
		.amdhsa_tg_split 0
		.amdhsa_exception_fp_ieee_invalid_op 0
		.amdhsa_exception_fp_denorm_src 0
		.amdhsa_exception_fp_ieee_div_zero 0
		.amdhsa_exception_fp_ieee_overflow 0
		.amdhsa_exception_fp_ieee_underflow 0
		.amdhsa_exception_fp_ieee_inexact 0
		.amdhsa_exception_int_div_zero 0
	.end_amdhsa_kernel
	.section	.text._ZL24rocblas_dot_kernel_magsqIlLb0ELi512ELi8ELb1E16rocblas_bfloat16PKS0_fEviT5_lT_liPT6_PT4_,"axG",@progbits,_ZL24rocblas_dot_kernel_magsqIlLb0ELi512ELi8ELb1E16rocblas_bfloat16PKS0_fEviT5_lT_liPT6_PT4_,comdat
.Lfunc_end545:
	.size	_ZL24rocblas_dot_kernel_magsqIlLb0ELi512ELi8ELb1E16rocblas_bfloat16PKS0_fEviT5_lT_liPT6_PT4_, .Lfunc_end545-_ZL24rocblas_dot_kernel_magsqIlLb0ELi512ELi8ELb1E16rocblas_bfloat16PKS0_fEviT5_lT_liPT6_PT4_
                                        ; -- End function
	.section	.AMDGPU.csdata,"",@progbits
; Kernel info:
; codeLenInByte = 1016
; NumSgprs: 28
; NumVgprs: 9
; NumAgprs: 0
; TotalNumVgprs: 9
; ScratchSize: 0
; MemoryBound: 0
; FloatMode: 240
; IeeeMode: 1
; LDSByteSize: 256 bytes/workgroup (compile time only)
; SGPRBlocks: 3
; VGPRBlocks: 1
; NumSGPRsForWavesPerEU: 28
; NumVGPRsForWavesPerEU: 9
; AccumOffset: 12
; Occupancy: 8
; WaveLimiterHint : 0
; COMPUTE_PGM_RSRC2:SCRATCH_EN: 0
; COMPUTE_PGM_RSRC2:USER_SGPR: 6
; COMPUTE_PGM_RSRC2:TRAP_HANDLER: 0
; COMPUTE_PGM_RSRC2:TGID_X_EN: 1
; COMPUTE_PGM_RSRC2:TGID_Y_EN: 0
; COMPUTE_PGM_RSRC2:TGID_Z_EN: 1
; COMPUTE_PGM_RSRC2:TIDIG_COMP_CNT: 0
; COMPUTE_PGM_RSRC3_GFX90A:ACCUM_OFFSET: 2
; COMPUTE_PGM_RSRC3_GFX90A:TG_SPLIT: 0
	.section	.text._ZL28rocblas_dot_batched_4_kernelIiLi32ELi4ELb1Ef16rocblas_bfloat16PKPKS0_EviT5_lT_lS5_lS6_liPT4_,"axG",@progbits,_ZL28rocblas_dot_batched_4_kernelIiLi32ELi4ELb1Ef16rocblas_bfloat16PKPKS0_EviT5_lT_lS5_lS6_liPT4_,comdat
	.globl	_ZL28rocblas_dot_batched_4_kernelIiLi32ELi4ELb1Ef16rocblas_bfloat16PKPKS0_EviT5_lT_lS5_lS6_liPT4_ ; -- Begin function _ZL28rocblas_dot_batched_4_kernelIiLi32ELi4ELb1Ef16rocblas_bfloat16PKPKS0_EviT5_lT_lS5_lS6_liPT4_
	.p2align	8
	.type	_ZL28rocblas_dot_batched_4_kernelIiLi32ELi4ELb1Ef16rocblas_bfloat16PKPKS0_EviT5_lT_lS5_lS6_liPT4_,@function
_ZL28rocblas_dot_batched_4_kernelIiLi32ELi4ELb1Ef16rocblas_bfloat16PKPKS0_EviT5_lT_lS5_lS6_liPT4_: ; @_ZL28rocblas_dot_batched_4_kernelIiLi32ELi4ELb1Ef16rocblas_bfloat16PKPKS0_EviT5_lT_lS5_lS6_liPT4_
; %bb.0:
	s_load_dword s0, s[4:5], 0x48
	v_bfe_u32 v1, v0, 10, 10
	v_lshl_add_u32 v2, s6, 2, v1
	s_waitcnt lgkmcnt(0)
	v_cmp_gt_u32_e32 vcc, s0, v2
	s_and_saveexec_b64 s[0:1], vcc
	s_cbranch_execz .LBB546_11
; %bb.1:
	s_load_dword s14, s[4:5], 0x0
	s_load_dwordx2 s[6:7], s[4:5], 0x50
	v_mov_b32_e32 v3, 0
	v_and_b32_e32 v6, 0x3ff, v0
	v_mov_b32_e32 v7, v3
	s_waitcnt lgkmcnt(0)
	v_cmp_gt_i32_e32 vcc, s14, v6
	s_and_saveexec_b64 s[12:13], vcc
	s_cbranch_execz .LBB546_5
; %bb.2:
	s_load_dwordx4 s[0:3], s[4:5], 0x8
	s_load_dwordx4 s[8:11], s[4:5], 0x28
	v_lshlrev_b64 v[0:1], 3, v[2:3]
	s_load_dword s16, s[4:5], 0x18
	s_waitcnt lgkmcnt(0)
	v_mov_b32_e32 v5, s1
	v_add_co_u32_e32 v4, vcc, s0, v0
	v_addc_co_u32_e32 v5, vcc, v5, v1, vcc
	global_load_dwordx2 v[4:5], v[4:5], off
	v_mov_b32_e32 v7, s9
	v_add_co_u32_e32 v0, vcc, s8, v0
	v_addc_co_u32_e32 v1, vcc, v7, v1, vcc
	global_load_dwordx2 v[10:11], v[0:1], off
	s_load_dword s4, s[4:5], 0x38
	v_mad_i64_i32 v[0:1], s[8:9], s16, v6, 0
	s_lshl_b64 s[8:9], s[2:3], 1
	v_lshlrev_b64 v[0:1], 1, v[0:1]
	s_waitcnt lgkmcnt(0)
	v_mad_i64_i32 v[8:9], s[2:3], s4, v6, 0
	v_mov_b32_e32 v12, s9
	v_add_co_u32_e32 v0, vcc, s8, v0
	s_lshl_b64 s[10:11], s[10:11], 1
	v_lshlrev_b64 v[8:9], 1, v[8:9]
	v_addc_co_u32_e32 v1, vcc, v1, v12, vcc
	v_mov_b32_e32 v13, s11
	v_add_co_u32_e32 v12, vcc, s10, v8
	v_addc_co_u32_e32 v13, vcc, v9, v13, vcc
	s_ashr_i32 s17, s16, 31
	s_ashr_i32 s5, s4, 31
	s_lshl_b64 s[2:3], s[16:17], 6
	s_lshl_b64 s[4:5], s[4:5], 6
	s_mov_b64 s[0:1], 0
	v_mov_b32_e32 v7, 0
	v_mov_b32_e32 v8, s3
	;; [unrolled: 1-line block ×3, first 2 shown]
	s_waitcnt vmcnt(1)
	v_add_co_u32_e32 v0, vcc, v4, v0
	v_addc_co_u32_e32 v1, vcc, v5, v1, vcc
	s_waitcnt vmcnt(0)
	v_add_co_u32_e32 v4, vcc, v10, v12
	v_addc_co_u32_e32 v5, vcc, v11, v13, vcc
	v_mov_b32_e32 v10, v6
.LBB546_3:                              ; =>This Inner Loop Header: Depth=1
	global_load_ushort v11, v[0:1], off
	global_load_ushort v12, v[4:5], off
	v_add_co_u32_e32 v0, vcc, s2, v0
	v_addc_co_u32_e32 v1, vcc, v1, v8, vcc
	v_add_co_u32_e32 v4, vcc, s4, v4
	v_add_u32_e32 v10, 32, v10
	v_addc_co_u32_e32 v5, vcc, v5, v9, vcc
	v_cmp_le_i32_e32 vcc, s14, v10
	s_or_b64 s[0:1], vcc, s[0:1]
	s_waitcnt vmcnt(1)
	v_lshlrev_b32_e32 v11, 16, v11
	s_waitcnt vmcnt(0)
	v_lshlrev_b32_e32 v12, 16, v12
	v_fmac_f32_e32 v7, v12, v11
	s_andn2_b64 exec, exec, s[0:1]
	s_cbranch_execnz .LBB546_3
; %bb.4:
	s_or_b64 exec, exec, s[0:1]
.LBB546_5:
	s_or_b64 exec, exec, s[12:13]
	v_mbcnt_lo_u32_b32 v0, -1, 0
	v_mbcnt_hi_u32_b32 v0, -1, v0
	v_and_b32_e32 v1, 63, v0
	v_cmp_gt_u32_e32 vcc, 48, v1
	v_cndmask_b32_e64 v4, 0, 1, vcc
	v_lshlrev_b32_e32 v4, 4, v4
	v_add_lshl_u32 v4, v4, v0, 2
	ds_bpermute_b32 v4, v4, v7
	v_cmp_gt_u32_e32 vcc, 56, v1
	v_cndmask_b32_e64 v5, 0, 1, vcc
	v_lshlrev_b32_e32 v5, 3, v5
	v_add_lshl_u32 v5, v5, v0, 2
	s_waitcnt lgkmcnt(0)
	v_add_f32_e32 v4, v7, v4
	ds_bpermute_b32 v5, v5, v4
	v_cmp_gt_u32_e32 vcc, 60, v1
	v_cndmask_b32_e64 v7, 0, 1, vcc
	v_lshlrev_b32_e32 v7, 2, v7
	v_cmp_gt_u32_e32 vcc, 62, v1
	s_waitcnt lgkmcnt(0)
	v_add_f32_e32 v4, v4, v5
	v_add_lshl_u32 v5, v7, v0, 2
	ds_bpermute_b32 v5, v5, v4
	v_cndmask_b32_e64 v7, 0, 1, vcc
	v_lshlrev_b32_e32 v7, 1, v7
	v_cmp_ne_u32_e32 vcc, 63, v1
	v_addc_co_u32_e32 v1, vcc, 0, v0, vcc
	s_waitcnt lgkmcnt(0)
	v_add_f32_e32 v4, v4, v5
	v_add_lshl_u32 v5, v7, v0, 2
	ds_bpermute_b32 v5, v5, v4
	v_lshlrev_b32_e32 v1, 2, v1
	v_cmp_eq_u32_e32 vcc, 0, v6
	s_waitcnt lgkmcnt(0)
	s_barrier
	v_add_f32_e32 v0, v4, v5
	ds_bpermute_b32 v1, v1, v0
	s_waitcnt lgkmcnt(0)
	s_and_b64 exec, exec, vcc
	s_cbranch_execz .LBB546_11
; %bb.6:
	v_add_f32_e32 v1, v0, v1
	s_mov_b32 s0, 0x7f800000
	v_and_b32_e32 v0, 0x7f800000, v1
	v_cmp_ne_u32_e32 vcc, s0, v0
                                        ; implicit-def: $vgpr0
	s_and_saveexec_b64 s[0:1], vcc
	s_xor_b64 s[0:1], exec, s[0:1]
; %bb.7:
	v_bfe_u32 v0, v1, 16, 1
	s_movk_i32 s2, 0x7fff
	v_add3_u32 v0, v1, v0, s2
                                        ; implicit-def: $vgpr1
; %bb.8:
	s_andn2_saveexec_b64 s[0:1], s[0:1]
; %bb.9:
	v_mov_b32_e32 v0, 0
	v_or_b32_e32 v4, 0x10000, v1
	v_cmp_eq_u32_sdwa vcc, v1, v0 src0_sel:WORD_0 src1_sel:DWORD
	v_cndmask_b32_e32 v0, v4, v1, vcc
; %bb.10:
	s_or_b64 exec, exec, s[0:1]
	v_lshlrev_b64 v[2:3], 1, v[2:3]
	v_mov_b32_e32 v1, s7
	v_add_co_u32_e32 v2, vcc, s6, v2
	v_addc_co_u32_e32 v3, vcc, v1, v3, vcc
	global_store_short_d16_hi v[2:3], v0, off
.LBB546_11:
	s_endpgm
	.section	.rodata,"a",@progbits
	.p2align	6, 0x0
	.amdhsa_kernel _ZL28rocblas_dot_batched_4_kernelIiLi32ELi4ELb1Ef16rocblas_bfloat16PKPKS0_EviT5_lT_lS5_lS6_liPT4_
		.amdhsa_group_segment_fixed_size 0
		.amdhsa_private_segment_fixed_size 0
		.amdhsa_kernarg_size 88
		.amdhsa_user_sgpr_count 6
		.amdhsa_user_sgpr_private_segment_buffer 1
		.amdhsa_user_sgpr_dispatch_ptr 0
		.amdhsa_user_sgpr_queue_ptr 0
		.amdhsa_user_sgpr_kernarg_segment_ptr 1
		.amdhsa_user_sgpr_dispatch_id 0
		.amdhsa_user_sgpr_flat_scratch_init 0
		.amdhsa_user_sgpr_kernarg_preload_length 0
		.amdhsa_user_sgpr_kernarg_preload_offset 0
		.amdhsa_user_sgpr_private_segment_size 0
		.amdhsa_uses_dynamic_stack 0
		.amdhsa_system_sgpr_private_segment_wavefront_offset 0
		.amdhsa_system_sgpr_workgroup_id_x 1
		.amdhsa_system_sgpr_workgroup_id_y 0
		.amdhsa_system_sgpr_workgroup_id_z 0
		.amdhsa_system_sgpr_workgroup_info 0
		.amdhsa_system_vgpr_workitem_id 1
		.amdhsa_next_free_vgpr 14
		.amdhsa_next_free_sgpr 18
		.amdhsa_accum_offset 16
		.amdhsa_reserve_vcc 1
		.amdhsa_reserve_flat_scratch 0
		.amdhsa_float_round_mode_32 0
		.amdhsa_float_round_mode_16_64 0
		.amdhsa_float_denorm_mode_32 3
		.amdhsa_float_denorm_mode_16_64 3
		.amdhsa_dx10_clamp 1
		.amdhsa_ieee_mode 1
		.amdhsa_fp16_overflow 0
		.amdhsa_tg_split 0
		.amdhsa_exception_fp_ieee_invalid_op 0
		.amdhsa_exception_fp_denorm_src 0
		.amdhsa_exception_fp_ieee_div_zero 0
		.amdhsa_exception_fp_ieee_overflow 0
		.amdhsa_exception_fp_ieee_underflow 0
		.amdhsa_exception_fp_ieee_inexact 0
		.amdhsa_exception_int_div_zero 0
	.end_amdhsa_kernel
	.section	.text._ZL28rocblas_dot_batched_4_kernelIiLi32ELi4ELb1Ef16rocblas_bfloat16PKPKS0_EviT5_lT_lS5_lS6_liPT4_,"axG",@progbits,_ZL28rocblas_dot_batched_4_kernelIiLi32ELi4ELb1Ef16rocblas_bfloat16PKPKS0_EviT5_lT_lS5_lS6_liPT4_,comdat
.Lfunc_end546:
	.size	_ZL28rocblas_dot_batched_4_kernelIiLi32ELi4ELb1Ef16rocblas_bfloat16PKPKS0_EviT5_lT_lS5_lS6_liPT4_, .Lfunc_end546-_ZL28rocblas_dot_batched_4_kernelIiLi32ELi4ELb1Ef16rocblas_bfloat16PKPKS0_EviT5_lT_lS5_lS6_liPT4_
                                        ; -- End function
	.section	.AMDGPU.csdata,"",@progbits
; Kernel info:
; codeLenInByte = 716
; NumSgprs: 22
; NumVgprs: 14
; NumAgprs: 0
; TotalNumVgprs: 14
; ScratchSize: 0
; MemoryBound: 0
; FloatMode: 240
; IeeeMode: 1
; LDSByteSize: 0 bytes/workgroup (compile time only)
; SGPRBlocks: 2
; VGPRBlocks: 1
; NumSGPRsForWavesPerEU: 22
; NumVGPRsForWavesPerEU: 14
; AccumOffset: 16
; Occupancy: 8
; WaveLimiterHint : 0
; COMPUTE_PGM_RSRC2:SCRATCH_EN: 0
; COMPUTE_PGM_RSRC2:USER_SGPR: 6
; COMPUTE_PGM_RSRC2:TRAP_HANDLER: 0
; COMPUTE_PGM_RSRC2:TGID_X_EN: 1
; COMPUTE_PGM_RSRC2:TGID_Y_EN: 0
; COMPUTE_PGM_RSRC2:TGID_Z_EN: 0
; COMPUTE_PGM_RSRC2:TIDIG_COMP_CNT: 1
; COMPUTE_PGM_RSRC3_GFX90A:ACCUM_OFFSET: 3
; COMPUTE_PGM_RSRC3_GFX90A:TG_SPLIT: 0
	.section	.text._ZL28rocblas_dot_batched_4_kernelIiLi64ELi4ELb1Ef16rocblas_bfloat16PKPKS0_EviT5_lT_lS5_lS6_liPT4_,"axG",@progbits,_ZL28rocblas_dot_batched_4_kernelIiLi64ELi4ELb1Ef16rocblas_bfloat16PKPKS0_EviT5_lT_lS5_lS6_liPT4_,comdat
	.globl	_ZL28rocblas_dot_batched_4_kernelIiLi64ELi4ELb1Ef16rocblas_bfloat16PKPKS0_EviT5_lT_lS5_lS6_liPT4_ ; -- Begin function _ZL28rocblas_dot_batched_4_kernelIiLi64ELi4ELb1Ef16rocblas_bfloat16PKPKS0_EviT5_lT_lS5_lS6_liPT4_
	.p2align	8
	.type	_ZL28rocblas_dot_batched_4_kernelIiLi64ELi4ELb1Ef16rocblas_bfloat16PKPKS0_EviT5_lT_lS5_lS6_liPT4_,@function
_ZL28rocblas_dot_batched_4_kernelIiLi64ELi4ELb1Ef16rocblas_bfloat16PKPKS0_EviT5_lT_lS5_lS6_liPT4_: ; @_ZL28rocblas_dot_batched_4_kernelIiLi64ELi4ELb1Ef16rocblas_bfloat16PKPKS0_EviT5_lT_lS5_lS6_liPT4_
; %bb.0:
	s_load_dword s0, s[4:5], 0x48
	v_bfe_u32 v1, v0, 10, 10
	v_lshl_add_u32 v2, s6, 2, v1
	s_waitcnt lgkmcnt(0)
	v_cmp_gt_u32_e32 vcc, s0, v2
	s_and_saveexec_b64 s[0:1], vcc
	s_cbranch_execz .LBB547_11
; %bb.1:
	s_load_dword s14, s[4:5], 0x0
	s_load_dwordx2 s[6:7], s[4:5], 0x50
	v_mov_b32_e32 v3, 0
	v_and_b32_e32 v6, 0x3ff, v0
	v_mov_b32_e32 v7, v3
	s_waitcnt lgkmcnt(0)
	v_cmp_gt_i32_e32 vcc, s14, v6
	s_and_saveexec_b64 s[12:13], vcc
	s_cbranch_execz .LBB547_5
; %bb.2:
	s_load_dwordx4 s[0:3], s[4:5], 0x8
	s_load_dwordx4 s[8:11], s[4:5], 0x28
	v_lshlrev_b64 v[0:1], 3, v[2:3]
	s_load_dword s16, s[4:5], 0x18
	s_waitcnt lgkmcnt(0)
	v_mov_b32_e32 v5, s1
	v_add_co_u32_e32 v4, vcc, s0, v0
	v_addc_co_u32_e32 v5, vcc, v5, v1, vcc
	global_load_dwordx2 v[4:5], v[4:5], off
	v_mov_b32_e32 v7, s9
	v_add_co_u32_e32 v0, vcc, s8, v0
	v_addc_co_u32_e32 v1, vcc, v7, v1, vcc
	global_load_dwordx2 v[10:11], v[0:1], off
	s_load_dword s4, s[4:5], 0x38
	v_mad_i64_i32 v[0:1], s[8:9], s16, v6, 0
	s_lshl_b64 s[8:9], s[2:3], 1
	v_lshlrev_b64 v[0:1], 1, v[0:1]
	s_waitcnt lgkmcnt(0)
	v_mad_i64_i32 v[8:9], s[2:3], s4, v6, 0
	v_mov_b32_e32 v12, s9
	v_add_co_u32_e32 v0, vcc, s8, v0
	s_lshl_b64 s[10:11], s[10:11], 1
	v_lshlrev_b64 v[8:9], 1, v[8:9]
	v_addc_co_u32_e32 v1, vcc, v1, v12, vcc
	v_mov_b32_e32 v13, s11
	v_add_co_u32_e32 v12, vcc, s10, v8
	v_addc_co_u32_e32 v13, vcc, v9, v13, vcc
	s_ashr_i32 s17, s16, 31
	s_ashr_i32 s5, s4, 31
	s_lshl_b64 s[2:3], s[16:17], 7
	s_lshl_b64 s[4:5], s[4:5], 7
	s_mov_b64 s[0:1], 0
	v_mov_b32_e32 v7, 0
	v_mov_b32_e32 v8, s3
	;; [unrolled: 1-line block ×3, first 2 shown]
	s_waitcnt vmcnt(1)
	v_add_co_u32_e32 v0, vcc, v4, v0
	v_addc_co_u32_e32 v1, vcc, v5, v1, vcc
	s_waitcnt vmcnt(0)
	v_add_co_u32_e32 v4, vcc, v10, v12
	v_addc_co_u32_e32 v5, vcc, v11, v13, vcc
	v_mov_b32_e32 v10, v6
.LBB547_3:                              ; =>This Inner Loop Header: Depth=1
	global_load_ushort v11, v[0:1], off
	global_load_ushort v12, v[4:5], off
	v_add_co_u32_e32 v0, vcc, s2, v0
	v_addc_co_u32_e32 v1, vcc, v1, v8, vcc
	v_add_co_u32_e32 v4, vcc, s4, v4
	v_add_u32_e32 v10, 64, v10
	v_addc_co_u32_e32 v5, vcc, v5, v9, vcc
	v_cmp_le_i32_e32 vcc, s14, v10
	s_or_b64 s[0:1], vcc, s[0:1]
	s_waitcnt vmcnt(1)
	v_lshlrev_b32_e32 v11, 16, v11
	s_waitcnt vmcnt(0)
	v_lshlrev_b32_e32 v12, 16, v12
	v_fmac_f32_e32 v7, v12, v11
	s_andn2_b64 exec, exec, s[0:1]
	s_cbranch_execnz .LBB547_3
; %bb.4:
	s_or_b64 exec, exec, s[0:1]
.LBB547_5:
	s_or_b64 exec, exec, s[12:13]
	v_mbcnt_lo_u32_b32 v0, -1, 0
	v_mbcnt_hi_u32_b32 v0, -1, v0
	v_and_b32_e32 v1, 63, v0
	v_cmp_gt_u32_e32 vcc, 32, v1
	v_cndmask_b32_e64 v4, 0, 1, vcc
	v_lshlrev_b32_e32 v4, 5, v4
	v_add_lshl_u32 v4, v4, v0, 2
	ds_bpermute_b32 v4, v4, v7
	v_cmp_gt_u32_e32 vcc, 48, v1
	v_cndmask_b32_e64 v5, 0, 1, vcc
	v_lshlrev_b32_e32 v5, 4, v5
	v_add_lshl_u32 v5, v5, v0, 2
	s_waitcnt lgkmcnt(0)
	v_add_f32_e32 v4, v7, v4
	ds_bpermute_b32 v5, v5, v4
	v_cmp_gt_u32_e32 vcc, 56, v1
	v_cndmask_b32_e64 v7, 0, 1, vcc
	v_lshlrev_b32_e32 v7, 3, v7
	v_cmp_gt_u32_e32 vcc, 60, v1
	s_waitcnt lgkmcnt(0)
	v_add_f32_e32 v4, v4, v5
	v_add_lshl_u32 v5, v7, v0, 2
	ds_bpermute_b32 v5, v5, v4
	v_cndmask_b32_e64 v7, 0, 1, vcc
	v_lshlrev_b32_e32 v7, 2, v7
	v_cmp_gt_u32_e32 vcc, 62, v1
	s_waitcnt lgkmcnt(0)
	v_add_f32_e32 v4, v4, v5
	v_add_lshl_u32 v5, v7, v0, 2
	ds_bpermute_b32 v5, v5, v4
	v_cndmask_b32_e64 v7, 0, 1, vcc
	v_lshlrev_b32_e32 v7, 1, v7
	v_cmp_ne_u32_e32 vcc, 63, v1
	v_addc_co_u32_e32 v1, vcc, 0, v0, vcc
	s_waitcnt lgkmcnt(0)
	v_add_f32_e32 v4, v4, v5
	v_add_lshl_u32 v5, v7, v0, 2
	ds_bpermute_b32 v5, v5, v4
	v_lshlrev_b32_e32 v1, 2, v1
	v_cmp_eq_u32_e32 vcc, 0, v6
	s_barrier
	s_waitcnt lgkmcnt(0)
	v_add_f32_e32 v0, v4, v5
	ds_bpermute_b32 v1, v1, v0
	s_and_b64 exec, exec, vcc
	s_cbranch_execz .LBB547_11
; %bb.6:
	s_waitcnt lgkmcnt(0)
	v_add_f32_e32 v1, v0, v1
	s_mov_b32 s0, 0x7f800000
	v_and_b32_e32 v0, 0x7f800000, v1
	v_cmp_ne_u32_e32 vcc, s0, v0
                                        ; implicit-def: $vgpr0
	s_and_saveexec_b64 s[0:1], vcc
	s_xor_b64 s[0:1], exec, s[0:1]
; %bb.7:
	v_bfe_u32 v0, v1, 16, 1
	s_movk_i32 s2, 0x7fff
	v_add3_u32 v0, v1, v0, s2
                                        ; implicit-def: $vgpr1
; %bb.8:
	s_andn2_saveexec_b64 s[0:1], s[0:1]
; %bb.9:
	v_mov_b32_e32 v0, 0
	v_or_b32_e32 v4, 0x10000, v1
	v_cmp_eq_u32_sdwa vcc, v1, v0 src0_sel:WORD_0 src1_sel:DWORD
	v_cndmask_b32_e32 v0, v4, v1, vcc
; %bb.10:
	s_or_b64 exec, exec, s[0:1]
	v_lshlrev_b64 v[2:3], 1, v[2:3]
	v_mov_b32_e32 v1, s7
	v_add_co_u32_e32 v2, vcc, s6, v2
	v_addc_co_u32_e32 v3, vcc, v1, v3, vcc
	global_store_short_d16_hi v[2:3], v0, off
.LBB547_11:
	s_endpgm
	.section	.rodata,"a",@progbits
	.p2align	6, 0x0
	.amdhsa_kernel _ZL28rocblas_dot_batched_4_kernelIiLi64ELi4ELb1Ef16rocblas_bfloat16PKPKS0_EviT5_lT_lS5_lS6_liPT4_
		.amdhsa_group_segment_fixed_size 0
		.amdhsa_private_segment_fixed_size 0
		.amdhsa_kernarg_size 88
		.amdhsa_user_sgpr_count 6
		.amdhsa_user_sgpr_private_segment_buffer 1
		.amdhsa_user_sgpr_dispatch_ptr 0
		.amdhsa_user_sgpr_queue_ptr 0
		.amdhsa_user_sgpr_kernarg_segment_ptr 1
		.amdhsa_user_sgpr_dispatch_id 0
		.amdhsa_user_sgpr_flat_scratch_init 0
		.amdhsa_user_sgpr_kernarg_preload_length 0
		.amdhsa_user_sgpr_kernarg_preload_offset 0
		.amdhsa_user_sgpr_private_segment_size 0
		.amdhsa_uses_dynamic_stack 0
		.amdhsa_system_sgpr_private_segment_wavefront_offset 0
		.amdhsa_system_sgpr_workgroup_id_x 1
		.amdhsa_system_sgpr_workgroup_id_y 0
		.amdhsa_system_sgpr_workgroup_id_z 0
		.amdhsa_system_sgpr_workgroup_info 0
		.amdhsa_system_vgpr_workitem_id 1
		.amdhsa_next_free_vgpr 14
		.amdhsa_next_free_sgpr 18
		.amdhsa_accum_offset 16
		.amdhsa_reserve_vcc 1
		.amdhsa_reserve_flat_scratch 0
		.amdhsa_float_round_mode_32 0
		.amdhsa_float_round_mode_16_64 0
		.amdhsa_float_denorm_mode_32 3
		.amdhsa_float_denorm_mode_16_64 3
		.amdhsa_dx10_clamp 1
		.amdhsa_ieee_mode 1
		.amdhsa_fp16_overflow 0
		.amdhsa_tg_split 0
		.amdhsa_exception_fp_ieee_invalid_op 0
		.amdhsa_exception_fp_denorm_src 0
		.amdhsa_exception_fp_ieee_div_zero 0
		.amdhsa_exception_fp_ieee_overflow 0
		.amdhsa_exception_fp_ieee_underflow 0
		.amdhsa_exception_fp_ieee_inexact 0
		.amdhsa_exception_int_div_zero 0
	.end_amdhsa_kernel
	.section	.text._ZL28rocblas_dot_batched_4_kernelIiLi64ELi4ELb1Ef16rocblas_bfloat16PKPKS0_EviT5_lT_lS5_lS6_liPT4_,"axG",@progbits,_ZL28rocblas_dot_batched_4_kernelIiLi64ELi4ELb1Ef16rocblas_bfloat16PKPKS0_EviT5_lT_lS5_lS6_liPT4_,comdat
.Lfunc_end547:
	.size	_ZL28rocblas_dot_batched_4_kernelIiLi64ELi4ELb1Ef16rocblas_bfloat16PKPKS0_EviT5_lT_lS5_lS6_liPT4_, .Lfunc_end547-_ZL28rocblas_dot_batched_4_kernelIiLi64ELi4ELb1Ef16rocblas_bfloat16PKPKS0_EviT5_lT_lS5_lS6_liPT4_
                                        ; -- End function
	.section	.AMDGPU.csdata,"",@progbits
; Kernel info:
; codeLenInByte = 756
; NumSgprs: 22
; NumVgprs: 14
; NumAgprs: 0
; TotalNumVgprs: 14
; ScratchSize: 0
; MemoryBound: 0
; FloatMode: 240
; IeeeMode: 1
; LDSByteSize: 0 bytes/workgroup (compile time only)
; SGPRBlocks: 2
; VGPRBlocks: 1
; NumSGPRsForWavesPerEU: 22
; NumVGPRsForWavesPerEU: 14
; AccumOffset: 16
; Occupancy: 8
; WaveLimiterHint : 0
; COMPUTE_PGM_RSRC2:SCRATCH_EN: 0
; COMPUTE_PGM_RSRC2:USER_SGPR: 6
; COMPUTE_PGM_RSRC2:TRAP_HANDLER: 0
; COMPUTE_PGM_RSRC2:TGID_X_EN: 1
; COMPUTE_PGM_RSRC2:TGID_Y_EN: 0
; COMPUTE_PGM_RSRC2:TGID_Z_EN: 0
; COMPUTE_PGM_RSRC2:TIDIG_COMP_CNT: 1
; COMPUTE_PGM_RSRC3_GFX90A:ACCUM_OFFSET: 3
; COMPUTE_PGM_RSRC3_GFX90A:TG_SPLIT: 0
	.section	.text._ZL26rocblas_dot_kernel_inc1by2ILb1ELi1024ELi32ELb1E16rocblas_bfloat16PKPKS0_fEviT4_llS5_lliPT5_PT3_,"axG",@progbits,_ZL26rocblas_dot_kernel_inc1by2ILb1ELi1024ELi32ELb1E16rocblas_bfloat16PKPKS0_fEviT4_llS5_lliPT5_PT3_,comdat
	.globl	_ZL26rocblas_dot_kernel_inc1by2ILb1ELi1024ELi32ELb1E16rocblas_bfloat16PKPKS0_fEviT4_llS5_lliPT5_PT3_ ; -- Begin function _ZL26rocblas_dot_kernel_inc1by2ILb1ELi1024ELi32ELb1E16rocblas_bfloat16PKPKS0_fEviT4_llS5_lliPT5_PT3_
	.p2align	8
	.type	_ZL26rocblas_dot_kernel_inc1by2ILb1ELi1024ELi32ELb1E16rocblas_bfloat16PKPKS0_fEviT4_llS5_lliPT5_PT3_,@function
_ZL26rocblas_dot_kernel_inc1by2ILb1ELi1024ELi32ELb1E16rocblas_bfloat16PKPKS0_fEviT4_llS5_lliPT5_PT3_: ; @_ZL26rocblas_dot_kernel_inc1by2ILb1ELi1024ELi32ELb1E16rocblas_bfloat16PKPKS0_fEviT4_llS5_lliPT5_PT3_
; %bb.0:
	s_load_dword s20, s[4:5], 0x0
	s_load_dwordx4 s[0:3], s[4:5], 0x8
	s_load_dwordx2 s[12:13], s[4:5], 0x48
	s_load_dwordx4 s[8:11], s[4:5], 0x20
	s_mov_b32 s6, s7
	s_mov_b32 s7, 0
	s_lshl_b64 s[14:15], s[6:7], 3
	s_waitcnt lgkmcnt(0)
	s_add_u32 s0, s0, s14
	s_addc_u32 s1, s1, s15
	s_load_dwordx2 s[4:5], s[0:1], 0x0
	s_add_u32 s0, s8, s14
	s_addc_u32 s1, s9, s15
	s_load_dwordx2 s[14:15], s[0:1], 0x0
	v_lshlrev_b32_e32 v6, 1, v0
	s_add_i32 s8, s20, -1
	v_cmp_gt_i32_e32 vcc, s8, v6
	v_mov_b32_e32 v1, 0
	s_and_saveexec_b64 s[16:17], vcc
	s_cbranch_execz .LBB548_4
; %bb.1:
	s_lshl_b64 s[0:1], s[10:11], 1
	s_waitcnt lgkmcnt(0)
	s_add_u32 s0, s14, s0
	v_lshlrev_b32_e32 v4, 2, v0
	s_addc_u32 s1, s15, s1
	v_mov_b32_e32 v3, s1
	v_add_co_u32_e32 v2, vcc, s0, v4
	s_lshl_b64 s[0:1], s[2:3], 1
	s_add_u32 s0, s4, s0
	v_addc_co_u32_e32 v3, vcc, 0, v3, vcc
	s_addc_u32 s1, s5, s1
	v_mov_b32_e32 v5, s1
	v_add_co_u32_e32 v4, vcc, s0, v4
	v_mov_b32_e32 v1, 0
	v_addc_co_u32_e32 v5, vcc, 0, v5, vcc
	s_mov_b64 s[18:19], 0
	s_mov_b32 s9, s7
.LBB548_2:                              ; =>This Inner Loop Header: Depth=1
	global_load_dword v7, v[2:3], off
	global_load_dword v10, v[4:5], off
	s_add_i32 s21, s9, 1
	v_add_u32_e32 v6, 0x800, v6
	s_cmp_gt_u32 s9, 30
	v_add_co_u32_e32 v2, vcc, 0x1000, v2
	v_cmp_le_i32_e64 s[0:1], s8, v6
	s_cselect_b64 s[22:23], -1, 0
	v_addc_co_u32_e32 v3, vcc, 0, v3, vcc
	s_or_b64 s[0:1], s[22:23], s[0:1]
	v_add_co_u32_e32 v4, vcc, 0x1000, v4
	s_and_b64 s[0:1], exec, s[0:1]
	s_mov_b32 s9, s21
	v_addc_co_u32_e32 v5, vcc, 0, v5, vcc
	s_or_b64 s[18:19], s[0:1], s[18:19]
	s_waitcnt vmcnt(1)
	v_and_b32_e32 v9, 0xffff0000, v7
	v_lshlrev_b32_e32 v8, 16, v7
	s_waitcnt vmcnt(0)
	v_and_b32_e32 v11, 0xffff0000, v10
	v_lshlrev_b32_e32 v10, 16, v10
	v_pk_mul_f32 v[8:9], v[8:9], v[10:11]
	v_add_f32_e32 v1, v1, v8
	v_add_f32_e32 v1, v1, v9
	s_andn2_b64 exec, exec, s[18:19]
	s_cbranch_execnz .LBB548_2
; %bb.3:
	s_or_b64 exec, exec, s[18:19]
.LBB548_4:
	s_or_b64 exec, exec, s[16:17]
	s_bitcmp1_b32 s20, 0
	s_cselect_b64 s[0:1], -1, 0
	v_cmp_eq_u32_e32 vcc, s8, v6
	s_and_b64 s[16:17], s[0:1], vcc
	s_and_saveexec_b64 s[0:1], s[16:17]
	s_cbranch_execz .LBB548_6
; %bb.5:
	s_lshl_b64 s[2:3], s[2:3], 1
	s_waitcnt lgkmcnt(0)
	s_add_u32 s16, s4, s2
	s_addc_u32 s17, s5, s3
	s_lshl_b64 s[2:3], s[10:11], 1
	s_add_u32 s4, s14, s2
	s_mov_b32 s9, 0
	s_addc_u32 s5, s15, s3
	s_lshl_b64 s[2:3], s[8:9], 1
	s_add_u32 s4, s4, s2
	s_addc_u32 s5, s5, s3
	v_mov_b32_e32 v2, 0
	s_add_u32 s2, s16, s2
	s_addc_u32 s3, s17, s3
	global_load_ushort v3, v2, s[4:5]
	global_load_ushort v4, v2, s[2:3]
	s_waitcnt vmcnt(1)
	v_lshlrev_b32_e32 v2, 16, v3
	s_waitcnt vmcnt(0)
	v_lshlrev_b32_e32 v3, 16, v4
	v_fmac_f32_e32 v1, v3, v2
.LBB548_6:
	s_or_b64 exec, exec, s[0:1]
	v_and_b32_e32 v3, 63, v0
	v_cmp_gt_u32_e32 vcc, 64, v0
	v_lshlrev_b32_e32 v2, 2, v3
	s_and_saveexec_b64 s[0:1], vcc
	s_cbranch_execz .LBB548_8
; %bb.7:
	v_mov_b32_e32 v4, 0
	ds_write_b32 v2, v4
.LBB548_8:
	s_or_b64 exec, exec, s[0:1]
	v_mbcnt_lo_u32_b32 v4, -1, 0
	v_mbcnt_hi_u32_b32 v6, -1, v4
	v_and_b32_e32 v7, 63, v6
	v_cmp_gt_u32_e64 s[0:1], 32, v7
	v_cndmask_b32_e64 v4, 0, 1, s[0:1]
	v_lshlrev_b32_e32 v4, 5, v4
	v_add_lshl_u32 v4, v4, v6, 2
	ds_bpermute_b32 v4, v4, v1
	v_cmp_gt_u32_e64 s[0:1], 48, v7
	v_cndmask_b32_e64 v5, 0, 1, s[0:1]
	v_lshlrev_b32_e32 v5, 4, v5
	v_cmp_gt_u32_e64 s[0:1], 56, v7
	s_waitcnt lgkmcnt(0)
	v_add_f32_e32 v1, v1, v4
	v_add_lshl_u32 v4, v5, v6, 2
	ds_bpermute_b32 v4, v4, v1
	v_cndmask_b32_e64 v5, 0, 1, s[0:1]
	v_lshlrev_b32_e32 v5, 3, v5
	v_cmp_gt_u32_e64 s[0:1], 60, v7
	v_cndmask_b32_e64 v8, 0, 1, s[0:1]
	s_waitcnt lgkmcnt(0)
	v_add_f32_e32 v4, v1, v4
	v_add_lshl_u32 v1, v5, v6, 2
	ds_bpermute_b32 v5, v1, v4
	v_lshlrev_b32_e32 v8, 2, v8
	v_cmp_gt_u32_e64 s[0:1], 62, v7
	v_cndmask_b32_e64 v9, 0, 1, s[0:1]
	v_lshlrev_b32_e32 v9, 1, v9
	s_waitcnt lgkmcnt(0)
	v_add_f32_e32 v5, v4, v5
	v_add_lshl_u32 v4, v8, v6, 2
	ds_bpermute_b32 v8, v4, v5
	v_cmp_ne_u32_e64 s[0:1], 63, v7
	s_waitcnt lgkmcnt(0)
	s_barrier
	v_add_f32_e32 v8, v5, v8
	v_add_lshl_u32 v5, v9, v6, 2
	ds_bpermute_b32 v9, v5, v8
	v_addc_co_u32_e64 v6, s[0:1], 0, v6, s[0:1]
	v_lshlrev_b32_e32 v6, 2, v6
	v_cmp_eq_u32_e64 s[0:1], 0, v3
	s_waitcnt lgkmcnt(0)
	v_add_f32_e32 v7, v8, v9
	ds_bpermute_b32 v8, v6, v7
	s_and_saveexec_b64 s[2:3], s[0:1]
	s_cbranch_execz .LBB548_10
; %bb.9:
	s_waitcnt lgkmcnt(0)
	v_add_f32_e32 v3, v7, v8
	v_lshrrev_b32_e32 v7, 4, v0
	v_and_b32_e32 v7, 60, v7
	ds_write_b32 v7, v3
.LBB548_10:
	s_or_b64 exec, exec, s[2:3]
	v_cmp_gt_u32_e64 s[0:1], 16, v0
	v_mov_b32_e32 v3, 0
	s_waitcnt lgkmcnt(0)
	s_barrier
	s_and_saveexec_b64 s[2:3], s[0:1]
	s_cbranch_execnz .LBB548_14
; %bb.11:
	s_or_b64 exec, exec, s[2:3]
	s_and_saveexec_b64 s[0:1], vcc
	s_cbranch_execnz .LBB548_15
.LBB548_12:
	s_or_b64 exec, exec, s[0:1]
	v_cmp_eq_u32_e32 vcc, 0, v0
	s_and_saveexec_b64 s[0:1], vcc
	s_cbranch_execnz .LBB548_16
.LBB548_13:
	s_endpgm
.LBB548_14:
	ds_read_b32 v3, v2
	s_or_b64 exec, exec, s[2:3]
	s_and_saveexec_b64 s[0:1], vcc
	s_cbranch_execz .LBB548_12
.LBB548_15:
	s_waitcnt lgkmcnt(0)
	ds_bpermute_b32 v1, v1, v3
	s_waitcnt lgkmcnt(0)
	v_add_f32_e32 v1, v3, v1
	ds_bpermute_b32 v2, v4, v1
	s_waitcnt lgkmcnt(0)
	v_add_f32_e32 v1, v1, v2
	;; [unrolled: 3-line block ×4, first 2 shown]
	s_or_b64 exec, exec, s[0:1]
	v_cmp_eq_u32_e32 vcc, 0, v0
	s_and_saveexec_b64 s[0:1], vcc
	s_cbranch_execz .LBB548_13
.LBB548_16:
	s_mov_b32 s0, 0x7f800000
	s_waitcnt lgkmcnt(0)
	v_and_b32_e32 v0, 0x7f800000, v3
	v_cmp_ne_u32_e32 vcc, s0, v0
                                        ; implicit-def: $vgpr0
	s_and_saveexec_b64 s[0:1], vcc
	s_xor_b64 s[0:1], exec, s[0:1]
; %bb.17:
	v_bfe_u32 v0, v3, 16, 1
	s_movk_i32 s2, 0x7fff
	v_add3_u32 v0, v3, v0, s2
                                        ; implicit-def: $vgpr3
; %bb.18:
	s_andn2_saveexec_b64 s[0:1], s[0:1]
; %bb.19:
	v_mov_b32_e32 v0, 0
	v_or_b32_e32 v1, 0x10000, v3
	v_cmp_eq_u32_sdwa vcc, v3, v0 src0_sel:WORD_0 src1_sel:DWORD
	v_cndmask_b32_e32 v0, v1, v3, vcc
; %bb.20:
	s_or_b64 exec, exec, s[0:1]
	s_lshl_b64 s[0:1], s[6:7], 1
	s_add_u32 s0, s12, s0
	s_addc_u32 s1, s13, s1
	v_mov_b32_e32 v1, 0
	global_store_short_d16_hi v1, v0, s[0:1]
	s_endpgm
	.section	.rodata,"a",@progbits
	.p2align	6, 0x0
	.amdhsa_kernel _ZL26rocblas_dot_kernel_inc1by2ILb1ELi1024ELi32ELb1E16rocblas_bfloat16PKPKS0_fEviT4_llS5_lliPT5_PT3_
		.amdhsa_group_segment_fixed_size 256
		.amdhsa_private_segment_fixed_size 0
		.amdhsa_kernarg_size 80
		.amdhsa_user_sgpr_count 6
		.amdhsa_user_sgpr_private_segment_buffer 1
		.amdhsa_user_sgpr_dispatch_ptr 0
		.amdhsa_user_sgpr_queue_ptr 0
		.amdhsa_user_sgpr_kernarg_segment_ptr 1
		.amdhsa_user_sgpr_dispatch_id 0
		.amdhsa_user_sgpr_flat_scratch_init 0
		.amdhsa_user_sgpr_kernarg_preload_length 0
		.amdhsa_user_sgpr_kernarg_preload_offset 0
		.amdhsa_user_sgpr_private_segment_size 0
		.amdhsa_uses_dynamic_stack 0
		.amdhsa_system_sgpr_private_segment_wavefront_offset 0
		.amdhsa_system_sgpr_workgroup_id_x 1
		.amdhsa_system_sgpr_workgroup_id_y 0
		.amdhsa_system_sgpr_workgroup_id_z 1
		.amdhsa_system_sgpr_workgroup_info 0
		.amdhsa_system_vgpr_workitem_id 0
		.amdhsa_next_free_vgpr 12
		.amdhsa_next_free_sgpr 24
		.amdhsa_accum_offset 12
		.amdhsa_reserve_vcc 1
		.amdhsa_reserve_flat_scratch 0
		.amdhsa_float_round_mode_32 0
		.amdhsa_float_round_mode_16_64 0
		.amdhsa_float_denorm_mode_32 3
		.amdhsa_float_denorm_mode_16_64 3
		.amdhsa_dx10_clamp 1
		.amdhsa_ieee_mode 1
		.amdhsa_fp16_overflow 0
		.amdhsa_tg_split 0
		.amdhsa_exception_fp_ieee_invalid_op 0
		.amdhsa_exception_fp_denorm_src 0
		.amdhsa_exception_fp_ieee_div_zero 0
		.amdhsa_exception_fp_ieee_overflow 0
		.amdhsa_exception_fp_ieee_underflow 0
		.amdhsa_exception_fp_ieee_inexact 0
		.amdhsa_exception_int_div_zero 0
	.end_amdhsa_kernel
	.section	.text._ZL26rocblas_dot_kernel_inc1by2ILb1ELi1024ELi32ELb1E16rocblas_bfloat16PKPKS0_fEviT4_llS5_lliPT5_PT3_,"axG",@progbits,_ZL26rocblas_dot_kernel_inc1by2ILb1ELi1024ELi32ELb1E16rocblas_bfloat16PKPKS0_fEviT4_llS5_lliPT5_PT3_,comdat
.Lfunc_end548:
	.size	_ZL26rocblas_dot_kernel_inc1by2ILb1ELi1024ELi32ELb1E16rocblas_bfloat16PKPKS0_fEviT4_llS5_lliPT5_PT3_, .Lfunc_end548-_ZL26rocblas_dot_kernel_inc1by2ILb1ELi1024ELi32ELb1E16rocblas_bfloat16PKPKS0_fEviT4_llS5_lliPT5_PT3_
                                        ; -- End function
	.section	.AMDGPU.csdata,"",@progbits
; Kernel info:
; codeLenInByte = 1068
; NumSgprs: 28
; NumVgprs: 12
; NumAgprs: 0
; TotalNumVgprs: 12
; ScratchSize: 0
; MemoryBound: 0
; FloatMode: 240
; IeeeMode: 1
; LDSByteSize: 256 bytes/workgroup (compile time only)
; SGPRBlocks: 3
; VGPRBlocks: 1
; NumSGPRsForWavesPerEU: 28
; NumVGPRsForWavesPerEU: 12
; AccumOffset: 12
; Occupancy: 8
; WaveLimiterHint : 1
; COMPUTE_PGM_RSRC2:SCRATCH_EN: 0
; COMPUTE_PGM_RSRC2:USER_SGPR: 6
; COMPUTE_PGM_RSRC2:TRAP_HANDLER: 0
; COMPUTE_PGM_RSRC2:TGID_X_EN: 1
; COMPUTE_PGM_RSRC2:TGID_Y_EN: 0
; COMPUTE_PGM_RSRC2:TGID_Z_EN: 1
; COMPUTE_PGM_RSRC2:TIDIG_COMP_CNT: 0
; COMPUTE_PGM_RSRC3_GFX90A:ACCUM_OFFSET: 2
; COMPUTE_PGM_RSRC3_GFX90A:TG_SPLIT: 0
	.section	.text._ZL18rocblas_dot_kernelIiLb1ELi1024ELi32ELb1E16rocblas_bfloat16PKPKS0_fEviT5_lT_lS5_lS6_liPT6_PT4_,"axG",@progbits,_ZL18rocblas_dot_kernelIiLb1ELi1024ELi32ELb1E16rocblas_bfloat16PKPKS0_fEviT5_lT_lS5_lS6_liPT6_PT4_,comdat
	.globl	_ZL18rocblas_dot_kernelIiLb1ELi1024ELi32ELb1E16rocblas_bfloat16PKPKS0_fEviT5_lT_lS5_lS6_liPT6_PT4_ ; -- Begin function _ZL18rocblas_dot_kernelIiLb1ELi1024ELi32ELb1E16rocblas_bfloat16PKPKS0_fEviT5_lT_lS5_lS6_liPT6_PT4_
	.p2align	8
	.type	_ZL18rocblas_dot_kernelIiLb1ELi1024ELi32ELb1E16rocblas_bfloat16PKPKS0_fEviT5_lT_lS5_lS6_liPT6_PT4_,@function
_ZL18rocblas_dot_kernelIiLb1ELi1024ELi32ELb1E16rocblas_bfloat16PKPKS0_fEviT5_lT_lS5_lS6_liPT6_PT4_: ; @_ZL18rocblas_dot_kernelIiLb1ELi1024ELi32ELb1E16rocblas_bfloat16PKPKS0_fEviT5_lT_lS5_lS6_liPT6_PT4_
; %bb.0:
	s_mov_b32 s2, s7
	s_load_dword s14, s[4:5], 0x0
	s_load_dwordx2 s[6:7], s[4:5], 0x58
	s_mov_b32 s3, 0
	v_mov_b32_e32 v1, 0
	s_waitcnt lgkmcnt(0)
	v_cmp_gt_i32_e32 vcc, s14, v0
	s_and_saveexec_b64 s[8:9], vcc
	s_cbranch_execz .LBB549_4
; %bb.1:
	s_load_dwordx4 s[16:19], s[4:5], 0x8
	s_load_dword s24, s[4:5], 0x18
	s_load_dwordx4 s[20:23], s[4:5], 0x28
	s_lshl_b64 s[0:1], s[2:3], 3
	s_waitcnt lgkmcnt(0)
	s_add_u32 s10, s16, s0
	s_addc_u32 s11, s17, s1
	s_load_dword s16, s[4:5], 0x38
	s_load_dword s15, s[4:5], 0x60
	s_load_dwordx2 s[12:13], s[10:11], 0x0
	s_add_u32 s0, s20, s0
	s_addc_u32 s1, s21, s1
	v_mad_i64_i32 v[2:3], s[4:5], s24, v0, 0
	s_load_dwordx2 s[0:1], s[0:1], 0x0
	s_waitcnt lgkmcnt(0)
	s_lshl_b32 s15, s15, 10
	s_lshl_b64 s[4:5], s[18:19], 1
	s_add_u32 s4, s12, s4
	v_lshlrev_b64 v[2:3], 1, v[2:3]
	s_addc_u32 s5, s13, s5
	v_mov_b32_e32 v1, s5
	v_add_co_u32_e32 v2, vcc, s4, v2
	s_mul_hi_i32 s5, s24, s15
	s_mul_i32 s4, s24, s15
	v_mad_i64_i32 v[4:5], s[10:11], s16, v0, 0
	s_lshl_b64 s[4:5], s[4:5], 1
	s_lshl_b64 s[10:11], s[22:23], 1
	s_add_u32 s0, s0, s10
	v_addc_co_u32_e32 v3, vcc, v1, v3, vcc
	v_lshlrev_b64 v[4:5], 1, v[4:5]
	s_addc_u32 s1, s1, s11
	v_mov_b32_e32 v1, s1
	v_add_co_u32_e32 v4, vcc, s0, v4
	s_mul_hi_i32 s1, s16, s15
	s_mul_i32 s0, s16, s15
	s_lshl_b64 s[12:13], s[0:1], 1
	v_or_b32_e32 v6, s15, v0
	v_addc_co_u32_e32 v5, vcc, v1, v5, vcc
	s_mov_b64 s[10:11], 0
	v_mov_b32_e32 v1, 0
	v_mov_b32_e32 v7, s5
	;; [unrolled: 1-line block ×3, first 2 shown]
	s_mov_b32 s5, s3
.LBB549_2:                              ; =>This Inner Loop Header: Depth=1
	global_load_ushort v9, v[4:5], off
	global_load_ushort v10, v[2:3], off
	v_add_co_u32_e64 v2, s[0:1], s4, v2
	v_addc_co_u32_e64 v3, s[0:1], v3, v7, s[0:1]
	s_add_i32 s13, s5, 1
	v_add_co_u32_e64 v4, s[0:1], s12, v4
	v_addc_co_u32_e64 v5, s[0:1], v5, v8, s[0:1]
	s_cmp_gt_u32 s5, 30
	v_cmp_le_i32_e32 vcc, s14, v6
	s_cselect_b64 s[0:1], -1, 0
	s_or_b64 s[0:1], s[0:1], vcc
	s_and_b64 s[0:1], exec, s[0:1]
	v_add_u32_e32 v6, s15, v6
	s_mov_b32 s5, s13
	s_or_b64 s[10:11], s[0:1], s[10:11]
	s_waitcnt vmcnt(1)
	v_lshlrev_b32_e32 v9, 16, v9
	s_waitcnt vmcnt(0)
	v_lshlrev_b32_e32 v10, 16, v10
	v_fmac_f32_e32 v1, v10, v9
	s_andn2_b64 exec, exec, s[10:11]
	s_cbranch_execnz .LBB549_2
; %bb.3:
	s_or_b64 exec, exec, s[10:11]
.LBB549_4:
	s_or_b64 exec, exec, s[8:9]
	v_and_b32_e32 v3, 63, v0
	v_cmp_gt_u32_e32 vcc, 64, v0
	v_lshlrev_b32_e32 v2, 2, v3
	s_and_saveexec_b64 s[0:1], vcc
	s_cbranch_execz .LBB549_6
; %bb.5:
	v_mov_b32_e32 v4, 0
	ds_write_b32 v2, v4
.LBB549_6:
	s_or_b64 exec, exec, s[0:1]
	v_mbcnt_lo_u32_b32 v4, -1, 0
	v_mbcnt_hi_u32_b32 v6, -1, v4
	v_and_b32_e32 v7, 63, v6
	v_cmp_gt_u32_e64 s[0:1], 32, v7
	v_cndmask_b32_e64 v4, 0, 1, s[0:1]
	v_lshlrev_b32_e32 v4, 5, v4
	v_add_lshl_u32 v4, v4, v6, 2
	ds_bpermute_b32 v4, v4, v1
	v_cmp_gt_u32_e64 s[0:1], 48, v7
	v_cndmask_b32_e64 v5, 0, 1, s[0:1]
	v_lshlrev_b32_e32 v5, 4, v5
	v_cmp_gt_u32_e64 s[0:1], 56, v7
	s_waitcnt lgkmcnt(0)
	v_add_f32_e32 v1, v1, v4
	v_add_lshl_u32 v4, v5, v6, 2
	ds_bpermute_b32 v4, v4, v1
	v_cndmask_b32_e64 v5, 0, 1, s[0:1]
	v_lshlrev_b32_e32 v5, 3, v5
	v_cmp_gt_u32_e64 s[0:1], 60, v7
	v_cndmask_b32_e64 v8, 0, 1, s[0:1]
	s_waitcnt lgkmcnt(0)
	v_add_f32_e32 v4, v1, v4
	v_add_lshl_u32 v1, v5, v6, 2
	ds_bpermute_b32 v5, v1, v4
	v_lshlrev_b32_e32 v8, 2, v8
	v_cmp_gt_u32_e64 s[0:1], 62, v7
	v_cndmask_b32_e64 v9, 0, 1, s[0:1]
	v_lshlrev_b32_e32 v9, 1, v9
	s_waitcnt lgkmcnt(0)
	v_add_f32_e32 v5, v4, v5
	v_add_lshl_u32 v4, v8, v6, 2
	ds_bpermute_b32 v8, v4, v5
	v_cmp_ne_u32_e64 s[0:1], 63, v7
	s_waitcnt lgkmcnt(0)
	s_barrier
	v_add_f32_e32 v8, v5, v8
	v_add_lshl_u32 v5, v9, v6, 2
	ds_bpermute_b32 v9, v5, v8
	v_addc_co_u32_e64 v6, s[0:1], 0, v6, s[0:1]
	v_lshlrev_b32_e32 v6, 2, v6
	v_cmp_eq_u32_e64 s[0:1], 0, v3
	s_waitcnt lgkmcnt(0)
	v_add_f32_e32 v7, v8, v9
	ds_bpermute_b32 v8, v6, v7
	s_and_saveexec_b64 s[4:5], s[0:1]
	s_cbranch_execz .LBB549_8
; %bb.7:
	s_waitcnt lgkmcnt(0)
	v_add_f32_e32 v3, v7, v8
	v_lshrrev_b32_e32 v7, 4, v0
	v_and_b32_e32 v7, 60, v7
	ds_write_b32 v7, v3
.LBB549_8:
	s_or_b64 exec, exec, s[4:5]
	v_cmp_gt_u32_e64 s[0:1], 16, v0
	v_mov_b32_e32 v3, 0
	s_waitcnt lgkmcnt(0)
	s_barrier
	s_and_saveexec_b64 s[4:5], s[0:1]
	s_cbranch_execnz .LBB549_12
; %bb.9:
	s_or_b64 exec, exec, s[4:5]
	s_and_saveexec_b64 s[0:1], vcc
	s_cbranch_execnz .LBB549_13
.LBB549_10:
	s_or_b64 exec, exec, s[0:1]
	v_cmp_eq_u32_e32 vcc, 0, v0
	s_and_saveexec_b64 s[0:1], vcc
	s_cbranch_execnz .LBB549_14
.LBB549_11:
	s_endpgm
.LBB549_12:
	ds_read_b32 v3, v2
	s_or_b64 exec, exec, s[4:5]
	s_and_saveexec_b64 s[0:1], vcc
	s_cbranch_execz .LBB549_10
.LBB549_13:
	s_waitcnt lgkmcnt(0)
	ds_bpermute_b32 v1, v1, v3
	s_waitcnt lgkmcnt(0)
	v_add_f32_e32 v1, v3, v1
	ds_bpermute_b32 v2, v4, v1
	s_waitcnt lgkmcnt(0)
	v_add_f32_e32 v1, v1, v2
	;; [unrolled: 3-line block ×4, first 2 shown]
	s_or_b64 exec, exec, s[0:1]
	v_cmp_eq_u32_e32 vcc, 0, v0
	s_and_saveexec_b64 s[0:1], vcc
	s_cbranch_execz .LBB549_11
.LBB549_14:
	s_mov_b32 s0, 0x7f800000
	s_waitcnt lgkmcnt(0)
	v_and_b32_e32 v0, 0x7f800000, v3
	v_cmp_ne_u32_e32 vcc, s0, v0
                                        ; implicit-def: $vgpr0
	s_and_saveexec_b64 s[0:1], vcc
	s_xor_b64 s[0:1], exec, s[0:1]
; %bb.15:
	v_bfe_u32 v0, v3, 16, 1
	s_movk_i32 s4, 0x7fff
	v_add3_u32 v0, v3, v0, s4
                                        ; implicit-def: $vgpr3
; %bb.16:
	s_andn2_saveexec_b64 s[0:1], s[0:1]
; %bb.17:
	v_mov_b32_e32 v0, 0
	v_or_b32_e32 v1, 0x10000, v3
	v_cmp_eq_u32_sdwa vcc, v3, v0 src0_sel:WORD_0 src1_sel:DWORD
	v_cndmask_b32_e32 v0, v1, v3, vcc
; %bb.18:
	s_or_b64 exec, exec, s[0:1]
	s_lshl_b64 s[0:1], s[2:3], 1
	s_add_u32 s0, s6, s0
	s_addc_u32 s1, s7, s1
	v_mov_b32_e32 v1, 0
	global_store_short_d16_hi v1, v0, s[0:1]
	s_endpgm
	.section	.rodata,"a",@progbits
	.p2align	6, 0x0
	.amdhsa_kernel _ZL18rocblas_dot_kernelIiLb1ELi1024ELi32ELb1E16rocblas_bfloat16PKPKS0_fEviT5_lT_lS5_lS6_liPT6_PT4_
		.amdhsa_group_segment_fixed_size 256
		.amdhsa_private_segment_fixed_size 0
		.amdhsa_kernarg_size 352
		.amdhsa_user_sgpr_count 6
		.amdhsa_user_sgpr_private_segment_buffer 1
		.amdhsa_user_sgpr_dispatch_ptr 0
		.amdhsa_user_sgpr_queue_ptr 0
		.amdhsa_user_sgpr_kernarg_segment_ptr 1
		.amdhsa_user_sgpr_dispatch_id 0
		.amdhsa_user_sgpr_flat_scratch_init 0
		.amdhsa_user_sgpr_kernarg_preload_length 0
		.amdhsa_user_sgpr_kernarg_preload_offset 0
		.amdhsa_user_sgpr_private_segment_size 0
		.amdhsa_uses_dynamic_stack 0
		.amdhsa_system_sgpr_private_segment_wavefront_offset 0
		.amdhsa_system_sgpr_workgroup_id_x 1
		.amdhsa_system_sgpr_workgroup_id_y 0
		.amdhsa_system_sgpr_workgroup_id_z 1
		.amdhsa_system_sgpr_workgroup_info 0
		.amdhsa_system_vgpr_workitem_id 0
		.amdhsa_next_free_vgpr 11
		.amdhsa_next_free_sgpr 25
		.amdhsa_accum_offset 12
		.amdhsa_reserve_vcc 1
		.amdhsa_reserve_flat_scratch 0
		.amdhsa_float_round_mode_32 0
		.amdhsa_float_round_mode_16_64 0
		.amdhsa_float_denorm_mode_32 3
		.amdhsa_float_denorm_mode_16_64 3
		.amdhsa_dx10_clamp 1
		.amdhsa_ieee_mode 1
		.amdhsa_fp16_overflow 0
		.amdhsa_tg_split 0
		.amdhsa_exception_fp_ieee_invalid_op 0
		.amdhsa_exception_fp_denorm_src 0
		.amdhsa_exception_fp_ieee_div_zero 0
		.amdhsa_exception_fp_ieee_overflow 0
		.amdhsa_exception_fp_ieee_underflow 0
		.amdhsa_exception_fp_ieee_inexact 0
		.amdhsa_exception_int_div_zero 0
	.end_amdhsa_kernel
	.section	.text._ZL18rocblas_dot_kernelIiLb1ELi1024ELi32ELb1E16rocblas_bfloat16PKPKS0_fEviT5_lT_lS5_lS6_liPT6_PT4_,"axG",@progbits,_ZL18rocblas_dot_kernelIiLb1ELi1024ELi32ELb1E16rocblas_bfloat16PKPKS0_fEviT5_lT_lS5_lS6_liPT6_PT4_,comdat
.Lfunc_end549:
	.size	_ZL18rocblas_dot_kernelIiLb1ELi1024ELi32ELb1E16rocblas_bfloat16PKPKS0_fEviT5_lT_lS5_lS6_liPT6_PT4_, .Lfunc_end549-_ZL18rocblas_dot_kernelIiLb1ELi1024ELi32ELb1E16rocblas_bfloat16PKPKS0_fEviT5_lT_lS5_lS6_liPT6_PT4_
                                        ; -- End function
	.section	.AMDGPU.csdata,"",@progbits
; Kernel info:
; codeLenInByte = 1008
; NumSgprs: 29
; NumVgprs: 11
; NumAgprs: 0
; TotalNumVgprs: 11
; ScratchSize: 0
; MemoryBound: 0
; FloatMode: 240
; IeeeMode: 1
; LDSByteSize: 256 bytes/workgroup (compile time only)
; SGPRBlocks: 3
; VGPRBlocks: 1
; NumSGPRsForWavesPerEU: 29
; NumVGPRsForWavesPerEU: 11
; AccumOffset: 12
; Occupancy: 8
; WaveLimiterHint : 0
; COMPUTE_PGM_RSRC2:SCRATCH_EN: 0
; COMPUTE_PGM_RSRC2:USER_SGPR: 6
; COMPUTE_PGM_RSRC2:TRAP_HANDLER: 0
; COMPUTE_PGM_RSRC2:TGID_X_EN: 1
; COMPUTE_PGM_RSRC2:TGID_Y_EN: 0
; COMPUTE_PGM_RSRC2:TGID_Z_EN: 1
; COMPUTE_PGM_RSRC2:TIDIG_COMP_CNT: 0
; COMPUTE_PGM_RSRC3_GFX90A:ACCUM_OFFSET: 2
; COMPUTE_PGM_RSRC3_GFX90A:TG_SPLIT: 0
	.section	.text._ZL24rocblas_dot_kernel_magsqIiLb1ELi1024ELi32ELb1E16rocblas_bfloat16PKPKS0_fEviT5_lT_liPT6_PT4_,"axG",@progbits,_ZL24rocblas_dot_kernel_magsqIiLb1ELi1024ELi32ELb1E16rocblas_bfloat16PKPKS0_fEviT5_lT_liPT6_PT4_,comdat
	.globl	_ZL24rocblas_dot_kernel_magsqIiLb1ELi1024ELi32ELb1E16rocblas_bfloat16PKPKS0_fEviT5_lT_liPT6_PT4_ ; -- Begin function _ZL24rocblas_dot_kernel_magsqIiLb1ELi1024ELi32ELb1E16rocblas_bfloat16PKPKS0_fEviT5_lT_liPT6_PT4_
	.p2align	8
	.type	_ZL24rocblas_dot_kernel_magsqIiLb1ELi1024ELi32ELb1E16rocblas_bfloat16PKPKS0_fEviT5_lT_liPT6_PT4_,@function
_ZL24rocblas_dot_kernel_magsqIiLb1ELi1024ELi32ELb1E16rocblas_bfloat16PKPKS0_fEviT5_lT_liPT6_PT4_: ; @_ZL24rocblas_dot_kernel_magsqIiLb1ELi1024ELi32ELb1E16rocblas_bfloat16PKPKS0_fEviT5_lT_liPT6_PT4_
; %bb.0:
	s_mov_b32 s2, s7
	s_load_dword s12, s[4:5], 0x0
	s_load_dwordx2 s[6:7], s[4:5], 0x38
	s_mov_b32 s3, 0
	v_mov_b32_e32 v1, 0
	s_waitcnt lgkmcnt(0)
	v_cmp_gt_i32_e32 vcc, s12, v0
	s_and_saveexec_b64 s[8:9], vcc
	s_cbranch_execz .LBB550_4
; %bb.1:
	s_load_dwordx4 s[16:19], s[4:5], 0x8
	s_load_dword s10, s[4:5], 0x40
	s_load_dword s11, s[4:5], 0x18
	s_lshl_b64 s[0:1], s[2:3], 3
	s_waitcnt lgkmcnt(0)
	s_add_u32 s0, s16, s0
	s_addc_u32 s1, s17, s1
	s_load_dwordx2 s[0:1], s[0:1], 0x0
	v_mad_i64_i32 v[2:3], s[4:5], s11, v0, 0
	s_lshl_b32 s13, s10, 10
	s_lshl_b64 s[4:5], s[18:19], 1
	s_waitcnt lgkmcnt(0)
	s_add_u32 s0, s0, s4
	v_lshlrev_b64 v[2:3], 1, v[2:3]
	s_addc_u32 s1, s1, s5
	v_mov_b32_e32 v1, s1
	v_add_co_u32_e32 v2, vcc, s0, v2
	s_mul_hi_i32 s1, s11, s13
	s_mul_i32 s0, s11, s13
	s_lshl_b64 s[10:11], s[0:1], 1
	v_or_b32_e32 v4, s13, v0
	v_addc_co_u32_e32 v3, vcc, v1, v3, vcc
	s_mov_b64 s[4:5], 0
	v_mov_b32_e32 v1, 0
	v_mov_b32_e32 v5, s11
	s_mov_b32 s11, s3
.LBB550_2:                              ; =>This Inner Loop Header: Depth=1
	global_load_ushort v6, v[2:3], off
	s_add_i32 s14, s11, 1
	v_add_co_u32_e64 v2, s[0:1], s10, v2
	v_addc_co_u32_e64 v3, s[0:1], v3, v5, s[0:1]
	s_cmp_gt_u32 s11, 30
	v_cmp_le_i32_e32 vcc, s12, v4
	s_cselect_b64 s[0:1], -1, 0
	s_or_b64 s[0:1], s[0:1], vcc
	s_and_b64 s[0:1], exec, s[0:1]
	v_add_u32_e32 v4, s13, v4
	s_mov_b32 s11, s14
	s_or_b64 s[4:5], s[0:1], s[4:5]
	s_waitcnt vmcnt(0)
	v_lshlrev_b32_e32 v6, 16, v6
	v_fmac_f32_e32 v1, v6, v6
	s_andn2_b64 exec, exec, s[4:5]
	s_cbranch_execnz .LBB550_2
; %bb.3:
	s_or_b64 exec, exec, s[4:5]
.LBB550_4:
	s_or_b64 exec, exec, s[8:9]
	v_and_b32_e32 v3, 63, v0
	v_cmp_gt_u32_e32 vcc, 64, v0
	v_lshlrev_b32_e32 v2, 2, v3
	s_and_saveexec_b64 s[0:1], vcc
	s_cbranch_execz .LBB550_6
; %bb.5:
	v_mov_b32_e32 v4, 0
	ds_write_b32 v2, v4
.LBB550_6:
	s_or_b64 exec, exec, s[0:1]
	v_mbcnt_lo_u32_b32 v4, -1, 0
	v_mbcnt_hi_u32_b32 v6, -1, v4
	v_and_b32_e32 v7, 63, v6
	v_cmp_gt_u32_e64 s[0:1], 32, v7
	v_cndmask_b32_e64 v4, 0, 1, s[0:1]
	v_lshlrev_b32_e32 v4, 5, v4
	v_add_lshl_u32 v4, v4, v6, 2
	ds_bpermute_b32 v4, v4, v1
	v_cmp_gt_u32_e64 s[0:1], 48, v7
	v_cndmask_b32_e64 v5, 0, 1, s[0:1]
	v_lshlrev_b32_e32 v5, 4, v5
	v_cmp_gt_u32_e64 s[0:1], 56, v7
	s_waitcnt lgkmcnt(0)
	v_add_f32_e32 v1, v1, v4
	v_add_lshl_u32 v4, v5, v6, 2
	ds_bpermute_b32 v4, v4, v1
	v_cndmask_b32_e64 v5, 0, 1, s[0:1]
	v_lshlrev_b32_e32 v5, 3, v5
	v_cmp_gt_u32_e64 s[0:1], 60, v7
	v_cndmask_b32_e64 v8, 0, 1, s[0:1]
	s_waitcnt lgkmcnt(0)
	v_add_f32_e32 v4, v1, v4
	v_add_lshl_u32 v1, v5, v6, 2
	ds_bpermute_b32 v5, v1, v4
	v_lshlrev_b32_e32 v8, 2, v8
	v_cmp_gt_u32_e64 s[0:1], 62, v7
	v_cndmask_b32_e64 v9, 0, 1, s[0:1]
	v_lshlrev_b32_e32 v9, 1, v9
	s_waitcnt lgkmcnt(0)
	v_add_f32_e32 v5, v4, v5
	v_add_lshl_u32 v4, v8, v6, 2
	ds_bpermute_b32 v8, v4, v5
	v_cmp_ne_u32_e64 s[0:1], 63, v7
	s_waitcnt lgkmcnt(0)
	s_barrier
	v_add_f32_e32 v8, v5, v8
	v_add_lshl_u32 v5, v9, v6, 2
	ds_bpermute_b32 v9, v5, v8
	v_addc_co_u32_e64 v6, s[0:1], 0, v6, s[0:1]
	v_lshlrev_b32_e32 v6, 2, v6
	v_cmp_eq_u32_e64 s[0:1], 0, v3
	s_waitcnt lgkmcnt(0)
	v_add_f32_e32 v7, v8, v9
	ds_bpermute_b32 v8, v6, v7
	s_and_saveexec_b64 s[4:5], s[0:1]
	s_cbranch_execz .LBB550_8
; %bb.7:
	s_waitcnt lgkmcnt(0)
	v_add_f32_e32 v3, v7, v8
	v_lshrrev_b32_e32 v7, 4, v0
	v_and_b32_e32 v7, 60, v7
	ds_write_b32 v7, v3
.LBB550_8:
	s_or_b64 exec, exec, s[4:5]
	v_cmp_gt_u32_e64 s[0:1], 16, v0
	v_mov_b32_e32 v3, 0
	s_waitcnt lgkmcnt(0)
	s_barrier
	s_and_saveexec_b64 s[4:5], s[0:1]
	s_cbranch_execnz .LBB550_12
; %bb.9:
	s_or_b64 exec, exec, s[4:5]
	s_and_saveexec_b64 s[0:1], vcc
	s_cbranch_execnz .LBB550_13
.LBB550_10:
	s_or_b64 exec, exec, s[0:1]
	v_cmp_eq_u32_e32 vcc, 0, v0
	s_and_saveexec_b64 s[0:1], vcc
	s_cbranch_execnz .LBB550_14
.LBB550_11:
	s_endpgm
.LBB550_12:
	ds_read_b32 v3, v2
	s_or_b64 exec, exec, s[4:5]
	s_and_saveexec_b64 s[0:1], vcc
	s_cbranch_execz .LBB550_10
.LBB550_13:
	s_waitcnt lgkmcnt(0)
	ds_bpermute_b32 v1, v1, v3
	s_waitcnt lgkmcnt(0)
	v_add_f32_e32 v1, v3, v1
	ds_bpermute_b32 v2, v4, v1
	s_waitcnt lgkmcnt(0)
	v_add_f32_e32 v1, v1, v2
	;; [unrolled: 3-line block ×4, first 2 shown]
	s_or_b64 exec, exec, s[0:1]
	v_cmp_eq_u32_e32 vcc, 0, v0
	s_and_saveexec_b64 s[0:1], vcc
	s_cbranch_execz .LBB550_11
.LBB550_14:
	s_mov_b32 s0, 0x7f800000
	s_waitcnt lgkmcnt(0)
	v_and_b32_e32 v0, 0x7f800000, v3
	v_cmp_ne_u32_e32 vcc, s0, v0
                                        ; implicit-def: $vgpr0
	s_and_saveexec_b64 s[0:1], vcc
	s_xor_b64 s[0:1], exec, s[0:1]
; %bb.15:
	v_bfe_u32 v0, v3, 16, 1
	s_movk_i32 s4, 0x7fff
	v_add3_u32 v0, v3, v0, s4
                                        ; implicit-def: $vgpr3
; %bb.16:
	s_andn2_saveexec_b64 s[0:1], s[0:1]
; %bb.17:
	v_mov_b32_e32 v0, 0
	v_or_b32_e32 v1, 0x10000, v3
	v_cmp_eq_u32_sdwa vcc, v3, v0 src0_sel:WORD_0 src1_sel:DWORD
	v_cndmask_b32_e32 v0, v1, v3, vcc
; %bb.18:
	s_or_b64 exec, exec, s[0:1]
	s_lshl_b64 s[0:1], s[2:3], 1
	s_add_u32 s0, s6, s0
	s_addc_u32 s1, s7, s1
	v_mov_b32_e32 v1, 0
	global_store_short_d16_hi v1, v0, s[0:1]
	s_endpgm
	.section	.rodata,"a",@progbits
	.p2align	6, 0x0
	.amdhsa_kernel _ZL24rocblas_dot_kernel_magsqIiLb1ELi1024ELi32ELb1E16rocblas_bfloat16PKPKS0_fEviT5_lT_liPT6_PT4_
		.amdhsa_group_segment_fixed_size 256
		.amdhsa_private_segment_fixed_size 0
		.amdhsa_kernarg_size 320
		.amdhsa_user_sgpr_count 6
		.amdhsa_user_sgpr_private_segment_buffer 1
		.amdhsa_user_sgpr_dispatch_ptr 0
		.amdhsa_user_sgpr_queue_ptr 0
		.amdhsa_user_sgpr_kernarg_segment_ptr 1
		.amdhsa_user_sgpr_dispatch_id 0
		.amdhsa_user_sgpr_flat_scratch_init 0
		.amdhsa_user_sgpr_kernarg_preload_length 0
		.amdhsa_user_sgpr_kernarg_preload_offset 0
		.amdhsa_user_sgpr_private_segment_size 0
		.amdhsa_uses_dynamic_stack 0
		.amdhsa_system_sgpr_private_segment_wavefront_offset 0
		.amdhsa_system_sgpr_workgroup_id_x 1
		.amdhsa_system_sgpr_workgroup_id_y 0
		.amdhsa_system_sgpr_workgroup_id_z 1
		.amdhsa_system_sgpr_workgroup_info 0
		.amdhsa_system_vgpr_workitem_id 0
		.amdhsa_next_free_vgpr 10
		.amdhsa_next_free_sgpr 20
		.amdhsa_accum_offset 12
		.amdhsa_reserve_vcc 1
		.amdhsa_reserve_flat_scratch 0
		.amdhsa_float_round_mode_32 0
		.amdhsa_float_round_mode_16_64 0
		.amdhsa_float_denorm_mode_32 3
		.amdhsa_float_denorm_mode_16_64 3
		.amdhsa_dx10_clamp 1
		.amdhsa_ieee_mode 1
		.amdhsa_fp16_overflow 0
		.amdhsa_tg_split 0
		.amdhsa_exception_fp_ieee_invalid_op 0
		.amdhsa_exception_fp_denorm_src 0
		.amdhsa_exception_fp_ieee_div_zero 0
		.amdhsa_exception_fp_ieee_overflow 0
		.amdhsa_exception_fp_ieee_underflow 0
		.amdhsa_exception_fp_ieee_inexact 0
		.amdhsa_exception_int_div_zero 0
	.end_amdhsa_kernel
	.section	.text._ZL24rocblas_dot_kernel_magsqIiLb1ELi1024ELi32ELb1E16rocblas_bfloat16PKPKS0_fEviT5_lT_liPT6_PT4_,"axG",@progbits,_ZL24rocblas_dot_kernel_magsqIiLb1ELi1024ELi32ELb1E16rocblas_bfloat16PKPKS0_fEviT5_lT_liPT6_PT4_,comdat
.Lfunc_end550:
	.size	_ZL24rocblas_dot_kernel_magsqIiLb1ELi1024ELi32ELb1E16rocblas_bfloat16PKPKS0_fEviT5_lT_liPT6_PT4_, .Lfunc_end550-_ZL24rocblas_dot_kernel_magsqIiLb1ELi1024ELi32ELb1E16rocblas_bfloat16PKPKS0_fEviT5_lT_liPT6_PT4_
                                        ; -- End function
	.section	.AMDGPU.csdata,"",@progbits
; Kernel info:
; codeLenInByte = 888
; NumSgprs: 24
; NumVgprs: 10
; NumAgprs: 0
; TotalNumVgprs: 10
; ScratchSize: 0
; MemoryBound: 0
; FloatMode: 240
; IeeeMode: 1
; LDSByteSize: 256 bytes/workgroup (compile time only)
; SGPRBlocks: 2
; VGPRBlocks: 1
; NumSGPRsForWavesPerEU: 24
; NumVGPRsForWavesPerEU: 10
; AccumOffset: 12
; Occupancy: 8
; WaveLimiterHint : 0
; COMPUTE_PGM_RSRC2:SCRATCH_EN: 0
; COMPUTE_PGM_RSRC2:USER_SGPR: 6
; COMPUTE_PGM_RSRC2:TRAP_HANDLER: 0
; COMPUTE_PGM_RSRC2:TGID_X_EN: 1
; COMPUTE_PGM_RSRC2:TGID_Y_EN: 0
; COMPUTE_PGM_RSRC2:TGID_Z_EN: 1
; COMPUTE_PGM_RSRC2:TIDIG_COMP_CNT: 0
; COMPUTE_PGM_RSRC3_GFX90A:ACCUM_OFFSET: 2
; COMPUTE_PGM_RSRC3_GFX90A:TG_SPLIT: 0
	.section	.text._ZL23rocblas_dot_kernel_inc1ILb0ELi512ELi8ELb1E16rocblas_bfloat16PKPKS0_fEviT4_llS5_lliPT5_PT3_,"axG",@progbits,_ZL23rocblas_dot_kernel_inc1ILb0ELi512ELi8ELb1E16rocblas_bfloat16PKPKS0_fEviT4_llS5_lliPT5_PT3_,comdat
	.globl	_ZL23rocblas_dot_kernel_inc1ILb0ELi512ELi8ELb1E16rocblas_bfloat16PKPKS0_fEviT4_llS5_lliPT5_PT3_ ; -- Begin function _ZL23rocblas_dot_kernel_inc1ILb0ELi512ELi8ELb1E16rocblas_bfloat16PKPKS0_fEviT4_llS5_lliPT5_PT3_
	.p2align	8
	.type	_ZL23rocblas_dot_kernel_inc1ILb0ELi512ELi8ELb1E16rocblas_bfloat16PKPKS0_fEviT4_llS5_lliPT5_PT3_,@function
_ZL23rocblas_dot_kernel_inc1ILb0ELi512ELi8ELb1E16rocblas_bfloat16PKPKS0_fEviT4_llS5_lliPT5_PT3_: ; @_ZL23rocblas_dot_kernel_inc1ILb0ELi512ELi8ELb1E16rocblas_bfloat16PKPKS0_fEviT4_llS5_lliPT5_PT3_
; %bb.0:
	s_mov_b32 s2, s7
	s_load_dword s18, s[4:5], 0x50
	s_load_dword s7, s[4:5], 0x0
	s_load_dwordx4 s[8:11], s[4:5], 0x40
	v_lshl_or_b32 v4, s6, 9, v0
	s_mov_b32 s3, 0
	v_mov_b32_e32 v1, 0
	s_waitcnt lgkmcnt(0)
	v_cmp_gt_i32_e32 vcc, s7, v4
	s_and_saveexec_b64 s[12:13], vcc
	s_cbranch_execz .LBB551_4
; %bb.1:
	s_load_dwordx4 s[20:23], s[4:5], 0x8
	s_load_dwordx4 s[24:27], s[4:5], 0x20
	s_lshl_b64 s[0:1], s[2:3], 3
	v_ashrrev_i32_e32 v5, 31, v4
	v_lshlrev_b64 v[2:3], 1, v[4:5]
	s_waitcnt lgkmcnt(0)
	s_add_u32 s4, s20, s0
	s_addc_u32 s5, s21, s1
	s_load_dwordx2 s[14:15], s[4:5], 0x0
	s_lshl_b64 s[16:17], s[22:23], 1
	s_mov_b64 s[4:5], 0
	v_mov_b32_e32 v1, 0
	s_waitcnt lgkmcnt(0)
	s_add_u32 s19, s14, s16
	s_addc_u32 s14, s15, s17
	s_add_u32 s0, s24, s0
	s_addc_u32 s1, s25, s1
	s_load_dwordx2 s[0:1], s[0:1], 0x0
	v_mov_b32_e32 v5, s14
	s_lshl_b64 s[14:15], s[26:27], 1
	s_waitcnt lgkmcnt(0)
	s_add_u32 s20, s0, s14
	s_addc_u32 s0, s1, s15
	s_lshl_b32 s14, s18, 9
	s_ashr_i32 s15, s14, 31
	s_lshl_b64 s[16:17], s[14:15], 1
	v_add_u32_e32 v4, s14, v4
	v_mov_b32_e32 v6, s0
	v_mov_b32_e32 v7, s17
	s_mov_b32 s15, s3
.LBB551_2:                              ; =>This Inner Loop Header: Depth=1
	v_add_co_u32_e32 v8, vcc, s20, v2
	v_addc_co_u32_e32 v9, vcc, v6, v3, vcc
	v_add_co_u32_e32 v10, vcc, s19, v2
	v_addc_co_u32_e32 v11, vcc, v5, v3, vcc
	global_load_ushort v12, v[8:9], off
	global_load_ushort v13, v[10:11], off
	s_add_i32 s17, s15, 1
	v_add_co_u32_e64 v2, s[0:1], s16, v2
	v_addc_co_u32_e64 v3, s[0:1], v3, v7, s[0:1]
	s_cmp_gt_u32 s15, 6
	v_cmp_le_i32_e32 vcc, s7, v4
	s_cselect_b64 s[0:1], -1, 0
	s_or_b64 s[0:1], s[0:1], vcc
	s_and_b64 s[0:1], exec, s[0:1]
	v_add_u32_e32 v4, s14, v4
	s_mov_b32 s15, s17
	s_or_b64 s[4:5], s[0:1], s[4:5]
	s_waitcnt vmcnt(1)
	v_lshlrev_b32_e32 v8, 16, v12
	s_waitcnt vmcnt(0)
	v_lshlrev_b32_e32 v9, 16, v13
	v_fmac_f32_e32 v1, v9, v8
	s_andn2_b64 exec, exec, s[4:5]
	s_cbranch_execnz .LBB551_2
; %bb.3:
	s_or_b64 exec, exec, s[4:5]
.LBB551_4:
	s_or_b64 exec, exec, s[12:13]
	v_and_b32_e32 v3, 63, v0
	v_cmp_gt_u32_e32 vcc, 64, v0
	v_lshlrev_b32_e32 v2, 2, v3
	s_and_saveexec_b64 s[0:1], vcc
	s_cbranch_execz .LBB551_6
; %bb.5:
	v_mov_b32_e32 v4, 0
	ds_write_b32 v2, v4
.LBB551_6:
	s_or_b64 exec, exec, s[0:1]
	v_mbcnt_lo_u32_b32 v4, -1, 0
	v_mbcnt_hi_u32_b32 v6, -1, v4
	v_and_b32_e32 v7, 63, v6
	v_cmp_gt_u32_e64 s[0:1], 32, v7
	v_cndmask_b32_e64 v4, 0, 1, s[0:1]
	v_lshlrev_b32_e32 v4, 5, v4
	v_add_lshl_u32 v4, v4, v6, 2
	ds_bpermute_b32 v4, v4, v1
	v_cmp_gt_u32_e64 s[0:1], 48, v7
	v_cndmask_b32_e64 v5, 0, 1, s[0:1]
	v_lshlrev_b32_e32 v5, 4, v5
	v_cmp_gt_u32_e64 s[0:1], 56, v7
	s_waitcnt lgkmcnt(0)
	v_add_f32_e32 v1, v1, v4
	v_add_lshl_u32 v4, v5, v6, 2
	ds_bpermute_b32 v4, v4, v1
	v_cndmask_b32_e64 v5, 0, 1, s[0:1]
	v_lshlrev_b32_e32 v5, 3, v5
	v_cmp_gt_u32_e64 s[0:1], 60, v7
	s_waitcnt lgkmcnt(0)
	v_add_f32_e32 v1, v1, v4
	v_add_lshl_u32 v4, v5, v6, 2
	ds_bpermute_b32 v4, v4, v1
	v_cndmask_b32_e64 v5, 0, 1, s[0:1]
	v_lshlrev_b32_e32 v5, 2, v5
	v_cmp_gt_u32_e64 s[0:1], 62, v7
	v_cndmask_b32_e64 v8, 0, 1, s[0:1]
	s_waitcnt lgkmcnt(0)
	v_add_f32_e32 v1, v1, v4
	v_add_lshl_u32 v4, v5, v6, 2
	ds_bpermute_b32 v5, v4, v1
	v_lshlrev_b32_e32 v8, 1, v8
	v_cmp_ne_u32_e64 s[0:1], 63, v7
	s_barrier
	s_waitcnt lgkmcnt(0)
	v_add_f32_e32 v1, v1, v5
	v_add_lshl_u32 v5, v8, v6, 2
	ds_bpermute_b32 v8, v5, v1
	v_addc_co_u32_e64 v6, s[0:1], 0, v6, s[0:1]
	v_lshlrev_b32_e32 v6, 2, v6
	v_cmp_eq_u32_e64 s[0:1], 0, v3
	s_waitcnt lgkmcnt(0)
	v_add_f32_e32 v1, v1, v8
	ds_bpermute_b32 v7, v6, v1
	s_and_saveexec_b64 s[4:5], s[0:1]
	s_cbranch_execz .LBB551_8
; %bb.7:
	v_lshrrev_b32_e32 v3, 4, v0
	s_waitcnt lgkmcnt(0)
	v_add_f32_e32 v1, v1, v7
	v_and_b32_e32 v3, 28, v3
	ds_write_b32 v3, v1
.LBB551_8:
	s_or_b64 exec, exec, s[4:5]
	v_cmp_gt_u32_e64 s[0:1], 8, v0
	v_mov_b32_e32 v1, 0
	s_waitcnt lgkmcnt(0)
	s_barrier
	s_and_saveexec_b64 s[4:5], s[0:1]
	s_cbranch_execnz .LBB551_12
; %bb.9:
	s_or_b64 exec, exec, s[4:5]
	s_and_saveexec_b64 s[0:1], vcc
	s_cbranch_execnz .LBB551_13
.LBB551_10:
	s_or_b64 exec, exec, s[0:1]
	v_cmp_eq_u32_e32 vcc, 0, v0
	s_and_saveexec_b64 s[0:1], vcc
	s_cbranch_execnz .LBB551_14
.LBB551_11:
	s_endpgm
.LBB551_12:
	ds_read_b32 v1, v2
	s_or_b64 exec, exec, s[4:5]
	s_and_saveexec_b64 s[0:1], vcc
	s_cbranch_execz .LBB551_10
.LBB551_13:
	s_waitcnt lgkmcnt(0)
	ds_bpermute_b32 v2, v4, v1
	s_waitcnt lgkmcnt(0)
	v_add_f32_e32 v1, v1, v2
	ds_bpermute_b32 v2, v5, v1
	s_waitcnt lgkmcnt(0)
	v_add_f32_e32 v1, v1, v2
	;; [unrolled: 3-line block ×3, first 2 shown]
	s_or_b64 exec, exec, s[0:1]
	v_cmp_eq_u32_e32 vcc, 0, v0
	s_and_saveexec_b64 s[0:1], vcc
	s_cbranch_execz .LBB551_11
.LBB551_14:
	s_cmp_lg_u32 s18, 1
	s_mov_b64 s[0:1], -1
	s_cbranch_scc0 .LBB551_16
; %bb.15:
	s_mul_hi_u32 s1, s18, s2
	s_mul_i32 s0, s18, s2
	s_lshl_b64 s[0:1], s[0:1], 2
	s_mov_b32 s7, 0
	s_add_u32 s4, s8, s0
	s_addc_u32 s5, s9, s1
	s_lshl_b64 s[0:1], s[6:7], 2
	s_add_u32 s0, s4, s0
	s_addc_u32 s1, s5, s1
	v_mov_b32_e32 v0, 0
	s_waitcnt lgkmcnt(0)
	global_store_dword v0, v1, s[0:1]
	s_mov_b64 s[0:1], 0
.LBB551_16:
	s_andn2_b64 vcc, exec, s[0:1]
	s_cbranch_vccnz .LBB551_11
; %bb.17:
	s_mov_b32 s0, 0x7f800000
	s_waitcnt lgkmcnt(0)
	v_and_b32_e32 v0, 0x7f800000, v1
	v_cmp_ne_u32_e32 vcc, s0, v0
                                        ; implicit-def: $vgpr0
	s_and_saveexec_b64 s[0:1], vcc
	s_xor_b64 s[0:1], exec, s[0:1]
; %bb.18:
	v_bfe_u32 v0, v1, 16, 1
	s_movk_i32 s4, 0x7fff
	v_add3_u32 v0, v1, v0, s4
                                        ; implicit-def: $vgpr1
; %bb.19:
	s_andn2_saveexec_b64 s[0:1], s[0:1]
; %bb.20:
	v_mov_b32_e32 v0, 0
	v_or_b32_e32 v2, 0x10000, v1
	v_cmp_eq_u32_sdwa vcc, v1, v0 src0_sel:WORD_0 src1_sel:DWORD
	v_cndmask_b32_e32 v0, v2, v1, vcc
; %bb.21:
	s_or_b64 exec, exec, s[0:1]
	s_lshl_b64 s[0:1], s[2:3], 1
	s_add_u32 s0, s10, s0
	s_addc_u32 s1, s11, s1
	v_mov_b32_e32 v1, 0
	global_store_short_d16_hi v1, v0, s[0:1]
	s_endpgm
	.section	.rodata,"a",@progbits
	.p2align	6, 0x0
	.amdhsa_kernel _ZL23rocblas_dot_kernel_inc1ILb0ELi512ELi8ELb1E16rocblas_bfloat16PKPKS0_fEviT4_llS5_lliPT5_PT3_
		.amdhsa_group_segment_fixed_size 256
		.amdhsa_private_segment_fixed_size 0
		.amdhsa_kernarg_size 336
		.amdhsa_user_sgpr_count 6
		.amdhsa_user_sgpr_private_segment_buffer 1
		.amdhsa_user_sgpr_dispatch_ptr 0
		.amdhsa_user_sgpr_queue_ptr 0
		.amdhsa_user_sgpr_kernarg_segment_ptr 1
		.amdhsa_user_sgpr_dispatch_id 0
		.amdhsa_user_sgpr_flat_scratch_init 0
		.amdhsa_user_sgpr_kernarg_preload_length 0
		.amdhsa_user_sgpr_kernarg_preload_offset 0
		.amdhsa_user_sgpr_private_segment_size 0
		.amdhsa_uses_dynamic_stack 0
		.amdhsa_system_sgpr_private_segment_wavefront_offset 0
		.amdhsa_system_sgpr_workgroup_id_x 1
		.amdhsa_system_sgpr_workgroup_id_y 0
		.amdhsa_system_sgpr_workgroup_id_z 1
		.amdhsa_system_sgpr_workgroup_info 0
		.amdhsa_system_vgpr_workitem_id 0
		.amdhsa_next_free_vgpr 14
		.amdhsa_next_free_sgpr 28
		.amdhsa_accum_offset 16
		.amdhsa_reserve_vcc 1
		.amdhsa_reserve_flat_scratch 0
		.amdhsa_float_round_mode_32 0
		.amdhsa_float_round_mode_16_64 0
		.amdhsa_float_denorm_mode_32 3
		.amdhsa_float_denorm_mode_16_64 3
		.amdhsa_dx10_clamp 1
		.amdhsa_ieee_mode 1
		.amdhsa_fp16_overflow 0
		.amdhsa_tg_split 0
		.amdhsa_exception_fp_ieee_invalid_op 0
		.amdhsa_exception_fp_denorm_src 0
		.amdhsa_exception_fp_ieee_div_zero 0
		.amdhsa_exception_fp_ieee_overflow 0
		.amdhsa_exception_fp_ieee_underflow 0
		.amdhsa_exception_fp_ieee_inexact 0
		.amdhsa_exception_int_div_zero 0
	.end_amdhsa_kernel
	.section	.text._ZL23rocblas_dot_kernel_inc1ILb0ELi512ELi8ELb1E16rocblas_bfloat16PKPKS0_fEviT4_llS5_lliPT5_PT3_,"axG",@progbits,_ZL23rocblas_dot_kernel_inc1ILb0ELi512ELi8ELb1E16rocblas_bfloat16PKPKS0_fEviT4_llS5_lliPT5_PT3_,comdat
.Lfunc_end551:
	.size	_ZL23rocblas_dot_kernel_inc1ILb0ELi512ELi8ELb1E16rocblas_bfloat16PKPKS0_fEviT4_llS5_lliPT5_PT3_, .Lfunc_end551-_ZL23rocblas_dot_kernel_inc1ILb0ELi512ELi8ELb1E16rocblas_bfloat16PKPKS0_fEviT4_llS5_lliPT5_PT3_
                                        ; -- End function
	.section	.AMDGPU.csdata,"",@progbits
; Kernel info:
; codeLenInByte = 1008
; NumSgprs: 32
; NumVgprs: 14
; NumAgprs: 0
; TotalNumVgprs: 14
; ScratchSize: 0
; MemoryBound: 0
; FloatMode: 240
; IeeeMode: 1
; LDSByteSize: 256 bytes/workgroup (compile time only)
; SGPRBlocks: 3
; VGPRBlocks: 1
; NumSGPRsForWavesPerEU: 32
; NumVGPRsForWavesPerEU: 14
; AccumOffset: 16
; Occupancy: 8
; WaveLimiterHint : 1
; COMPUTE_PGM_RSRC2:SCRATCH_EN: 0
; COMPUTE_PGM_RSRC2:USER_SGPR: 6
; COMPUTE_PGM_RSRC2:TRAP_HANDLER: 0
; COMPUTE_PGM_RSRC2:TGID_X_EN: 1
; COMPUTE_PGM_RSRC2:TGID_Y_EN: 0
; COMPUTE_PGM_RSRC2:TGID_Z_EN: 1
; COMPUTE_PGM_RSRC2:TIDIG_COMP_CNT: 0
; COMPUTE_PGM_RSRC3_GFX90A:ACCUM_OFFSET: 3
; COMPUTE_PGM_RSRC3_GFX90A:TG_SPLIT: 0
	.section	.text._ZL18rocblas_dot_kernelIiLb0ELi512ELi8ELb1E16rocblas_bfloat16PKPKS0_fEviT5_lT_lS5_lS6_liPT6_PT4_,"axG",@progbits,_ZL18rocblas_dot_kernelIiLb0ELi512ELi8ELb1E16rocblas_bfloat16PKPKS0_fEviT5_lT_lS5_lS6_liPT6_PT4_,comdat
	.globl	_ZL18rocblas_dot_kernelIiLb0ELi512ELi8ELb1E16rocblas_bfloat16PKPKS0_fEviT5_lT_lS5_lS6_liPT6_PT4_ ; -- Begin function _ZL18rocblas_dot_kernelIiLb0ELi512ELi8ELb1E16rocblas_bfloat16PKPKS0_fEviT5_lT_lS5_lS6_liPT6_PT4_
	.p2align	8
	.type	_ZL18rocblas_dot_kernelIiLb0ELi512ELi8ELb1E16rocblas_bfloat16PKPKS0_fEviT5_lT_lS5_lS6_liPT6_PT4_,@function
_ZL18rocblas_dot_kernelIiLb0ELi512ELi8ELb1E16rocblas_bfloat16PKPKS0_fEviT5_lT_lS5_lS6_liPT6_PT4_: ; @_ZL18rocblas_dot_kernelIiLb0ELi512ELi8ELb1E16rocblas_bfloat16PKPKS0_fEviT5_lT_lS5_lS6_liPT6_PT4_
; %bb.0:
	s_mov_b32 s2, s7
	s_load_dword s18, s[4:5], 0x60
	s_load_dword s7, s[4:5], 0x0
	s_load_dwordx4 s[8:11], s[4:5], 0x50
	v_lshl_or_b32 v4, s6, 9, v0
	s_mov_b32 s3, 0
	v_mov_b32_e32 v1, 0
	s_waitcnt lgkmcnt(0)
	v_cmp_gt_i32_e32 vcc, s7, v4
	s_and_saveexec_b64 s[12:13], vcc
	s_cbranch_execz .LBB552_4
; %bb.1:
	s_load_dwordx4 s[20:23], s[4:5], 0x8
	s_load_dword s16, s[4:5], 0x18
	s_load_dwordx4 s[24:27], s[4:5], 0x28
	s_load_dword s17, s[4:5], 0x38
	s_lshl_b64 s[0:1], s[2:3], 3
	s_waitcnt lgkmcnt(0)
	s_add_u32 s4, s20, s0
	s_addc_u32 s5, s21, s1
	s_load_dwordx2 s[4:5], s[4:5], 0x0
	s_add_u32 s0, s24, s0
	s_addc_u32 s1, s25, s1
	v_mad_i64_i32 v[2:3], s[14:15], s16, v4, 0
	s_load_dwordx2 s[0:1], s[0:1], 0x0
	s_lshl_b32 s19, s18, 9
	s_lshl_b64 s[14:15], s[22:23], 1
	s_waitcnt lgkmcnt(0)
	s_add_u32 s4, s4, s14
	v_lshlrev_b64 v[2:3], 1, v[2:3]
	s_addc_u32 s5, s5, s15
	v_add_u32_e32 v6, s19, v4
	v_mov_b32_e32 v1, s5
	v_add_co_u32_e32 v2, vcc, s4, v2
	s_mul_hi_i32 s5, s16, s19
	s_mul_i32 s4, s16, s19
	v_mad_i64_i32 v[4:5], s[14:15], s17, v4, 0
	s_lshl_b64 s[4:5], s[4:5], 1
	s_lshl_b64 s[14:15], s[26:27], 1
	s_add_u32 s0, s0, s14
	v_addc_co_u32_e32 v3, vcc, v1, v3, vcc
	v_lshlrev_b64 v[4:5], 1, v[4:5]
	s_addc_u32 s1, s1, s15
	v_mov_b32_e32 v1, s1
	v_add_co_u32_e32 v4, vcc, s0, v4
	s_mul_hi_i32 s1, s17, s19
	s_mul_i32 s0, s17, s19
	s_lshl_b64 s[16:17], s[0:1], 1
	v_addc_co_u32_e32 v5, vcc, v1, v5, vcc
	s_mov_b64 s[14:15], 0
	v_mov_b32_e32 v1, 0
	v_mov_b32_e32 v7, s5
	;; [unrolled: 1-line block ×3, first 2 shown]
	s_mov_b32 s5, s3
.LBB552_2:                              ; =>This Inner Loop Header: Depth=1
	global_load_ushort v9, v[4:5], off
	global_load_ushort v10, v[2:3], off
	v_add_co_u32_e64 v2, s[0:1], s4, v2
	v_addc_co_u32_e64 v3, s[0:1], v3, v7, s[0:1]
	s_add_i32 s17, s5, 1
	v_add_co_u32_e64 v4, s[0:1], s16, v4
	v_addc_co_u32_e64 v5, s[0:1], v5, v8, s[0:1]
	s_cmp_gt_u32 s5, 6
	v_cmp_le_i32_e32 vcc, s7, v6
	s_cselect_b64 s[0:1], -1, 0
	s_or_b64 s[0:1], s[0:1], vcc
	s_and_b64 s[0:1], exec, s[0:1]
	v_add_u32_e32 v6, s19, v6
	s_mov_b32 s5, s17
	s_or_b64 s[14:15], s[0:1], s[14:15]
	s_waitcnt vmcnt(1)
	v_lshlrev_b32_e32 v9, 16, v9
	s_waitcnt vmcnt(0)
	v_lshlrev_b32_e32 v10, 16, v10
	v_fmac_f32_e32 v1, v10, v9
	s_andn2_b64 exec, exec, s[14:15]
	s_cbranch_execnz .LBB552_2
; %bb.3:
	s_or_b64 exec, exec, s[14:15]
.LBB552_4:
	s_or_b64 exec, exec, s[12:13]
	v_and_b32_e32 v3, 63, v0
	v_cmp_gt_u32_e32 vcc, 64, v0
	v_lshlrev_b32_e32 v2, 2, v3
	s_and_saveexec_b64 s[0:1], vcc
	s_cbranch_execz .LBB552_6
; %bb.5:
	v_mov_b32_e32 v4, 0
	ds_write_b32 v2, v4
.LBB552_6:
	s_or_b64 exec, exec, s[0:1]
	v_mbcnt_lo_u32_b32 v4, -1, 0
	v_mbcnt_hi_u32_b32 v6, -1, v4
	v_and_b32_e32 v7, 63, v6
	v_cmp_gt_u32_e64 s[0:1], 32, v7
	v_cndmask_b32_e64 v4, 0, 1, s[0:1]
	v_lshlrev_b32_e32 v4, 5, v4
	v_add_lshl_u32 v4, v4, v6, 2
	ds_bpermute_b32 v4, v4, v1
	v_cmp_gt_u32_e64 s[0:1], 48, v7
	v_cndmask_b32_e64 v5, 0, 1, s[0:1]
	v_lshlrev_b32_e32 v5, 4, v5
	v_cmp_gt_u32_e64 s[0:1], 56, v7
	s_waitcnt lgkmcnt(0)
	v_add_f32_e32 v1, v1, v4
	v_add_lshl_u32 v4, v5, v6, 2
	ds_bpermute_b32 v4, v4, v1
	v_cndmask_b32_e64 v5, 0, 1, s[0:1]
	v_lshlrev_b32_e32 v5, 3, v5
	v_cmp_gt_u32_e64 s[0:1], 60, v7
	s_waitcnt lgkmcnt(0)
	v_add_f32_e32 v1, v1, v4
	v_add_lshl_u32 v4, v5, v6, 2
	ds_bpermute_b32 v4, v4, v1
	v_cndmask_b32_e64 v5, 0, 1, s[0:1]
	v_lshlrev_b32_e32 v5, 2, v5
	v_cmp_gt_u32_e64 s[0:1], 62, v7
	v_cndmask_b32_e64 v8, 0, 1, s[0:1]
	s_waitcnt lgkmcnt(0)
	v_add_f32_e32 v1, v1, v4
	v_add_lshl_u32 v4, v5, v6, 2
	ds_bpermute_b32 v5, v4, v1
	v_lshlrev_b32_e32 v8, 1, v8
	v_cmp_ne_u32_e64 s[0:1], 63, v7
	s_barrier
	s_waitcnt lgkmcnt(0)
	v_add_f32_e32 v1, v1, v5
	v_add_lshl_u32 v5, v8, v6, 2
	ds_bpermute_b32 v8, v5, v1
	v_addc_co_u32_e64 v6, s[0:1], 0, v6, s[0:1]
	v_lshlrev_b32_e32 v6, 2, v6
	v_cmp_eq_u32_e64 s[0:1], 0, v3
	s_waitcnt lgkmcnt(0)
	v_add_f32_e32 v1, v1, v8
	ds_bpermute_b32 v7, v6, v1
	s_and_saveexec_b64 s[4:5], s[0:1]
	s_cbranch_execz .LBB552_8
; %bb.7:
	v_lshrrev_b32_e32 v3, 4, v0
	s_waitcnt lgkmcnt(0)
	v_add_f32_e32 v1, v1, v7
	v_and_b32_e32 v3, 28, v3
	ds_write_b32 v3, v1
.LBB552_8:
	s_or_b64 exec, exec, s[4:5]
	v_cmp_gt_u32_e64 s[0:1], 8, v0
	v_mov_b32_e32 v1, 0
	s_waitcnt lgkmcnt(0)
	s_barrier
	s_and_saveexec_b64 s[4:5], s[0:1]
	s_cbranch_execnz .LBB552_12
; %bb.9:
	s_or_b64 exec, exec, s[4:5]
	s_and_saveexec_b64 s[0:1], vcc
	s_cbranch_execnz .LBB552_13
.LBB552_10:
	s_or_b64 exec, exec, s[0:1]
	v_cmp_eq_u32_e32 vcc, 0, v0
	s_and_saveexec_b64 s[0:1], vcc
	s_cbranch_execnz .LBB552_14
.LBB552_11:
	s_endpgm
.LBB552_12:
	ds_read_b32 v1, v2
	s_or_b64 exec, exec, s[4:5]
	s_and_saveexec_b64 s[0:1], vcc
	s_cbranch_execz .LBB552_10
.LBB552_13:
	s_waitcnt lgkmcnt(0)
	ds_bpermute_b32 v2, v4, v1
	s_waitcnt lgkmcnt(0)
	v_add_f32_e32 v1, v1, v2
	ds_bpermute_b32 v2, v5, v1
	s_waitcnt lgkmcnt(0)
	v_add_f32_e32 v1, v1, v2
	;; [unrolled: 3-line block ×3, first 2 shown]
	s_or_b64 exec, exec, s[0:1]
	v_cmp_eq_u32_e32 vcc, 0, v0
	s_and_saveexec_b64 s[0:1], vcc
	s_cbranch_execz .LBB552_11
.LBB552_14:
	s_cmp_lg_u32 s18, 1
	s_mov_b64 s[0:1], -1
	s_cbranch_scc0 .LBB552_16
; %bb.15:
	s_mul_hi_u32 s1, s18, s2
	s_mul_i32 s0, s18, s2
	s_lshl_b64 s[0:1], s[0:1], 2
	s_mov_b32 s7, 0
	s_add_u32 s4, s8, s0
	s_addc_u32 s5, s9, s1
	s_lshl_b64 s[0:1], s[6:7], 2
	s_add_u32 s0, s4, s0
	s_addc_u32 s1, s5, s1
	v_mov_b32_e32 v0, 0
	s_waitcnt lgkmcnt(0)
	global_store_dword v0, v1, s[0:1]
	s_mov_b64 s[0:1], 0
.LBB552_16:
	s_andn2_b64 vcc, exec, s[0:1]
	s_cbranch_vccnz .LBB552_11
; %bb.17:
	s_mov_b32 s0, 0x7f800000
	s_waitcnt lgkmcnt(0)
	v_and_b32_e32 v0, 0x7f800000, v1
	v_cmp_ne_u32_e32 vcc, s0, v0
                                        ; implicit-def: $vgpr0
	s_and_saveexec_b64 s[0:1], vcc
	s_xor_b64 s[0:1], exec, s[0:1]
; %bb.18:
	v_bfe_u32 v0, v1, 16, 1
	s_movk_i32 s4, 0x7fff
	v_add3_u32 v0, v1, v0, s4
                                        ; implicit-def: $vgpr1
; %bb.19:
	s_andn2_saveexec_b64 s[0:1], s[0:1]
; %bb.20:
	v_mov_b32_e32 v0, 0
	v_or_b32_e32 v2, 0x10000, v1
	v_cmp_eq_u32_sdwa vcc, v1, v0 src0_sel:WORD_0 src1_sel:DWORD
	v_cndmask_b32_e32 v0, v2, v1, vcc
; %bb.21:
	s_or_b64 exec, exec, s[0:1]
	s_lshl_b64 s[0:1], s[2:3], 1
	s_add_u32 s0, s10, s0
	s_addc_u32 s1, s11, s1
	v_mov_b32_e32 v1, 0
	global_store_short_d16_hi v1, v0, s[0:1]
	s_endpgm
	.section	.rodata,"a",@progbits
	.p2align	6, 0x0
	.amdhsa_kernel _ZL18rocblas_dot_kernelIiLb0ELi512ELi8ELb1E16rocblas_bfloat16PKPKS0_fEviT5_lT_lS5_lS6_liPT6_PT4_
		.amdhsa_group_segment_fixed_size 256
		.amdhsa_private_segment_fixed_size 0
		.amdhsa_kernarg_size 352
		.amdhsa_user_sgpr_count 6
		.amdhsa_user_sgpr_private_segment_buffer 1
		.amdhsa_user_sgpr_dispatch_ptr 0
		.amdhsa_user_sgpr_queue_ptr 0
		.amdhsa_user_sgpr_kernarg_segment_ptr 1
		.amdhsa_user_sgpr_dispatch_id 0
		.amdhsa_user_sgpr_flat_scratch_init 0
		.amdhsa_user_sgpr_kernarg_preload_length 0
		.amdhsa_user_sgpr_kernarg_preload_offset 0
		.amdhsa_user_sgpr_private_segment_size 0
		.amdhsa_uses_dynamic_stack 0
		.amdhsa_system_sgpr_private_segment_wavefront_offset 0
		.amdhsa_system_sgpr_workgroup_id_x 1
		.amdhsa_system_sgpr_workgroup_id_y 0
		.amdhsa_system_sgpr_workgroup_id_z 1
		.amdhsa_system_sgpr_workgroup_info 0
		.amdhsa_system_vgpr_workitem_id 0
		.amdhsa_next_free_vgpr 11
		.amdhsa_next_free_sgpr 28
		.amdhsa_accum_offset 12
		.amdhsa_reserve_vcc 1
		.amdhsa_reserve_flat_scratch 0
		.amdhsa_float_round_mode_32 0
		.amdhsa_float_round_mode_16_64 0
		.amdhsa_float_denorm_mode_32 3
		.amdhsa_float_denorm_mode_16_64 3
		.amdhsa_dx10_clamp 1
		.amdhsa_ieee_mode 1
		.amdhsa_fp16_overflow 0
		.amdhsa_tg_split 0
		.amdhsa_exception_fp_ieee_invalid_op 0
		.amdhsa_exception_fp_denorm_src 0
		.amdhsa_exception_fp_ieee_div_zero 0
		.amdhsa_exception_fp_ieee_overflow 0
		.amdhsa_exception_fp_ieee_underflow 0
		.amdhsa_exception_fp_ieee_inexact 0
		.amdhsa_exception_int_div_zero 0
	.end_amdhsa_kernel
	.section	.text._ZL18rocblas_dot_kernelIiLb0ELi512ELi8ELb1E16rocblas_bfloat16PKPKS0_fEviT5_lT_lS5_lS6_liPT6_PT4_,"axG",@progbits,_ZL18rocblas_dot_kernelIiLb0ELi512ELi8ELb1E16rocblas_bfloat16PKPKS0_fEviT5_lT_lS5_lS6_liPT6_PT4_,comdat
.Lfunc_end552:
	.size	_ZL18rocblas_dot_kernelIiLb0ELi512ELi8ELb1E16rocblas_bfloat16PKPKS0_fEviT5_lT_lS5_lS6_liPT6_PT4_, .Lfunc_end552-_ZL18rocblas_dot_kernelIiLb0ELi512ELi8ELb1E16rocblas_bfloat16PKPKS0_fEviT5_lT_lS5_lS6_liPT6_PT4_
                                        ; -- End function
	.section	.AMDGPU.csdata,"",@progbits
; Kernel info:
; codeLenInByte = 1076
; NumSgprs: 32
; NumVgprs: 11
; NumAgprs: 0
; TotalNumVgprs: 11
; ScratchSize: 0
; MemoryBound: 0
; FloatMode: 240
; IeeeMode: 1
; LDSByteSize: 256 bytes/workgroup (compile time only)
; SGPRBlocks: 3
; VGPRBlocks: 1
; NumSGPRsForWavesPerEU: 32
; NumVGPRsForWavesPerEU: 11
; AccumOffset: 12
; Occupancy: 8
; WaveLimiterHint : 0
; COMPUTE_PGM_RSRC2:SCRATCH_EN: 0
; COMPUTE_PGM_RSRC2:USER_SGPR: 6
; COMPUTE_PGM_RSRC2:TRAP_HANDLER: 0
; COMPUTE_PGM_RSRC2:TGID_X_EN: 1
; COMPUTE_PGM_RSRC2:TGID_Y_EN: 0
; COMPUTE_PGM_RSRC2:TGID_Z_EN: 1
; COMPUTE_PGM_RSRC2:TIDIG_COMP_CNT: 0
; COMPUTE_PGM_RSRC3_GFX90A:ACCUM_OFFSET: 2
; COMPUTE_PGM_RSRC3_GFX90A:TG_SPLIT: 0
	.section	.text._ZL24rocblas_dot_kernel_magsqIiLb0ELi512ELi8ELb1E16rocblas_bfloat16PKPKS0_fEviT5_lT_liPT6_PT4_,"axG",@progbits,_ZL24rocblas_dot_kernel_magsqIiLb0ELi512ELi8ELb1E16rocblas_bfloat16PKPKS0_fEviT5_lT_liPT6_PT4_,comdat
	.globl	_ZL24rocblas_dot_kernel_magsqIiLb0ELi512ELi8ELb1E16rocblas_bfloat16PKPKS0_fEviT5_lT_liPT6_PT4_ ; -- Begin function _ZL24rocblas_dot_kernel_magsqIiLb0ELi512ELi8ELb1E16rocblas_bfloat16PKPKS0_fEviT5_lT_liPT6_PT4_
	.p2align	8
	.type	_ZL24rocblas_dot_kernel_magsqIiLb0ELi512ELi8ELb1E16rocblas_bfloat16PKPKS0_fEviT5_lT_liPT6_PT4_,@function
_ZL24rocblas_dot_kernel_magsqIiLb0ELi512ELi8ELb1E16rocblas_bfloat16PKPKS0_fEviT5_lT_liPT6_PT4_: ; @_ZL24rocblas_dot_kernel_magsqIiLb0ELi512ELi8ELb1E16rocblas_bfloat16PKPKS0_fEviT5_lT_liPT6_PT4_
; %bb.0:
	s_mov_b32 s2, s7
	s_load_dword s7, s[4:5], 0x0
	s_load_dwordx4 s[8:11], s[4:5], 0x30
	s_load_dword s16, s[4:5], 0x40
	v_lshl_or_b32 v2, s6, 9, v0
	s_mov_b32 s3, 0
	s_waitcnt lgkmcnt(0)
	v_cmp_gt_i32_e32 vcc, s7, v2
	v_mov_b32_e32 v1, 0
	s_and_saveexec_b64 s[12:13], vcc
	s_cbranch_execz .LBB553_4
; %bb.1:
	s_load_dwordx4 s[20:23], s[4:5], 0x8
	s_load_dword s14, s[4:5], 0x18
	s_lshl_b64 s[0:1], s[2:3], 3
	s_waitcnt lgkmcnt(0)
	s_add_u32 s0, s20, s0
	s_addc_u32 s1, s21, s1
	s_load_dwordx2 s[0:1], s[0:1], 0x0
	v_mad_i64_i32 v[4:5], s[4:5], s14, v2, 0
	s_lshl_b32 s17, s16, 9
	s_lshl_b64 s[4:5], s[22:23], 1
	s_waitcnt lgkmcnt(0)
	s_add_u32 s0, s0, s4
	v_lshlrev_b64 v[6:7], 1, v[4:5]
	s_addc_u32 s1, s1, s5
	v_add_u32_e32 v4, s17, v2
	v_mov_b32_e32 v1, s1
	v_add_co_u32_e32 v2, vcc, s0, v6
	s_mul_hi_i32 s1, s14, s17
	s_mul_i32 s0, s14, s17
	s_lshl_b64 s[14:15], s[0:1], 1
	v_addc_co_u32_e32 v3, vcc, v1, v7, vcc
	s_mov_b64 s[4:5], 0
	v_mov_b32_e32 v1, 0
	v_mov_b32_e32 v5, s15
	s_mov_b32 s15, s3
.LBB553_2:                              ; =>This Inner Loop Header: Depth=1
	global_load_ushort v6, v[2:3], off
	s_add_i32 s18, s15, 1
	v_add_co_u32_e64 v2, s[0:1], s14, v2
	v_addc_co_u32_e64 v3, s[0:1], v3, v5, s[0:1]
	s_cmp_gt_u32 s15, 6
	v_cmp_le_i32_e32 vcc, s7, v4
	s_cselect_b64 s[0:1], -1, 0
	s_or_b64 s[0:1], s[0:1], vcc
	s_and_b64 s[0:1], exec, s[0:1]
	v_add_u32_e32 v4, s17, v4
	s_mov_b32 s15, s18
	s_or_b64 s[4:5], s[0:1], s[4:5]
	s_waitcnt vmcnt(0)
	v_lshlrev_b32_e32 v6, 16, v6
	v_fmac_f32_e32 v1, v6, v6
	s_andn2_b64 exec, exec, s[4:5]
	s_cbranch_execnz .LBB553_2
; %bb.3:
	s_or_b64 exec, exec, s[4:5]
.LBB553_4:
	s_or_b64 exec, exec, s[12:13]
	v_and_b32_e32 v3, 63, v0
	v_cmp_gt_u32_e32 vcc, 64, v0
	v_lshlrev_b32_e32 v2, 2, v3
	s_and_saveexec_b64 s[0:1], vcc
	s_cbranch_execz .LBB553_6
; %bb.5:
	v_mov_b32_e32 v4, 0
	ds_write_b32 v2, v4
.LBB553_6:
	s_or_b64 exec, exec, s[0:1]
	v_mbcnt_lo_u32_b32 v4, -1, 0
	v_mbcnt_hi_u32_b32 v6, -1, v4
	v_and_b32_e32 v7, 63, v6
	v_cmp_gt_u32_e64 s[0:1], 32, v7
	v_cndmask_b32_e64 v4, 0, 1, s[0:1]
	v_lshlrev_b32_e32 v4, 5, v4
	v_add_lshl_u32 v4, v4, v6, 2
	ds_bpermute_b32 v4, v4, v1
	v_cmp_gt_u32_e64 s[0:1], 48, v7
	v_cndmask_b32_e64 v5, 0, 1, s[0:1]
	v_lshlrev_b32_e32 v5, 4, v5
	v_cmp_gt_u32_e64 s[0:1], 56, v7
	s_waitcnt lgkmcnt(0)
	v_add_f32_e32 v1, v1, v4
	v_add_lshl_u32 v4, v5, v6, 2
	ds_bpermute_b32 v4, v4, v1
	v_cndmask_b32_e64 v5, 0, 1, s[0:1]
	v_lshlrev_b32_e32 v5, 3, v5
	v_cmp_gt_u32_e64 s[0:1], 60, v7
	s_waitcnt lgkmcnt(0)
	v_add_f32_e32 v1, v1, v4
	v_add_lshl_u32 v4, v5, v6, 2
	ds_bpermute_b32 v4, v4, v1
	v_cndmask_b32_e64 v5, 0, 1, s[0:1]
	v_lshlrev_b32_e32 v5, 2, v5
	v_cmp_gt_u32_e64 s[0:1], 62, v7
	v_cndmask_b32_e64 v8, 0, 1, s[0:1]
	s_waitcnt lgkmcnt(0)
	v_add_f32_e32 v1, v1, v4
	v_add_lshl_u32 v4, v5, v6, 2
	ds_bpermute_b32 v5, v4, v1
	v_lshlrev_b32_e32 v8, 1, v8
	v_cmp_ne_u32_e64 s[0:1], 63, v7
	s_barrier
	s_waitcnt lgkmcnt(0)
	v_add_f32_e32 v1, v1, v5
	v_add_lshl_u32 v5, v8, v6, 2
	ds_bpermute_b32 v8, v5, v1
	v_addc_co_u32_e64 v6, s[0:1], 0, v6, s[0:1]
	v_lshlrev_b32_e32 v6, 2, v6
	v_cmp_eq_u32_e64 s[0:1], 0, v3
	s_waitcnt lgkmcnt(0)
	v_add_f32_e32 v1, v1, v8
	ds_bpermute_b32 v7, v6, v1
	s_and_saveexec_b64 s[4:5], s[0:1]
	s_cbranch_execz .LBB553_8
; %bb.7:
	v_lshrrev_b32_e32 v3, 4, v0
	s_waitcnt lgkmcnt(0)
	v_add_f32_e32 v1, v1, v7
	v_and_b32_e32 v3, 28, v3
	ds_write_b32 v3, v1
.LBB553_8:
	s_or_b64 exec, exec, s[4:5]
	v_cmp_gt_u32_e64 s[0:1], 8, v0
	v_mov_b32_e32 v1, 0
	s_waitcnt lgkmcnt(0)
	s_barrier
	s_and_saveexec_b64 s[4:5], s[0:1]
	s_cbranch_execnz .LBB553_12
; %bb.9:
	s_or_b64 exec, exec, s[4:5]
	s_and_saveexec_b64 s[0:1], vcc
	s_cbranch_execnz .LBB553_13
.LBB553_10:
	s_or_b64 exec, exec, s[0:1]
	v_cmp_eq_u32_e32 vcc, 0, v0
	s_and_saveexec_b64 s[0:1], vcc
	s_cbranch_execnz .LBB553_14
.LBB553_11:
	s_endpgm
.LBB553_12:
	ds_read_b32 v1, v2
	s_or_b64 exec, exec, s[4:5]
	s_and_saveexec_b64 s[0:1], vcc
	s_cbranch_execz .LBB553_10
.LBB553_13:
	s_waitcnt lgkmcnt(0)
	ds_bpermute_b32 v2, v4, v1
	s_waitcnt lgkmcnt(0)
	v_add_f32_e32 v1, v1, v2
	ds_bpermute_b32 v2, v5, v1
	s_waitcnt lgkmcnt(0)
	v_add_f32_e32 v1, v1, v2
	;; [unrolled: 3-line block ×3, first 2 shown]
	s_or_b64 exec, exec, s[0:1]
	v_cmp_eq_u32_e32 vcc, 0, v0
	s_and_saveexec_b64 s[0:1], vcc
	s_cbranch_execz .LBB553_11
.LBB553_14:
	s_cmp_lg_u32 s16, 1
	s_mov_b64 s[0:1], -1
	s_cbranch_scc0 .LBB553_16
; %bb.15:
	s_mul_hi_u32 s1, s16, s2
	s_mul_i32 s0, s16, s2
	s_lshl_b64 s[0:1], s[0:1], 2
	s_mov_b32 s7, 0
	s_add_u32 s4, s8, s0
	s_addc_u32 s5, s9, s1
	s_lshl_b64 s[0:1], s[6:7], 2
	s_add_u32 s0, s4, s0
	s_addc_u32 s1, s5, s1
	v_mov_b32_e32 v0, 0
	s_waitcnt lgkmcnt(0)
	global_store_dword v0, v1, s[0:1]
	s_mov_b64 s[0:1], 0
.LBB553_16:
	s_andn2_b64 vcc, exec, s[0:1]
	s_cbranch_vccnz .LBB553_11
; %bb.17:
	s_mov_b32 s0, 0x7f800000
	s_waitcnt lgkmcnt(0)
	v_and_b32_e32 v0, 0x7f800000, v1
	v_cmp_ne_u32_e32 vcc, s0, v0
                                        ; implicit-def: $vgpr0
	s_and_saveexec_b64 s[0:1], vcc
	s_xor_b64 s[0:1], exec, s[0:1]
; %bb.18:
	v_bfe_u32 v0, v1, 16, 1
	s_movk_i32 s4, 0x7fff
	v_add3_u32 v0, v1, v0, s4
                                        ; implicit-def: $vgpr1
; %bb.19:
	s_andn2_saveexec_b64 s[0:1], s[0:1]
; %bb.20:
	v_mov_b32_e32 v0, 0
	v_or_b32_e32 v2, 0x10000, v1
	v_cmp_eq_u32_sdwa vcc, v1, v0 src0_sel:WORD_0 src1_sel:DWORD
	v_cndmask_b32_e32 v0, v2, v1, vcc
; %bb.21:
	s_or_b64 exec, exec, s[0:1]
	s_lshl_b64 s[0:1], s[2:3], 1
	s_add_u32 s0, s10, s0
	s_addc_u32 s1, s11, s1
	v_mov_b32_e32 v1, 0
	global_store_short_d16_hi v1, v0, s[0:1]
	s_endpgm
	.section	.rodata,"a",@progbits
	.p2align	6, 0x0
	.amdhsa_kernel _ZL24rocblas_dot_kernel_magsqIiLb0ELi512ELi8ELb1E16rocblas_bfloat16PKPKS0_fEviT5_lT_liPT6_PT4_
		.amdhsa_group_segment_fixed_size 256
		.amdhsa_private_segment_fixed_size 0
		.amdhsa_kernarg_size 320
		.amdhsa_user_sgpr_count 6
		.amdhsa_user_sgpr_private_segment_buffer 1
		.amdhsa_user_sgpr_dispatch_ptr 0
		.amdhsa_user_sgpr_queue_ptr 0
		.amdhsa_user_sgpr_kernarg_segment_ptr 1
		.amdhsa_user_sgpr_dispatch_id 0
		.amdhsa_user_sgpr_flat_scratch_init 0
		.amdhsa_user_sgpr_kernarg_preload_length 0
		.amdhsa_user_sgpr_kernarg_preload_offset 0
		.amdhsa_user_sgpr_private_segment_size 0
		.amdhsa_uses_dynamic_stack 0
		.amdhsa_system_sgpr_private_segment_wavefront_offset 0
		.amdhsa_system_sgpr_workgroup_id_x 1
		.amdhsa_system_sgpr_workgroup_id_y 0
		.amdhsa_system_sgpr_workgroup_id_z 1
		.amdhsa_system_sgpr_workgroup_info 0
		.amdhsa_system_vgpr_workitem_id 0
		.amdhsa_next_free_vgpr 9
		.amdhsa_next_free_sgpr 24
		.amdhsa_accum_offset 12
		.amdhsa_reserve_vcc 1
		.amdhsa_reserve_flat_scratch 0
		.amdhsa_float_round_mode_32 0
		.amdhsa_float_round_mode_16_64 0
		.amdhsa_float_denorm_mode_32 3
		.amdhsa_float_denorm_mode_16_64 3
		.amdhsa_dx10_clamp 1
		.amdhsa_ieee_mode 1
		.amdhsa_fp16_overflow 0
		.amdhsa_tg_split 0
		.amdhsa_exception_fp_ieee_invalid_op 0
		.amdhsa_exception_fp_denorm_src 0
		.amdhsa_exception_fp_ieee_div_zero 0
		.amdhsa_exception_fp_ieee_overflow 0
		.amdhsa_exception_fp_ieee_underflow 0
		.amdhsa_exception_fp_ieee_inexact 0
		.amdhsa_exception_int_div_zero 0
	.end_amdhsa_kernel
	.section	.text._ZL24rocblas_dot_kernel_magsqIiLb0ELi512ELi8ELb1E16rocblas_bfloat16PKPKS0_fEviT5_lT_liPT6_PT4_,"axG",@progbits,_ZL24rocblas_dot_kernel_magsqIiLb0ELi512ELi8ELb1E16rocblas_bfloat16PKPKS0_fEviT5_lT_liPT6_PT4_,comdat
.Lfunc_end553:
	.size	_ZL24rocblas_dot_kernel_magsqIiLb0ELi512ELi8ELb1E16rocblas_bfloat16PKPKS0_fEviT5_lT_liPT6_PT4_, .Lfunc_end553-_ZL24rocblas_dot_kernel_magsqIiLb0ELi512ELi8ELb1E16rocblas_bfloat16PKPKS0_fEviT5_lT_liPT6_PT4_
                                        ; -- End function
	.section	.AMDGPU.csdata,"",@progbits
; Kernel info:
; codeLenInByte = 956
; NumSgprs: 28
; NumVgprs: 9
; NumAgprs: 0
; TotalNumVgprs: 9
; ScratchSize: 0
; MemoryBound: 0
; FloatMode: 240
; IeeeMode: 1
; LDSByteSize: 256 bytes/workgroup (compile time only)
; SGPRBlocks: 3
; VGPRBlocks: 1
; NumSGPRsForWavesPerEU: 28
; NumVGPRsForWavesPerEU: 9
; AccumOffset: 12
; Occupancy: 8
; WaveLimiterHint : 0
; COMPUTE_PGM_RSRC2:SCRATCH_EN: 0
; COMPUTE_PGM_RSRC2:USER_SGPR: 6
; COMPUTE_PGM_RSRC2:TRAP_HANDLER: 0
; COMPUTE_PGM_RSRC2:TGID_X_EN: 1
; COMPUTE_PGM_RSRC2:TGID_Y_EN: 0
; COMPUTE_PGM_RSRC2:TGID_Z_EN: 1
; COMPUTE_PGM_RSRC2:TIDIG_COMP_CNT: 0
; COMPUTE_PGM_RSRC3_GFX90A:ACCUM_OFFSET: 2
; COMPUTE_PGM_RSRC3_GFX90A:TG_SPLIT: 0
	.section	.text._ZL28rocblas_dot_batched_4_kernelIiLi32ELi4ELb1EffPKPK16rocblas_bfloat16EviT5_lT_lS5_lS6_liPT4_,"axG",@progbits,_ZL28rocblas_dot_batched_4_kernelIiLi32ELi4ELb1EffPKPK16rocblas_bfloat16EviT5_lT_lS5_lS6_liPT4_,comdat
	.globl	_ZL28rocblas_dot_batched_4_kernelIiLi32ELi4ELb1EffPKPK16rocblas_bfloat16EviT5_lT_lS5_lS6_liPT4_ ; -- Begin function _ZL28rocblas_dot_batched_4_kernelIiLi32ELi4ELb1EffPKPK16rocblas_bfloat16EviT5_lT_lS5_lS6_liPT4_
	.p2align	8
	.type	_ZL28rocblas_dot_batched_4_kernelIiLi32ELi4ELb1EffPKPK16rocblas_bfloat16EviT5_lT_lS5_lS6_liPT4_,@function
_ZL28rocblas_dot_batched_4_kernelIiLi32ELi4ELb1EffPKPK16rocblas_bfloat16EviT5_lT_lS5_lS6_liPT4_: ; @_ZL28rocblas_dot_batched_4_kernelIiLi32ELi4ELb1EffPKPK16rocblas_bfloat16EviT5_lT_lS5_lS6_liPT4_
; %bb.0:
	s_load_dword s0, s[4:5], 0x48
	v_bfe_u32 v1, v0, 10, 10
	v_lshl_add_u32 v2, s6, 2, v1
	s_waitcnt lgkmcnt(0)
	v_cmp_gt_u32_e32 vcc, s0, v2
	s_and_saveexec_b64 s[0:1], vcc
	s_cbranch_execz .LBB554_7
; %bb.1:
	s_load_dword s14, s[4:5], 0x0
	s_load_dwordx2 s[6:7], s[4:5], 0x50
	v_mov_b32_e32 v3, 0
	v_and_b32_e32 v6, 0x3ff, v0
	v_mov_b32_e32 v7, v3
	s_waitcnt lgkmcnt(0)
	v_cmp_gt_i32_e32 vcc, s14, v6
	s_and_saveexec_b64 s[12:13], vcc
	s_cbranch_execz .LBB554_5
; %bb.2:
	s_load_dwordx4 s[0:3], s[4:5], 0x8
	s_load_dwordx4 s[8:11], s[4:5], 0x28
	v_lshlrev_b64 v[0:1], 3, v[2:3]
	s_load_dword s16, s[4:5], 0x18
	s_waitcnt lgkmcnt(0)
	v_mov_b32_e32 v5, s1
	v_add_co_u32_e32 v4, vcc, s0, v0
	v_addc_co_u32_e32 v5, vcc, v5, v1, vcc
	global_load_dwordx2 v[4:5], v[4:5], off
	v_mov_b32_e32 v7, s9
	v_add_co_u32_e32 v0, vcc, s8, v0
	v_addc_co_u32_e32 v1, vcc, v7, v1, vcc
	global_load_dwordx2 v[10:11], v[0:1], off
	s_load_dword s4, s[4:5], 0x38
	v_mad_i64_i32 v[0:1], s[8:9], s16, v6, 0
	s_lshl_b64 s[8:9], s[2:3], 1
	v_lshlrev_b64 v[0:1], 1, v[0:1]
	s_waitcnt lgkmcnt(0)
	v_mad_i64_i32 v[8:9], s[2:3], s4, v6, 0
	v_mov_b32_e32 v12, s9
	v_add_co_u32_e32 v0, vcc, s8, v0
	s_lshl_b64 s[10:11], s[10:11], 1
	v_lshlrev_b64 v[8:9], 1, v[8:9]
	v_addc_co_u32_e32 v1, vcc, v1, v12, vcc
	v_mov_b32_e32 v13, s11
	v_add_co_u32_e32 v12, vcc, s10, v8
	v_addc_co_u32_e32 v13, vcc, v9, v13, vcc
	s_ashr_i32 s17, s16, 31
	s_ashr_i32 s5, s4, 31
	s_lshl_b64 s[2:3], s[16:17], 6
	s_lshl_b64 s[4:5], s[4:5], 6
	s_mov_b64 s[0:1], 0
	v_mov_b32_e32 v7, 0
	v_mov_b32_e32 v8, s3
	;; [unrolled: 1-line block ×3, first 2 shown]
	s_waitcnt vmcnt(1)
	v_add_co_u32_e32 v0, vcc, v4, v0
	v_addc_co_u32_e32 v1, vcc, v5, v1, vcc
	s_waitcnt vmcnt(0)
	v_add_co_u32_e32 v4, vcc, v10, v12
	v_addc_co_u32_e32 v5, vcc, v11, v13, vcc
	v_mov_b32_e32 v10, v6
.LBB554_3:                              ; =>This Inner Loop Header: Depth=1
	global_load_ushort v11, v[0:1], off
	global_load_ushort v12, v[4:5], off
	v_add_co_u32_e32 v0, vcc, s2, v0
	v_addc_co_u32_e32 v1, vcc, v1, v8, vcc
	v_add_co_u32_e32 v4, vcc, s4, v4
	v_add_u32_e32 v10, 32, v10
	v_addc_co_u32_e32 v5, vcc, v5, v9, vcc
	v_cmp_le_i32_e32 vcc, s14, v10
	s_or_b64 s[0:1], vcc, s[0:1]
	s_waitcnt vmcnt(1)
	v_lshlrev_b32_e32 v11, 16, v11
	s_waitcnt vmcnt(0)
	v_lshlrev_b32_e32 v12, 16, v12
	v_fmac_f32_e32 v7, v12, v11
	s_andn2_b64 exec, exec, s[0:1]
	s_cbranch_execnz .LBB554_3
; %bb.4:
	s_or_b64 exec, exec, s[0:1]
.LBB554_5:
	s_or_b64 exec, exec, s[12:13]
	v_mbcnt_lo_u32_b32 v0, -1, 0
	v_mbcnt_hi_u32_b32 v0, -1, v0
	v_and_b32_e32 v1, 63, v0
	v_cmp_gt_u32_e32 vcc, 48, v1
	v_cndmask_b32_e64 v4, 0, 1, vcc
	v_lshlrev_b32_e32 v4, 4, v4
	v_add_lshl_u32 v4, v4, v0, 2
	ds_bpermute_b32 v4, v4, v7
	v_cmp_gt_u32_e32 vcc, 56, v1
	v_cndmask_b32_e64 v5, 0, 1, vcc
	v_lshlrev_b32_e32 v5, 3, v5
	v_add_lshl_u32 v5, v5, v0, 2
	s_waitcnt lgkmcnt(0)
	v_add_f32_e32 v4, v7, v4
	ds_bpermute_b32 v5, v5, v4
	v_cmp_gt_u32_e32 vcc, 60, v1
	v_cndmask_b32_e64 v7, 0, 1, vcc
	v_lshlrev_b32_e32 v7, 2, v7
	v_cmp_gt_u32_e32 vcc, 62, v1
	s_waitcnt lgkmcnt(0)
	v_add_f32_e32 v4, v4, v5
	v_add_lshl_u32 v5, v7, v0, 2
	ds_bpermute_b32 v5, v5, v4
	v_cndmask_b32_e64 v7, 0, 1, vcc
	v_lshlrev_b32_e32 v7, 1, v7
	v_cmp_ne_u32_e32 vcc, 63, v1
	v_addc_co_u32_e32 v1, vcc, 0, v0, vcc
	s_waitcnt lgkmcnt(0)
	v_add_f32_e32 v4, v4, v5
	v_add_lshl_u32 v5, v7, v0, 2
	ds_bpermute_b32 v5, v5, v4
	v_lshlrev_b32_e32 v1, 2, v1
	v_cmp_eq_u32_e32 vcc, 0, v6
	s_waitcnt lgkmcnt(0)
	s_barrier
	v_add_f32_e32 v0, v4, v5
	ds_bpermute_b32 v1, v1, v0
	s_waitcnt lgkmcnt(0)
	s_and_b64 exec, exec, vcc
	s_cbranch_execz .LBB554_7
; %bb.6:
	v_lshlrev_b64 v[2:3], 2, v[2:3]
	v_mov_b32_e32 v4, s7
	v_add_co_u32_e32 v2, vcc, s6, v2
	v_addc_co_u32_e32 v3, vcc, v4, v3, vcc
	v_add_f32_e32 v0, v0, v1
	global_store_dword v[2:3], v0, off
.LBB554_7:
	s_endpgm
	.section	.rodata,"a",@progbits
	.p2align	6, 0x0
	.amdhsa_kernel _ZL28rocblas_dot_batched_4_kernelIiLi32ELi4ELb1EffPKPK16rocblas_bfloat16EviT5_lT_lS5_lS6_liPT4_
		.amdhsa_group_segment_fixed_size 0
		.amdhsa_private_segment_fixed_size 0
		.amdhsa_kernarg_size 88
		.amdhsa_user_sgpr_count 6
		.amdhsa_user_sgpr_private_segment_buffer 1
		.amdhsa_user_sgpr_dispatch_ptr 0
		.amdhsa_user_sgpr_queue_ptr 0
		.amdhsa_user_sgpr_kernarg_segment_ptr 1
		.amdhsa_user_sgpr_dispatch_id 0
		.amdhsa_user_sgpr_flat_scratch_init 0
		.amdhsa_user_sgpr_kernarg_preload_length 0
		.amdhsa_user_sgpr_kernarg_preload_offset 0
		.amdhsa_user_sgpr_private_segment_size 0
		.amdhsa_uses_dynamic_stack 0
		.amdhsa_system_sgpr_private_segment_wavefront_offset 0
		.amdhsa_system_sgpr_workgroup_id_x 1
		.amdhsa_system_sgpr_workgroup_id_y 0
		.amdhsa_system_sgpr_workgroup_id_z 0
		.amdhsa_system_sgpr_workgroup_info 0
		.amdhsa_system_vgpr_workitem_id 1
		.amdhsa_next_free_vgpr 14
		.amdhsa_next_free_sgpr 18
		.amdhsa_accum_offset 16
		.amdhsa_reserve_vcc 1
		.amdhsa_reserve_flat_scratch 0
		.amdhsa_float_round_mode_32 0
		.amdhsa_float_round_mode_16_64 0
		.amdhsa_float_denorm_mode_32 3
		.amdhsa_float_denorm_mode_16_64 3
		.amdhsa_dx10_clamp 1
		.amdhsa_ieee_mode 1
		.amdhsa_fp16_overflow 0
		.amdhsa_tg_split 0
		.amdhsa_exception_fp_ieee_invalid_op 0
		.amdhsa_exception_fp_denorm_src 0
		.amdhsa_exception_fp_ieee_div_zero 0
		.amdhsa_exception_fp_ieee_overflow 0
		.amdhsa_exception_fp_ieee_underflow 0
		.amdhsa_exception_fp_ieee_inexact 0
		.amdhsa_exception_int_div_zero 0
	.end_amdhsa_kernel
	.section	.text._ZL28rocblas_dot_batched_4_kernelIiLi32ELi4ELb1EffPKPK16rocblas_bfloat16EviT5_lT_lS5_lS6_liPT4_,"axG",@progbits,_ZL28rocblas_dot_batched_4_kernelIiLi32ELi4ELb1EffPKPK16rocblas_bfloat16EviT5_lT_lS5_lS6_liPT4_,comdat
.Lfunc_end554:
	.size	_ZL28rocblas_dot_batched_4_kernelIiLi32ELi4ELb1EffPKPK16rocblas_bfloat16EviT5_lT_lS5_lS6_liPT4_, .Lfunc_end554-_ZL28rocblas_dot_batched_4_kernelIiLi32ELi4ELb1EffPKPK16rocblas_bfloat16EviT5_lT_lS5_lS6_liPT4_
                                        ; -- End function
	.section	.AMDGPU.csdata,"",@progbits
; Kernel info:
; codeLenInByte = 636
; NumSgprs: 22
; NumVgprs: 14
; NumAgprs: 0
; TotalNumVgprs: 14
; ScratchSize: 0
; MemoryBound: 0
; FloatMode: 240
; IeeeMode: 1
; LDSByteSize: 0 bytes/workgroup (compile time only)
; SGPRBlocks: 2
; VGPRBlocks: 1
; NumSGPRsForWavesPerEU: 22
; NumVGPRsForWavesPerEU: 14
; AccumOffset: 16
; Occupancy: 8
; WaveLimiterHint : 0
; COMPUTE_PGM_RSRC2:SCRATCH_EN: 0
; COMPUTE_PGM_RSRC2:USER_SGPR: 6
; COMPUTE_PGM_RSRC2:TRAP_HANDLER: 0
; COMPUTE_PGM_RSRC2:TGID_X_EN: 1
; COMPUTE_PGM_RSRC2:TGID_Y_EN: 0
; COMPUTE_PGM_RSRC2:TGID_Z_EN: 0
; COMPUTE_PGM_RSRC2:TIDIG_COMP_CNT: 1
; COMPUTE_PGM_RSRC3_GFX90A:ACCUM_OFFSET: 3
; COMPUTE_PGM_RSRC3_GFX90A:TG_SPLIT: 0
	.section	.text._ZL28rocblas_dot_batched_4_kernelIiLi64ELi4ELb1EffPKPK16rocblas_bfloat16EviT5_lT_lS5_lS6_liPT4_,"axG",@progbits,_ZL28rocblas_dot_batched_4_kernelIiLi64ELi4ELb1EffPKPK16rocblas_bfloat16EviT5_lT_lS5_lS6_liPT4_,comdat
	.globl	_ZL28rocblas_dot_batched_4_kernelIiLi64ELi4ELb1EffPKPK16rocblas_bfloat16EviT5_lT_lS5_lS6_liPT4_ ; -- Begin function _ZL28rocblas_dot_batched_4_kernelIiLi64ELi4ELb1EffPKPK16rocblas_bfloat16EviT5_lT_lS5_lS6_liPT4_
	.p2align	8
	.type	_ZL28rocblas_dot_batched_4_kernelIiLi64ELi4ELb1EffPKPK16rocblas_bfloat16EviT5_lT_lS5_lS6_liPT4_,@function
_ZL28rocblas_dot_batched_4_kernelIiLi64ELi4ELb1EffPKPK16rocblas_bfloat16EviT5_lT_lS5_lS6_liPT4_: ; @_ZL28rocblas_dot_batched_4_kernelIiLi64ELi4ELb1EffPKPK16rocblas_bfloat16EviT5_lT_lS5_lS6_liPT4_
; %bb.0:
	s_load_dword s0, s[4:5], 0x48
	v_bfe_u32 v1, v0, 10, 10
	v_lshl_add_u32 v2, s6, 2, v1
	s_waitcnt lgkmcnt(0)
	v_cmp_gt_u32_e32 vcc, s0, v2
	s_and_saveexec_b64 s[0:1], vcc
	s_cbranch_execz .LBB555_7
; %bb.1:
	s_load_dword s14, s[4:5], 0x0
	s_load_dwordx2 s[6:7], s[4:5], 0x50
	v_mov_b32_e32 v3, 0
	v_and_b32_e32 v6, 0x3ff, v0
	v_mov_b32_e32 v7, v3
	s_waitcnt lgkmcnt(0)
	v_cmp_gt_i32_e32 vcc, s14, v6
	s_and_saveexec_b64 s[12:13], vcc
	s_cbranch_execz .LBB555_5
; %bb.2:
	s_load_dwordx4 s[0:3], s[4:5], 0x8
	s_load_dwordx4 s[8:11], s[4:5], 0x28
	v_lshlrev_b64 v[0:1], 3, v[2:3]
	s_load_dword s16, s[4:5], 0x18
	s_waitcnt lgkmcnt(0)
	v_mov_b32_e32 v5, s1
	v_add_co_u32_e32 v4, vcc, s0, v0
	v_addc_co_u32_e32 v5, vcc, v5, v1, vcc
	global_load_dwordx2 v[4:5], v[4:5], off
	v_mov_b32_e32 v7, s9
	v_add_co_u32_e32 v0, vcc, s8, v0
	v_addc_co_u32_e32 v1, vcc, v7, v1, vcc
	global_load_dwordx2 v[10:11], v[0:1], off
	s_load_dword s4, s[4:5], 0x38
	v_mad_i64_i32 v[0:1], s[8:9], s16, v6, 0
	s_lshl_b64 s[8:9], s[2:3], 1
	v_lshlrev_b64 v[0:1], 1, v[0:1]
	s_waitcnt lgkmcnt(0)
	v_mad_i64_i32 v[8:9], s[2:3], s4, v6, 0
	v_mov_b32_e32 v12, s9
	v_add_co_u32_e32 v0, vcc, s8, v0
	s_lshl_b64 s[10:11], s[10:11], 1
	v_lshlrev_b64 v[8:9], 1, v[8:9]
	v_addc_co_u32_e32 v1, vcc, v1, v12, vcc
	v_mov_b32_e32 v13, s11
	v_add_co_u32_e32 v12, vcc, s10, v8
	v_addc_co_u32_e32 v13, vcc, v9, v13, vcc
	s_ashr_i32 s17, s16, 31
	s_ashr_i32 s5, s4, 31
	s_lshl_b64 s[2:3], s[16:17], 7
	s_lshl_b64 s[4:5], s[4:5], 7
	s_mov_b64 s[0:1], 0
	v_mov_b32_e32 v7, 0
	v_mov_b32_e32 v8, s3
	;; [unrolled: 1-line block ×3, first 2 shown]
	s_waitcnt vmcnt(1)
	v_add_co_u32_e32 v0, vcc, v4, v0
	v_addc_co_u32_e32 v1, vcc, v5, v1, vcc
	s_waitcnt vmcnt(0)
	v_add_co_u32_e32 v4, vcc, v10, v12
	v_addc_co_u32_e32 v5, vcc, v11, v13, vcc
	v_mov_b32_e32 v10, v6
.LBB555_3:                              ; =>This Inner Loop Header: Depth=1
	global_load_ushort v11, v[0:1], off
	global_load_ushort v12, v[4:5], off
	v_add_co_u32_e32 v0, vcc, s2, v0
	v_addc_co_u32_e32 v1, vcc, v1, v8, vcc
	v_add_co_u32_e32 v4, vcc, s4, v4
	v_add_u32_e32 v10, 64, v10
	v_addc_co_u32_e32 v5, vcc, v5, v9, vcc
	v_cmp_le_i32_e32 vcc, s14, v10
	s_or_b64 s[0:1], vcc, s[0:1]
	s_waitcnt vmcnt(1)
	v_lshlrev_b32_e32 v11, 16, v11
	s_waitcnt vmcnt(0)
	v_lshlrev_b32_e32 v12, 16, v12
	v_fmac_f32_e32 v7, v12, v11
	s_andn2_b64 exec, exec, s[0:1]
	s_cbranch_execnz .LBB555_3
; %bb.4:
	s_or_b64 exec, exec, s[0:1]
.LBB555_5:
	s_or_b64 exec, exec, s[12:13]
	v_mbcnt_lo_u32_b32 v0, -1, 0
	v_mbcnt_hi_u32_b32 v0, -1, v0
	v_and_b32_e32 v1, 63, v0
	v_cmp_gt_u32_e32 vcc, 32, v1
	v_cndmask_b32_e64 v4, 0, 1, vcc
	v_lshlrev_b32_e32 v4, 5, v4
	v_add_lshl_u32 v4, v4, v0, 2
	ds_bpermute_b32 v4, v4, v7
	v_cmp_gt_u32_e32 vcc, 48, v1
	v_cndmask_b32_e64 v5, 0, 1, vcc
	v_lshlrev_b32_e32 v5, 4, v5
	v_add_lshl_u32 v5, v5, v0, 2
	s_waitcnt lgkmcnt(0)
	v_add_f32_e32 v4, v7, v4
	ds_bpermute_b32 v5, v5, v4
	v_cmp_gt_u32_e32 vcc, 56, v1
	v_cndmask_b32_e64 v7, 0, 1, vcc
	v_lshlrev_b32_e32 v7, 3, v7
	v_cmp_gt_u32_e32 vcc, 60, v1
	s_waitcnt lgkmcnt(0)
	v_add_f32_e32 v4, v4, v5
	v_add_lshl_u32 v5, v7, v0, 2
	ds_bpermute_b32 v5, v5, v4
	v_cndmask_b32_e64 v7, 0, 1, vcc
	v_lshlrev_b32_e32 v7, 2, v7
	v_cmp_gt_u32_e32 vcc, 62, v1
	s_waitcnt lgkmcnt(0)
	v_add_f32_e32 v4, v4, v5
	v_add_lshl_u32 v5, v7, v0, 2
	ds_bpermute_b32 v5, v5, v4
	v_cndmask_b32_e64 v7, 0, 1, vcc
	v_lshlrev_b32_e32 v7, 1, v7
	v_cmp_ne_u32_e32 vcc, 63, v1
	v_addc_co_u32_e32 v1, vcc, 0, v0, vcc
	s_waitcnt lgkmcnt(0)
	v_add_f32_e32 v4, v4, v5
	v_add_lshl_u32 v5, v7, v0, 2
	ds_bpermute_b32 v5, v5, v4
	v_lshlrev_b32_e32 v1, 2, v1
	v_cmp_eq_u32_e32 vcc, 0, v6
	s_barrier
	s_waitcnt lgkmcnt(0)
	v_add_f32_e32 v0, v4, v5
	ds_bpermute_b32 v1, v1, v0
	s_and_b64 exec, exec, vcc
	s_cbranch_execz .LBB555_7
; %bb.6:
	v_lshlrev_b64 v[2:3], 2, v[2:3]
	v_mov_b32_e32 v4, s7
	v_add_co_u32_e32 v2, vcc, s6, v2
	v_addc_co_u32_e32 v3, vcc, v4, v3, vcc
	s_waitcnt lgkmcnt(0)
	v_add_f32_e32 v0, v0, v1
	global_store_dword v[2:3], v0, off
.LBB555_7:
	s_endpgm
	.section	.rodata,"a",@progbits
	.p2align	6, 0x0
	.amdhsa_kernel _ZL28rocblas_dot_batched_4_kernelIiLi64ELi4ELb1EffPKPK16rocblas_bfloat16EviT5_lT_lS5_lS6_liPT4_
		.amdhsa_group_segment_fixed_size 0
		.amdhsa_private_segment_fixed_size 0
		.amdhsa_kernarg_size 88
		.amdhsa_user_sgpr_count 6
		.amdhsa_user_sgpr_private_segment_buffer 1
		.amdhsa_user_sgpr_dispatch_ptr 0
		.amdhsa_user_sgpr_queue_ptr 0
		.amdhsa_user_sgpr_kernarg_segment_ptr 1
		.amdhsa_user_sgpr_dispatch_id 0
		.amdhsa_user_sgpr_flat_scratch_init 0
		.amdhsa_user_sgpr_kernarg_preload_length 0
		.amdhsa_user_sgpr_kernarg_preload_offset 0
		.amdhsa_user_sgpr_private_segment_size 0
		.amdhsa_uses_dynamic_stack 0
		.amdhsa_system_sgpr_private_segment_wavefront_offset 0
		.amdhsa_system_sgpr_workgroup_id_x 1
		.amdhsa_system_sgpr_workgroup_id_y 0
		.amdhsa_system_sgpr_workgroup_id_z 0
		.amdhsa_system_sgpr_workgroup_info 0
		.amdhsa_system_vgpr_workitem_id 1
		.amdhsa_next_free_vgpr 14
		.amdhsa_next_free_sgpr 18
		.amdhsa_accum_offset 16
		.amdhsa_reserve_vcc 1
		.amdhsa_reserve_flat_scratch 0
		.amdhsa_float_round_mode_32 0
		.amdhsa_float_round_mode_16_64 0
		.amdhsa_float_denorm_mode_32 3
		.amdhsa_float_denorm_mode_16_64 3
		.amdhsa_dx10_clamp 1
		.amdhsa_ieee_mode 1
		.amdhsa_fp16_overflow 0
		.amdhsa_tg_split 0
		.amdhsa_exception_fp_ieee_invalid_op 0
		.amdhsa_exception_fp_denorm_src 0
		.amdhsa_exception_fp_ieee_div_zero 0
		.amdhsa_exception_fp_ieee_overflow 0
		.amdhsa_exception_fp_ieee_underflow 0
		.amdhsa_exception_fp_ieee_inexact 0
		.amdhsa_exception_int_div_zero 0
	.end_amdhsa_kernel
	.section	.text._ZL28rocblas_dot_batched_4_kernelIiLi64ELi4ELb1EffPKPK16rocblas_bfloat16EviT5_lT_lS5_lS6_liPT4_,"axG",@progbits,_ZL28rocblas_dot_batched_4_kernelIiLi64ELi4ELb1EffPKPK16rocblas_bfloat16EviT5_lT_lS5_lS6_liPT4_,comdat
.Lfunc_end555:
	.size	_ZL28rocblas_dot_batched_4_kernelIiLi64ELi4ELb1EffPKPK16rocblas_bfloat16EviT5_lT_lS5_lS6_liPT4_, .Lfunc_end555-_ZL28rocblas_dot_batched_4_kernelIiLi64ELi4ELb1EffPKPK16rocblas_bfloat16EviT5_lT_lS5_lS6_liPT4_
                                        ; -- End function
	.section	.AMDGPU.csdata,"",@progbits
; Kernel info:
; codeLenInByte = 676
; NumSgprs: 22
; NumVgprs: 14
; NumAgprs: 0
; TotalNumVgprs: 14
; ScratchSize: 0
; MemoryBound: 0
; FloatMode: 240
; IeeeMode: 1
; LDSByteSize: 0 bytes/workgroup (compile time only)
; SGPRBlocks: 2
; VGPRBlocks: 1
; NumSGPRsForWavesPerEU: 22
; NumVGPRsForWavesPerEU: 14
; AccumOffset: 16
; Occupancy: 8
; WaveLimiterHint : 0
; COMPUTE_PGM_RSRC2:SCRATCH_EN: 0
; COMPUTE_PGM_RSRC2:USER_SGPR: 6
; COMPUTE_PGM_RSRC2:TRAP_HANDLER: 0
; COMPUTE_PGM_RSRC2:TGID_X_EN: 1
; COMPUTE_PGM_RSRC2:TGID_Y_EN: 0
; COMPUTE_PGM_RSRC2:TGID_Z_EN: 0
; COMPUTE_PGM_RSRC2:TIDIG_COMP_CNT: 1
; COMPUTE_PGM_RSRC3_GFX90A:ACCUM_OFFSET: 3
; COMPUTE_PGM_RSRC3_GFX90A:TG_SPLIT: 0
	.section	.text._ZL18rocblas_dot_kernelIiLb1ELi1024ELi32ELb1EfPKPK16rocblas_bfloat16fEviT5_lT_lS5_lS6_liPT6_PT4_,"axG",@progbits,_ZL18rocblas_dot_kernelIiLb1ELi1024ELi32ELb1EfPKPK16rocblas_bfloat16fEviT5_lT_lS5_lS6_liPT6_PT4_,comdat
	.globl	_ZL18rocblas_dot_kernelIiLb1ELi1024ELi32ELb1EfPKPK16rocblas_bfloat16fEviT5_lT_lS5_lS6_liPT6_PT4_ ; -- Begin function _ZL18rocblas_dot_kernelIiLb1ELi1024ELi32ELb1EfPKPK16rocblas_bfloat16fEviT5_lT_lS5_lS6_liPT6_PT4_
	.p2align	8
	.type	_ZL18rocblas_dot_kernelIiLb1ELi1024ELi32ELb1EfPKPK16rocblas_bfloat16fEviT5_lT_lS5_lS6_liPT6_PT4_,@function
_ZL18rocblas_dot_kernelIiLb1ELi1024ELi32ELb1EfPKPK16rocblas_bfloat16fEviT5_lT_lS5_lS6_liPT6_PT4_: ; @_ZL18rocblas_dot_kernelIiLb1ELi1024ELi32ELb1EfPKPK16rocblas_bfloat16fEviT5_lT_lS5_lS6_liPT6_PT4_
; %bb.0:
	s_mov_b32 s2, s7
	s_load_dword s14, s[4:5], 0x0
	s_load_dwordx2 s[6:7], s[4:5], 0x58
	s_mov_b32 s3, 0
	v_mov_b32_e32 v1, 0
	s_waitcnt lgkmcnt(0)
	v_cmp_gt_i32_e32 vcc, s14, v0
	s_and_saveexec_b64 s[8:9], vcc
	s_cbranch_execz .LBB556_4
; %bb.1:
	s_load_dwordx4 s[16:19], s[4:5], 0x8
	s_load_dword s24, s[4:5], 0x18
	s_load_dwordx4 s[20:23], s[4:5], 0x28
	s_lshl_b64 s[0:1], s[2:3], 3
	s_waitcnt lgkmcnt(0)
	s_add_u32 s10, s16, s0
	s_addc_u32 s11, s17, s1
	s_load_dword s16, s[4:5], 0x38
	s_load_dword s15, s[4:5], 0x60
	s_load_dwordx2 s[12:13], s[10:11], 0x0
	s_add_u32 s0, s20, s0
	s_addc_u32 s1, s21, s1
	v_mad_i64_i32 v[2:3], s[4:5], s24, v0, 0
	s_load_dwordx2 s[0:1], s[0:1], 0x0
	s_waitcnt lgkmcnt(0)
	s_lshl_b32 s15, s15, 10
	s_lshl_b64 s[4:5], s[18:19], 1
	s_add_u32 s4, s12, s4
	v_lshlrev_b64 v[2:3], 1, v[2:3]
	s_addc_u32 s5, s13, s5
	v_mov_b32_e32 v1, s5
	v_add_co_u32_e32 v2, vcc, s4, v2
	s_mul_hi_i32 s5, s24, s15
	s_mul_i32 s4, s24, s15
	v_mad_i64_i32 v[4:5], s[10:11], s16, v0, 0
	s_lshl_b64 s[4:5], s[4:5], 1
	s_lshl_b64 s[10:11], s[22:23], 1
	s_add_u32 s0, s0, s10
	v_addc_co_u32_e32 v3, vcc, v1, v3, vcc
	v_lshlrev_b64 v[4:5], 1, v[4:5]
	s_addc_u32 s1, s1, s11
	v_mov_b32_e32 v1, s1
	v_add_co_u32_e32 v4, vcc, s0, v4
	s_mul_hi_i32 s1, s16, s15
	s_mul_i32 s0, s16, s15
	s_lshl_b64 s[12:13], s[0:1], 1
	v_or_b32_e32 v6, s15, v0
	v_addc_co_u32_e32 v5, vcc, v1, v5, vcc
	s_mov_b64 s[10:11], 0
	v_mov_b32_e32 v1, 0
	v_mov_b32_e32 v7, s5
	;; [unrolled: 1-line block ×3, first 2 shown]
	s_mov_b32 s5, s3
.LBB556_2:                              ; =>This Inner Loop Header: Depth=1
	global_load_ushort v9, v[4:5], off
	global_load_ushort v10, v[2:3], off
	v_add_co_u32_e64 v2, s[0:1], s4, v2
	v_addc_co_u32_e64 v3, s[0:1], v3, v7, s[0:1]
	s_add_i32 s13, s5, 1
	v_add_co_u32_e64 v4, s[0:1], s12, v4
	v_addc_co_u32_e64 v5, s[0:1], v5, v8, s[0:1]
	s_cmp_gt_u32 s5, 30
	v_cmp_le_i32_e32 vcc, s14, v6
	s_cselect_b64 s[0:1], -1, 0
	s_or_b64 s[0:1], s[0:1], vcc
	s_and_b64 s[0:1], exec, s[0:1]
	v_add_u32_e32 v6, s15, v6
	s_mov_b32 s5, s13
	s_or_b64 s[10:11], s[0:1], s[10:11]
	s_waitcnt vmcnt(1)
	v_lshlrev_b32_e32 v9, 16, v9
	s_waitcnt vmcnt(0)
	v_lshlrev_b32_e32 v10, 16, v10
	v_fmac_f32_e32 v1, v10, v9
	s_andn2_b64 exec, exec, s[10:11]
	s_cbranch_execnz .LBB556_2
; %bb.3:
	s_or_b64 exec, exec, s[10:11]
.LBB556_4:
	s_or_b64 exec, exec, s[8:9]
	v_and_b32_e32 v3, 63, v0
	v_cmp_gt_u32_e32 vcc, 64, v0
	v_lshlrev_b32_e32 v2, 2, v3
	s_and_saveexec_b64 s[0:1], vcc
	s_cbranch_execz .LBB556_6
; %bb.5:
	v_mov_b32_e32 v4, 0
	ds_write_b32 v2, v4
.LBB556_6:
	s_or_b64 exec, exec, s[0:1]
	v_mbcnt_lo_u32_b32 v4, -1, 0
	v_mbcnt_hi_u32_b32 v6, -1, v4
	v_and_b32_e32 v7, 63, v6
	v_cmp_gt_u32_e64 s[0:1], 32, v7
	v_cndmask_b32_e64 v4, 0, 1, s[0:1]
	v_lshlrev_b32_e32 v4, 5, v4
	v_add_lshl_u32 v4, v4, v6, 2
	ds_bpermute_b32 v4, v4, v1
	v_cmp_gt_u32_e64 s[0:1], 48, v7
	v_cndmask_b32_e64 v5, 0, 1, s[0:1]
	v_lshlrev_b32_e32 v5, 4, v5
	v_cmp_gt_u32_e64 s[0:1], 56, v7
	s_waitcnt lgkmcnt(0)
	v_add_f32_e32 v1, v1, v4
	v_add_lshl_u32 v4, v5, v6, 2
	ds_bpermute_b32 v4, v4, v1
	v_cndmask_b32_e64 v5, 0, 1, s[0:1]
	v_lshlrev_b32_e32 v5, 3, v5
	v_cmp_gt_u32_e64 s[0:1], 60, v7
	v_cndmask_b32_e64 v8, 0, 1, s[0:1]
	s_waitcnt lgkmcnt(0)
	v_add_f32_e32 v4, v1, v4
	v_add_lshl_u32 v1, v5, v6, 2
	ds_bpermute_b32 v5, v1, v4
	v_lshlrev_b32_e32 v8, 2, v8
	v_cmp_gt_u32_e64 s[0:1], 62, v7
	v_cndmask_b32_e64 v9, 0, 1, s[0:1]
	v_lshlrev_b32_e32 v9, 1, v9
	s_waitcnt lgkmcnt(0)
	v_add_f32_e32 v5, v4, v5
	v_add_lshl_u32 v4, v8, v6, 2
	ds_bpermute_b32 v8, v4, v5
	v_cmp_ne_u32_e64 s[0:1], 63, v7
	s_waitcnt lgkmcnt(0)
	s_barrier
	v_add_f32_e32 v8, v5, v8
	v_add_lshl_u32 v5, v9, v6, 2
	ds_bpermute_b32 v9, v5, v8
	v_addc_co_u32_e64 v6, s[0:1], 0, v6, s[0:1]
	v_lshlrev_b32_e32 v6, 2, v6
	v_cmp_eq_u32_e64 s[0:1], 0, v3
	s_waitcnt lgkmcnt(0)
	v_add_f32_e32 v7, v8, v9
	ds_bpermute_b32 v8, v6, v7
	s_and_saveexec_b64 s[4:5], s[0:1]
	s_cbranch_execz .LBB556_8
; %bb.7:
	s_waitcnt lgkmcnt(0)
	v_add_f32_e32 v3, v7, v8
	v_lshrrev_b32_e32 v7, 4, v0
	v_and_b32_e32 v7, 60, v7
	ds_write_b32 v7, v3
.LBB556_8:
	s_or_b64 exec, exec, s[4:5]
	v_cmp_gt_u32_e64 s[0:1], 16, v0
	v_mov_b32_e32 v3, 0
	s_waitcnt lgkmcnt(0)
	s_barrier
	s_and_saveexec_b64 s[4:5], s[0:1]
	s_cbranch_execnz .LBB556_12
; %bb.9:
	s_or_b64 exec, exec, s[4:5]
	s_and_saveexec_b64 s[0:1], vcc
	s_cbranch_execnz .LBB556_13
.LBB556_10:
	s_or_b64 exec, exec, s[0:1]
	v_cmp_eq_u32_e32 vcc, 0, v0
	s_and_saveexec_b64 s[0:1], vcc
	s_cbranch_execnz .LBB556_14
.LBB556_11:
	s_endpgm
.LBB556_12:
	ds_read_b32 v3, v2
	s_or_b64 exec, exec, s[4:5]
	s_and_saveexec_b64 s[0:1], vcc
	s_cbranch_execz .LBB556_10
.LBB556_13:
	s_waitcnt lgkmcnt(0)
	ds_bpermute_b32 v1, v1, v3
	s_waitcnt lgkmcnt(0)
	v_add_f32_e32 v1, v3, v1
	ds_bpermute_b32 v2, v4, v1
	s_waitcnt lgkmcnt(0)
	v_add_f32_e32 v1, v1, v2
	;; [unrolled: 3-line block ×4, first 2 shown]
	s_or_b64 exec, exec, s[0:1]
	v_cmp_eq_u32_e32 vcc, 0, v0
	s_and_saveexec_b64 s[0:1], vcc
	s_cbranch_execz .LBB556_11
.LBB556_14:
	s_lshl_b64 s[0:1], s[2:3], 2
	s_add_u32 s0, s6, s0
	s_addc_u32 s1, s7, s1
	v_mov_b32_e32 v0, 0
	s_waitcnt lgkmcnt(0)
	global_store_dword v0, v3, s[0:1]
	s_endpgm
	.section	.rodata,"a",@progbits
	.p2align	6, 0x0
	.amdhsa_kernel _ZL18rocblas_dot_kernelIiLb1ELi1024ELi32ELb1EfPKPK16rocblas_bfloat16fEviT5_lT_lS5_lS6_liPT6_PT4_
		.amdhsa_group_segment_fixed_size 256
		.amdhsa_private_segment_fixed_size 0
		.amdhsa_kernarg_size 352
		.amdhsa_user_sgpr_count 6
		.amdhsa_user_sgpr_private_segment_buffer 1
		.amdhsa_user_sgpr_dispatch_ptr 0
		.amdhsa_user_sgpr_queue_ptr 0
		.amdhsa_user_sgpr_kernarg_segment_ptr 1
		.amdhsa_user_sgpr_dispatch_id 0
		.amdhsa_user_sgpr_flat_scratch_init 0
		.amdhsa_user_sgpr_kernarg_preload_length 0
		.amdhsa_user_sgpr_kernarg_preload_offset 0
		.amdhsa_user_sgpr_private_segment_size 0
		.amdhsa_uses_dynamic_stack 0
		.amdhsa_system_sgpr_private_segment_wavefront_offset 0
		.amdhsa_system_sgpr_workgroup_id_x 1
		.amdhsa_system_sgpr_workgroup_id_y 0
		.amdhsa_system_sgpr_workgroup_id_z 1
		.amdhsa_system_sgpr_workgroup_info 0
		.amdhsa_system_vgpr_workitem_id 0
		.amdhsa_next_free_vgpr 11
		.amdhsa_next_free_sgpr 25
		.amdhsa_accum_offset 12
		.amdhsa_reserve_vcc 1
		.amdhsa_reserve_flat_scratch 0
		.amdhsa_float_round_mode_32 0
		.amdhsa_float_round_mode_16_64 0
		.amdhsa_float_denorm_mode_32 3
		.amdhsa_float_denorm_mode_16_64 3
		.amdhsa_dx10_clamp 1
		.amdhsa_ieee_mode 1
		.amdhsa_fp16_overflow 0
		.amdhsa_tg_split 0
		.amdhsa_exception_fp_ieee_invalid_op 0
		.amdhsa_exception_fp_denorm_src 0
		.amdhsa_exception_fp_ieee_div_zero 0
		.amdhsa_exception_fp_ieee_overflow 0
		.amdhsa_exception_fp_ieee_underflow 0
		.amdhsa_exception_fp_ieee_inexact 0
		.amdhsa_exception_int_div_zero 0
	.end_amdhsa_kernel
	.section	.text._ZL18rocblas_dot_kernelIiLb1ELi1024ELi32ELb1EfPKPK16rocblas_bfloat16fEviT5_lT_lS5_lS6_liPT6_PT4_,"axG",@progbits,_ZL18rocblas_dot_kernelIiLb1ELi1024ELi32ELb1EfPKPK16rocblas_bfloat16fEviT5_lT_lS5_lS6_liPT6_PT4_,comdat
.Lfunc_end556:
	.size	_ZL18rocblas_dot_kernelIiLb1ELi1024ELi32ELb1EfPKPK16rocblas_bfloat16fEviT5_lT_lS5_lS6_liPT6_PT4_, .Lfunc_end556-_ZL18rocblas_dot_kernelIiLb1ELi1024ELi32ELb1EfPKPK16rocblas_bfloat16fEviT5_lT_lS5_lS6_liPT6_PT4_
                                        ; -- End function
	.section	.AMDGPU.csdata,"",@progbits
; Kernel info:
; codeLenInByte = 928
; NumSgprs: 29
; NumVgprs: 11
; NumAgprs: 0
; TotalNumVgprs: 11
; ScratchSize: 0
; MemoryBound: 0
; FloatMode: 240
; IeeeMode: 1
; LDSByteSize: 256 bytes/workgroup (compile time only)
; SGPRBlocks: 3
; VGPRBlocks: 1
; NumSGPRsForWavesPerEU: 29
; NumVGPRsForWavesPerEU: 11
; AccumOffset: 12
; Occupancy: 8
; WaveLimiterHint : 0
; COMPUTE_PGM_RSRC2:SCRATCH_EN: 0
; COMPUTE_PGM_RSRC2:USER_SGPR: 6
; COMPUTE_PGM_RSRC2:TRAP_HANDLER: 0
; COMPUTE_PGM_RSRC2:TGID_X_EN: 1
; COMPUTE_PGM_RSRC2:TGID_Y_EN: 0
; COMPUTE_PGM_RSRC2:TGID_Z_EN: 1
; COMPUTE_PGM_RSRC2:TIDIG_COMP_CNT: 0
; COMPUTE_PGM_RSRC3_GFX90A:ACCUM_OFFSET: 2
; COMPUTE_PGM_RSRC3_GFX90A:TG_SPLIT: 0
	.section	.text._ZL24rocblas_dot_kernel_magsqIiLb1ELi1024ELi32ELb1EfPKPK16rocblas_bfloat16fEviT5_lT_liPT6_PT4_,"axG",@progbits,_ZL24rocblas_dot_kernel_magsqIiLb1ELi1024ELi32ELb1EfPKPK16rocblas_bfloat16fEviT5_lT_liPT6_PT4_,comdat
	.globl	_ZL24rocblas_dot_kernel_magsqIiLb1ELi1024ELi32ELb1EfPKPK16rocblas_bfloat16fEviT5_lT_liPT6_PT4_ ; -- Begin function _ZL24rocblas_dot_kernel_magsqIiLb1ELi1024ELi32ELb1EfPKPK16rocblas_bfloat16fEviT5_lT_liPT6_PT4_
	.p2align	8
	.type	_ZL24rocblas_dot_kernel_magsqIiLb1ELi1024ELi32ELb1EfPKPK16rocblas_bfloat16fEviT5_lT_liPT6_PT4_,@function
_ZL24rocblas_dot_kernel_magsqIiLb1ELi1024ELi32ELb1EfPKPK16rocblas_bfloat16fEviT5_lT_liPT6_PT4_: ; @_ZL24rocblas_dot_kernel_magsqIiLb1ELi1024ELi32ELb1EfPKPK16rocblas_bfloat16fEviT5_lT_liPT6_PT4_
; %bb.0:
	s_mov_b32 s2, s7
	s_load_dword s12, s[4:5], 0x0
	s_load_dwordx2 s[6:7], s[4:5], 0x38
	s_mov_b32 s3, 0
	v_mov_b32_e32 v1, 0
	s_waitcnt lgkmcnt(0)
	v_cmp_gt_i32_e32 vcc, s12, v0
	s_and_saveexec_b64 s[8:9], vcc
	s_cbranch_execz .LBB557_4
; %bb.1:
	s_load_dwordx4 s[16:19], s[4:5], 0x8
	s_load_dword s10, s[4:5], 0x40
	s_load_dword s11, s[4:5], 0x18
	s_lshl_b64 s[0:1], s[2:3], 3
	s_waitcnt lgkmcnt(0)
	s_add_u32 s0, s16, s0
	s_addc_u32 s1, s17, s1
	s_load_dwordx2 s[0:1], s[0:1], 0x0
	v_mad_i64_i32 v[2:3], s[4:5], s11, v0, 0
	s_lshl_b32 s13, s10, 10
	s_lshl_b64 s[4:5], s[18:19], 1
	s_waitcnt lgkmcnt(0)
	s_add_u32 s0, s0, s4
	v_lshlrev_b64 v[2:3], 1, v[2:3]
	s_addc_u32 s1, s1, s5
	v_mov_b32_e32 v1, s1
	v_add_co_u32_e32 v2, vcc, s0, v2
	s_mul_hi_i32 s1, s11, s13
	s_mul_i32 s0, s11, s13
	s_lshl_b64 s[10:11], s[0:1], 1
	v_or_b32_e32 v4, s13, v0
	v_addc_co_u32_e32 v3, vcc, v1, v3, vcc
	s_mov_b64 s[4:5], 0
	v_mov_b32_e32 v1, 0
	v_mov_b32_e32 v5, s11
	s_mov_b32 s11, s3
.LBB557_2:                              ; =>This Inner Loop Header: Depth=1
	global_load_ushort v6, v[2:3], off
	s_add_i32 s14, s11, 1
	v_add_co_u32_e64 v2, s[0:1], s10, v2
	v_addc_co_u32_e64 v3, s[0:1], v3, v5, s[0:1]
	s_cmp_gt_u32 s11, 30
	v_cmp_le_i32_e32 vcc, s12, v4
	s_cselect_b64 s[0:1], -1, 0
	s_or_b64 s[0:1], s[0:1], vcc
	s_and_b64 s[0:1], exec, s[0:1]
	v_add_u32_e32 v4, s13, v4
	s_mov_b32 s11, s14
	s_or_b64 s[4:5], s[0:1], s[4:5]
	s_waitcnt vmcnt(0)
	v_lshlrev_b32_e32 v6, 16, v6
	v_fmac_f32_e32 v1, v6, v6
	s_andn2_b64 exec, exec, s[4:5]
	s_cbranch_execnz .LBB557_2
; %bb.3:
	s_or_b64 exec, exec, s[4:5]
.LBB557_4:
	s_or_b64 exec, exec, s[8:9]
	v_and_b32_e32 v3, 63, v0
	v_cmp_gt_u32_e32 vcc, 64, v0
	v_lshlrev_b32_e32 v2, 2, v3
	s_and_saveexec_b64 s[0:1], vcc
	s_cbranch_execz .LBB557_6
; %bb.5:
	v_mov_b32_e32 v4, 0
	ds_write_b32 v2, v4
.LBB557_6:
	s_or_b64 exec, exec, s[0:1]
	v_mbcnt_lo_u32_b32 v4, -1, 0
	v_mbcnt_hi_u32_b32 v6, -1, v4
	v_and_b32_e32 v7, 63, v6
	v_cmp_gt_u32_e64 s[0:1], 32, v7
	v_cndmask_b32_e64 v4, 0, 1, s[0:1]
	v_lshlrev_b32_e32 v4, 5, v4
	v_add_lshl_u32 v4, v4, v6, 2
	ds_bpermute_b32 v4, v4, v1
	v_cmp_gt_u32_e64 s[0:1], 48, v7
	v_cndmask_b32_e64 v5, 0, 1, s[0:1]
	v_lshlrev_b32_e32 v5, 4, v5
	v_cmp_gt_u32_e64 s[0:1], 56, v7
	s_waitcnt lgkmcnt(0)
	v_add_f32_e32 v1, v1, v4
	v_add_lshl_u32 v4, v5, v6, 2
	ds_bpermute_b32 v4, v4, v1
	v_cndmask_b32_e64 v5, 0, 1, s[0:1]
	v_lshlrev_b32_e32 v5, 3, v5
	v_cmp_gt_u32_e64 s[0:1], 60, v7
	v_cndmask_b32_e64 v8, 0, 1, s[0:1]
	s_waitcnt lgkmcnt(0)
	v_add_f32_e32 v4, v1, v4
	v_add_lshl_u32 v1, v5, v6, 2
	ds_bpermute_b32 v5, v1, v4
	v_lshlrev_b32_e32 v8, 2, v8
	v_cmp_gt_u32_e64 s[0:1], 62, v7
	v_cndmask_b32_e64 v9, 0, 1, s[0:1]
	v_lshlrev_b32_e32 v9, 1, v9
	s_waitcnt lgkmcnt(0)
	v_add_f32_e32 v5, v4, v5
	v_add_lshl_u32 v4, v8, v6, 2
	ds_bpermute_b32 v8, v4, v5
	v_cmp_ne_u32_e64 s[0:1], 63, v7
	s_waitcnt lgkmcnt(0)
	s_barrier
	v_add_f32_e32 v8, v5, v8
	v_add_lshl_u32 v5, v9, v6, 2
	ds_bpermute_b32 v9, v5, v8
	v_addc_co_u32_e64 v6, s[0:1], 0, v6, s[0:1]
	v_lshlrev_b32_e32 v6, 2, v6
	v_cmp_eq_u32_e64 s[0:1], 0, v3
	s_waitcnt lgkmcnt(0)
	v_add_f32_e32 v7, v8, v9
	ds_bpermute_b32 v8, v6, v7
	s_and_saveexec_b64 s[4:5], s[0:1]
	s_cbranch_execz .LBB557_8
; %bb.7:
	s_waitcnt lgkmcnt(0)
	v_add_f32_e32 v3, v7, v8
	v_lshrrev_b32_e32 v7, 4, v0
	v_and_b32_e32 v7, 60, v7
	ds_write_b32 v7, v3
.LBB557_8:
	s_or_b64 exec, exec, s[4:5]
	v_cmp_gt_u32_e64 s[0:1], 16, v0
	v_mov_b32_e32 v3, 0
	s_waitcnt lgkmcnt(0)
	s_barrier
	s_and_saveexec_b64 s[4:5], s[0:1]
	s_cbranch_execnz .LBB557_12
; %bb.9:
	s_or_b64 exec, exec, s[4:5]
	s_and_saveexec_b64 s[0:1], vcc
	s_cbranch_execnz .LBB557_13
.LBB557_10:
	s_or_b64 exec, exec, s[0:1]
	v_cmp_eq_u32_e32 vcc, 0, v0
	s_and_saveexec_b64 s[0:1], vcc
	s_cbranch_execnz .LBB557_14
.LBB557_11:
	s_endpgm
.LBB557_12:
	ds_read_b32 v3, v2
	s_or_b64 exec, exec, s[4:5]
	s_and_saveexec_b64 s[0:1], vcc
	s_cbranch_execz .LBB557_10
.LBB557_13:
	s_waitcnt lgkmcnt(0)
	ds_bpermute_b32 v1, v1, v3
	s_waitcnt lgkmcnt(0)
	v_add_f32_e32 v1, v3, v1
	ds_bpermute_b32 v2, v4, v1
	s_waitcnt lgkmcnt(0)
	v_add_f32_e32 v1, v1, v2
	ds_bpermute_b32 v2, v5, v1
	s_waitcnt lgkmcnt(0)
	v_add_f32_e32 v1, v1, v2
	ds_bpermute_b32 v2, v6, v1
	s_waitcnt lgkmcnt(0)
	v_add_f32_e32 v3, v1, v2
	s_or_b64 exec, exec, s[0:1]
	v_cmp_eq_u32_e32 vcc, 0, v0
	s_and_saveexec_b64 s[0:1], vcc
	s_cbranch_execz .LBB557_11
.LBB557_14:
	s_lshl_b64 s[0:1], s[2:3], 2
	s_add_u32 s0, s6, s0
	s_addc_u32 s1, s7, s1
	v_mov_b32_e32 v0, 0
	s_waitcnt lgkmcnt(0)
	global_store_dword v0, v3, s[0:1]
	s_endpgm
	.section	.rodata,"a",@progbits
	.p2align	6, 0x0
	.amdhsa_kernel _ZL24rocblas_dot_kernel_magsqIiLb1ELi1024ELi32ELb1EfPKPK16rocblas_bfloat16fEviT5_lT_liPT6_PT4_
		.amdhsa_group_segment_fixed_size 256
		.amdhsa_private_segment_fixed_size 0
		.amdhsa_kernarg_size 320
		.amdhsa_user_sgpr_count 6
		.amdhsa_user_sgpr_private_segment_buffer 1
		.amdhsa_user_sgpr_dispatch_ptr 0
		.amdhsa_user_sgpr_queue_ptr 0
		.amdhsa_user_sgpr_kernarg_segment_ptr 1
		.amdhsa_user_sgpr_dispatch_id 0
		.amdhsa_user_sgpr_flat_scratch_init 0
		.amdhsa_user_sgpr_kernarg_preload_length 0
		.amdhsa_user_sgpr_kernarg_preload_offset 0
		.amdhsa_user_sgpr_private_segment_size 0
		.amdhsa_uses_dynamic_stack 0
		.amdhsa_system_sgpr_private_segment_wavefront_offset 0
		.amdhsa_system_sgpr_workgroup_id_x 1
		.amdhsa_system_sgpr_workgroup_id_y 0
		.amdhsa_system_sgpr_workgroup_id_z 1
		.amdhsa_system_sgpr_workgroup_info 0
		.amdhsa_system_vgpr_workitem_id 0
		.amdhsa_next_free_vgpr 10
		.amdhsa_next_free_sgpr 20
		.amdhsa_accum_offset 12
		.amdhsa_reserve_vcc 1
		.amdhsa_reserve_flat_scratch 0
		.amdhsa_float_round_mode_32 0
		.amdhsa_float_round_mode_16_64 0
		.amdhsa_float_denorm_mode_32 3
		.amdhsa_float_denorm_mode_16_64 3
		.amdhsa_dx10_clamp 1
		.amdhsa_ieee_mode 1
		.amdhsa_fp16_overflow 0
		.amdhsa_tg_split 0
		.amdhsa_exception_fp_ieee_invalid_op 0
		.amdhsa_exception_fp_denorm_src 0
		.amdhsa_exception_fp_ieee_div_zero 0
		.amdhsa_exception_fp_ieee_overflow 0
		.amdhsa_exception_fp_ieee_underflow 0
		.amdhsa_exception_fp_ieee_inexact 0
		.amdhsa_exception_int_div_zero 0
	.end_amdhsa_kernel
	.section	.text._ZL24rocblas_dot_kernel_magsqIiLb1ELi1024ELi32ELb1EfPKPK16rocblas_bfloat16fEviT5_lT_liPT6_PT4_,"axG",@progbits,_ZL24rocblas_dot_kernel_magsqIiLb1ELi1024ELi32ELb1EfPKPK16rocblas_bfloat16fEviT5_lT_liPT6_PT4_,comdat
.Lfunc_end557:
	.size	_ZL24rocblas_dot_kernel_magsqIiLb1ELi1024ELi32ELb1EfPKPK16rocblas_bfloat16fEviT5_lT_liPT6_PT4_, .Lfunc_end557-_ZL24rocblas_dot_kernel_magsqIiLb1ELi1024ELi32ELb1EfPKPK16rocblas_bfloat16fEviT5_lT_liPT6_PT4_
                                        ; -- End function
	.section	.AMDGPU.csdata,"",@progbits
; Kernel info:
; codeLenInByte = 808
; NumSgprs: 24
; NumVgprs: 10
; NumAgprs: 0
; TotalNumVgprs: 10
; ScratchSize: 0
; MemoryBound: 0
; FloatMode: 240
; IeeeMode: 1
; LDSByteSize: 256 bytes/workgroup (compile time only)
; SGPRBlocks: 2
; VGPRBlocks: 1
; NumSGPRsForWavesPerEU: 24
; NumVGPRsForWavesPerEU: 10
; AccumOffset: 12
; Occupancy: 8
; WaveLimiterHint : 0
; COMPUTE_PGM_RSRC2:SCRATCH_EN: 0
; COMPUTE_PGM_RSRC2:USER_SGPR: 6
; COMPUTE_PGM_RSRC2:TRAP_HANDLER: 0
; COMPUTE_PGM_RSRC2:TGID_X_EN: 1
; COMPUTE_PGM_RSRC2:TGID_Y_EN: 0
; COMPUTE_PGM_RSRC2:TGID_Z_EN: 1
; COMPUTE_PGM_RSRC2:TIDIG_COMP_CNT: 0
; COMPUTE_PGM_RSRC3_GFX90A:ACCUM_OFFSET: 2
; COMPUTE_PGM_RSRC3_GFX90A:TG_SPLIT: 0
	.section	.text._ZL18rocblas_dot_kernelIiLb0ELi512ELi4ELb1EfPKPK16rocblas_bfloat16fEviT5_lT_lS5_lS6_liPT6_PT4_,"axG",@progbits,_ZL18rocblas_dot_kernelIiLb0ELi512ELi4ELb1EfPKPK16rocblas_bfloat16fEviT5_lT_lS5_lS6_liPT6_PT4_,comdat
	.globl	_ZL18rocblas_dot_kernelIiLb0ELi512ELi4ELb1EfPKPK16rocblas_bfloat16fEviT5_lT_lS5_lS6_liPT6_PT4_ ; -- Begin function _ZL18rocblas_dot_kernelIiLb0ELi512ELi4ELb1EfPKPK16rocblas_bfloat16fEviT5_lT_lS5_lS6_liPT6_PT4_
	.p2align	8
	.type	_ZL18rocblas_dot_kernelIiLb0ELi512ELi4ELb1EfPKPK16rocblas_bfloat16fEviT5_lT_lS5_lS6_liPT6_PT4_,@function
_ZL18rocblas_dot_kernelIiLb0ELi512ELi4ELb1EfPKPK16rocblas_bfloat16fEviT5_lT_lS5_lS6_liPT6_PT4_: ; @_ZL18rocblas_dot_kernelIiLb0ELi512ELi4ELb1EfPKPK16rocblas_bfloat16fEviT5_lT_lS5_lS6_liPT6_PT4_
; %bb.0:
	s_mov_b32 s2, s7
	s_load_dword s18, s[4:5], 0x60
	s_load_dword s7, s[4:5], 0x0
	s_load_dwordx4 s[8:11], s[4:5], 0x50
	v_lshl_or_b32 v4, s6, 9, v0
	s_mov_b32 s3, 0
	v_mov_b32_e32 v1, 0
	s_waitcnt lgkmcnt(0)
	v_cmp_gt_i32_e32 vcc, s7, v4
	s_and_saveexec_b64 s[12:13], vcc
	s_cbranch_execz .LBB558_4
; %bb.1:
	s_load_dwordx4 s[20:23], s[4:5], 0x8
	s_load_dword s16, s[4:5], 0x18
	s_load_dwordx4 s[24:27], s[4:5], 0x28
	s_load_dword s17, s[4:5], 0x38
	s_lshl_b64 s[0:1], s[2:3], 3
	s_waitcnt lgkmcnt(0)
	s_add_u32 s4, s20, s0
	s_addc_u32 s5, s21, s1
	s_load_dwordx2 s[4:5], s[4:5], 0x0
	s_add_u32 s0, s24, s0
	s_addc_u32 s1, s25, s1
	v_mad_i64_i32 v[2:3], s[14:15], s16, v4, 0
	s_load_dwordx2 s[0:1], s[0:1], 0x0
	s_lshl_b32 s19, s18, 9
	s_lshl_b64 s[14:15], s[22:23], 1
	s_waitcnt lgkmcnt(0)
	s_add_u32 s4, s4, s14
	v_lshlrev_b64 v[2:3], 1, v[2:3]
	s_addc_u32 s5, s5, s15
	v_add_u32_e32 v6, s19, v4
	v_mov_b32_e32 v1, s5
	v_add_co_u32_e32 v2, vcc, s4, v2
	s_mul_hi_i32 s5, s16, s19
	s_mul_i32 s4, s16, s19
	v_mad_i64_i32 v[4:5], s[14:15], s17, v4, 0
	s_lshl_b64 s[4:5], s[4:5], 1
	s_lshl_b64 s[14:15], s[26:27], 1
	s_add_u32 s0, s0, s14
	v_addc_co_u32_e32 v3, vcc, v1, v3, vcc
	v_lshlrev_b64 v[4:5], 1, v[4:5]
	s_addc_u32 s1, s1, s15
	v_mov_b32_e32 v1, s1
	v_add_co_u32_e32 v4, vcc, s0, v4
	s_mul_hi_i32 s1, s17, s19
	s_mul_i32 s0, s17, s19
	s_lshl_b64 s[16:17], s[0:1], 1
	v_addc_co_u32_e32 v5, vcc, v1, v5, vcc
	s_mov_b64 s[14:15], 0
	v_mov_b32_e32 v1, 0
	v_mov_b32_e32 v7, s5
	;; [unrolled: 1-line block ×3, first 2 shown]
	s_mov_b32 s5, s3
.LBB558_2:                              ; =>This Inner Loop Header: Depth=1
	global_load_ushort v9, v[4:5], off
	global_load_ushort v10, v[2:3], off
	v_add_co_u32_e64 v2, s[0:1], s4, v2
	v_addc_co_u32_e64 v3, s[0:1], v3, v7, s[0:1]
	s_add_i32 s17, s5, 1
	v_add_co_u32_e64 v4, s[0:1], s16, v4
	v_addc_co_u32_e64 v5, s[0:1], v5, v8, s[0:1]
	s_cmp_gt_u32 s5, 2
	v_cmp_le_i32_e32 vcc, s7, v6
	s_cselect_b64 s[0:1], -1, 0
	s_or_b64 s[0:1], s[0:1], vcc
	s_and_b64 s[0:1], exec, s[0:1]
	v_add_u32_e32 v6, s19, v6
	s_mov_b32 s5, s17
	s_or_b64 s[14:15], s[0:1], s[14:15]
	s_waitcnt vmcnt(1)
	v_lshlrev_b32_e32 v9, 16, v9
	s_waitcnt vmcnt(0)
	v_lshlrev_b32_e32 v10, 16, v10
	v_fmac_f32_e32 v1, v10, v9
	s_andn2_b64 exec, exec, s[14:15]
	s_cbranch_execnz .LBB558_2
; %bb.3:
	s_or_b64 exec, exec, s[14:15]
.LBB558_4:
	s_or_b64 exec, exec, s[12:13]
	v_and_b32_e32 v3, 63, v0
	v_cmp_gt_u32_e32 vcc, 64, v0
	v_lshlrev_b32_e32 v2, 2, v3
	s_and_saveexec_b64 s[0:1], vcc
	s_cbranch_execz .LBB558_6
; %bb.5:
	v_mov_b32_e32 v4, 0
	ds_write_b32 v2, v4
.LBB558_6:
	s_or_b64 exec, exec, s[0:1]
	v_mbcnt_lo_u32_b32 v4, -1, 0
	v_mbcnt_hi_u32_b32 v6, -1, v4
	v_and_b32_e32 v7, 63, v6
	v_cmp_gt_u32_e64 s[0:1], 32, v7
	v_cndmask_b32_e64 v4, 0, 1, s[0:1]
	v_lshlrev_b32_e32 v4, 5, v4
	v_add_lshl_u32 v4, v4, v6, 2
	ds_bpermute_b32 v4, v4, v1
	v_cmp_gt_u32_e64 s[0:1], 48, v7
	v_cndmask_b32_e64 v5, 0, 1, s[0:1]
	v_lshlrev_b32_e32 v5, 4, v5
	v_cmp_gt_u32_e64 s[0:1], 56, v7
	s_waitcnt lgkmcnt(0)
	v_add_f32_e32 v1, v1, v4
	v_add_lshl_u32 v4, v5, v6, 2
	ds_bpermute_b32 v4, v4, v1
	v_cndmask_b32_e64 v5, 0, 1, s[0:1]
	v_lshlrev_b32_e32 v5, 3, v5
	v_cmp_gt_u32_e64 s[0:1], 60, v7
	s_waitcnt lgkmcnt(0)
	v_add_f32_e32 v1, v1, v4
	v_add_lshl_u32 v4, v5, v6, 2
	ds_bpermute_b32 v4, v4, v1
	v_cndmask_b32_e64 v5, 0, 1, s[0:1]
	v_lshlrev_b32_e32 v5, 2, v5
	v_cmp_gt_u32_e64 s[0:1], 62, v7
	v_cndmask_b32_e64 v8, 0, 1, s[0:1]
	s_waitcnt lgkmcnt(0)
	v_add_f32_e32 v1, v1, v4
	v_add_lshl_u32 v4, v5, v6, 2
	ds_bpermute_b32 v5, v4, v1
	v_lshlrev_b32_e32 v8, 1, v8
	v_cmp_ne_u32_e64 s[0:1], 63, v7
	s_barrier
	s_waitcnt lgkmcnt(0)
	v_add_f32_e32 v1, v1, v5
	v_add_lshl_u32 v5, v8, v6, 2
	ds_bpermute_b32 v8, v5, v1
	v_addc_co_u32_e64 v6, s[0:1], 0, v6, s[0:1]
	v_lshlrev_b32_e32 v6, 2, v6
	v_cmp_eq_u32_e64 s[0:1], 0, v3
	s_waitcnt lgkmcnt(0)
	v_add_f32_e32 v1, v1, v8
	ds_bpermute_b32 v7, v6, v1
	s_and_saveexec_b64 s[4:5], s[0:1]
	s_cbranch_execz .LBB558_8
; %bb.7:
	v_lshrrev_b32_e32 v3, 4, v0
	s_waitcnt lgkmcnt(0)
	v_add_f32_e32 v1, v1, v7
	v_and_b32_e32 v3, 28, v3
	ds_write_b32 v3, v1
.LBB558_8:
	s_or_b64 exec, exec, s[4:5]
	v_cmp_gt_u32_e64 s[0:1], 8, v0
	v_mov_b32_e32 v1, 0
	s_waitcnt lgkmcnt(0)
	s_barrier
	s_and_saveexec_b64 s[4:5], s[0:1]
	s_cbranch_execnz .LBB558_12
; %bb.9:
	s_or_b64 exec, exec, s[4:5]
	s_and_saveexec_b64 s[0:1], vcc
	s_cbranch_execnz .LBB558_13
.LBB558_10:
	s_or_b64 exec, exec, s[0:1]
	v_cmp_eq_u32_e32 vcc, 0, v0
	s_and_saveexec_b64 s[0:1], vcc
	s_cbranch_execnz .LBB558_14
.LBB558_11:
	s_endpgm
.LBB558_12:
	ds_read_b32 v1, v2
	s_or_b64 exec, exec, s[4:5]
	s_and_saveexec_b64 s[0:1], vcc
	s_cbranch_execz .LBB558_10
.LBB558_13:
	s_waitcnt lgkmcnt(0)
	ds_bpermute_b32 v2, v4, v1
	s_waitcnt lgkmcnt(0)
	v_add_f32_e32 v1, v1, v2
	ds_bpermute_b32 v2, v5, v1
	s_waitcnt lgkmcnt(0)
	v_add_f32_e32 v1, v1, v2
	;; [unrolled: 3-line block ×3, first 2 shown]
	s_or_b64 exec, exec, s[0:1]
	v_cmp_eq_u32_e32 vcc, 0, v0
	s_and_saveexec_b64 s[0:1], vcc
	s_cbranch_execz .LBB558_11
.LBB558_14:
	s_cmp_lg_u32 s18, 1
	s_cbranch_scc0 .LBB558_16
; %bb.15:
	s_mul_hi_u32 s1, s18, s2
	s_mul_i32 s0, s18, s2
	s_lshl_b64 s[0:1], s[0:1], 2
	s_mov_b32 s7, 0
	s_add_u32 s4, s8, s0
	s_addc_u32 s5, s9, s1
	s_lshl_b64 s[0:1], s[6:7], 2
	s_add_u32 s0, s4, s0
	s_addc_u32 s1, s5, s1
	s_cbranch_execz .LBB558_17
	s_branch .LBB558_18
.LBB558_16:
                                        ; implicit-def: $sgpr0_sgpr1
.LBB558_17:
	s_lshl_b64 s[0:1], s[2:3], 2
	s_add_u32 s0, s10, s0
	s_addc_u32 s1, s11, s1
.LBB558_18:
	v_mov_b32_e32 v0, 0
	s_waitcnt lgkmcnt(0)
	global_store_dword v0, v1, s[0:1]
	s_endpgm
	.section	.rodata,"a",@progbits
	.p2align	6, 0x0
	.amdhsa_kernel _ZL18rocblas_dot_kernelIiLb0ELi512ELi4ELb1EfPKPK16rocblas_bfloat16fEviT5_lT_lS5_lS6_liPT6_PT4_
		.amdhsa_group_segment_fixed_size 256
		.amdhsa_private_segment_fixed_size 0
		.amdhsa_kernarg_size 352
		.amdhsa_user_sgpr_count 6
		.amdhsa_user_sgpr_private_segment_buffer 1
		.amdhsa_user_sgpr_dispatch_ptr 0
		.amdhsa_user_sgpr_queue_ptr 0
		.amdhsa_user_sgpr_kernarg_segment_ptr 1
		.amdhsa_user_sgpr_dispatch_id 0
		.amdhsa_user_sgpr_flat_scratch_init 0
		.amdhsa_user_sgpr_kernarg_preload_length 0
		.amdhsa_user_sgpr_kernarg_preload_offset 0
		.amdhsa_user_sgpr_private_segment_size 0
		.amdhsa_uses_dynamic_stack 0
		.amdhsa_system_sgpr_private_segment_wavefront_offset 0
		.amdhsa_system_sgpr_workgroup_id_x 1
		.amdhsa_system_sgpr_workgroup_id_y 0
		.amdhsa_system_sgpr_workgroup_id_z 1
		.amdhsa_system_sgpr_workgroup_info 0
		.amdhsa_system_vgpr_workitem_id 0
		.amdhsa_next_free_vgpr 11
		.amdhsa_next_free_sgpr 28
		.amdhsa_accum_offset 12
		.amdhsa_reserve_vcc 1
		.amdhsa_reserve_flat_scratch 0
		.amdhsa_float_round_mode_32 0
		.amdhsa_float_round_mode_16_64 0
		.amdhsa_float_denorm_mode_32 3
		.amdhsa_float_denorm_mode_16_64 3
		.amdhsa_dx10_clamp 1
		.amdhsa_ieee_mode 1
		.amdhsa_fp16_overflow 0
		.amdhsa_tg_split 0
		.amdhsa_exception_fp_ieee_invalid_op 0
		.amdhsa_exception_fp_denorm_src 0
		.amdhsa_exception_fp_ieee_div_zero 0
		.amdhsa_exception_fp_ieee_overflow 0
		.amdhsa_exception_fp_ieee_underflow 0
		.amdhsa_exception_fp_ieee_inexact 0
		.amdhsa_exception_int_div_zero 0
	.end_amdhsa_kernel
	.section	.text._ZL18rocblas_dot_kernelIiLb0ELi512ELi4ELb1EfPKPK16rocblas_bfloat16fEviT5_lT_lS5_lS6_liPT6_PT4_,"axG",@progbits,_ZL18rocblas_dot_kernelIiLb0ELi512ELi4ELb1EfPKPK16rocblas_bfloat16fEviT5_lT_lS5_lS6_liPT6_PT4_,comdat
.Lfunc_end558:
	.size	_ZL18rocblas_dot_kernelIiLb0ELi512ELi4ELb1EfPKPK16rocblas_bfloat16fEviT5_lT_lS5_lS6_liPT6_PT4_, .Lfunc_end558-_ZL18rocblas_dot_kernelIiLb0ELi512ELi4ELb1EfPKPK16rocblas_bfloat16fEviT5_lT_lS5_lS6_liPT6_PT4_
                                        ; -- End function
	.section	.AMDGPU.csdata,"",@progbits
; Kernel info:
; codeLenInByte = 972
; NumSgprs: 32
; NumVgprs: 11
; NumAgprs: 0
; TotalNumVgprs: 11
; ScratchSize: 0
; MemoryBound: 0
; FloatMode: 240
; IeeeMode: 1
; LDSByteSize: 256 bytes/workgroup (compile time only)
; SGPRBlocks: 3
; VGPRBlocks: 1
; NumSGPRsForWavesPerEU: 32
; NumVGPRsForWavesPerEU: 11
; AccumOffset: 12
; Occupancy: 8
; WaveLimiterHint : 0
; COMPUTE_PGM_RSRC2:SCRATCH_EN: 0
; COMPUTE_PGM_RSRC2:USER_SGPR: 6
; COMPUTE_PGM_RSRC2:TRAP_HANDLER: 0
; COMPUTE_PGM_RSRC2:TGID_X_EN: 1
; COMPUTE_PGM_RSRC2:TGID_Y_EN: 0
; COMPUTE_PGM_RSRC2:TGID_Z_EN: 1
; COMPUTE_PGM_RSRC2:TIDIG_COMP_CNT: 0
; COMPUTE_PGM_RSRC3_GFX90A:ACCUM_OFFSET: 2
; COMPUTE_PGM_RSRC3_GFX90A:TG_SPLIT: 0
	.section	.text._ZL24rocblas_dot_kernel_magsqIiLb0ELi512ELi4ELb1EfPKPK16rocblas_bfloat16fEviT5_lT_liPT6_PT4_,"axG",@progbits,_ZL24rocblas_dot_kernel_magsqIiLb0ELi512ELi4ELb1EfPKPK16rocblas_bfloat16fEviT5_lT_liPT6_PT4_,comdat
	.globl	_ZL24rocblas_dot_kernel_magsqIiLb0ELi512ELi4ELb1EfPKPK16rocblas_bfloat16fEviT5_lT_liPT6_PT4_ ; -- Begin function _ZL24rocblas_dot_kernel_magsqIiLb0ELi512ELi4ELb1EfPKPK16rocblas_bfloat16fEviT5_lT_liPT6_PT4_
	.p2align	8
	.type	_ZL24rocblas_dot_kernel_magsqIiLb0ELi512ELi4ELb1EfPKPK16rocblas_bfloat16fEviT5_lT_liPT6_PT4_,@function
_ZL24rocblas_dot_kernel_magsqIiLb0ELi512ELi4ELb1EfPKPK16rocblas_bfloat16fEviT5_lT_liPT6_PT4_: ; @_ZL24rocblas_dot_kernel_magsqIiLb0ELi512ELi4ELb1EfPKPK16rocblas_bfloat16fEviT5_lT_liPT6_PT4_
; %bb.0:
	s_mov_b32 s2, s7
	s_load_dword s7, s[4:5], 0x0
	s_load_dwordx4 s[8:11], s[4:5], 0x30
	s_load_dword s16, s[4:5], 0x40
	v_lshl_or_b32 v2, s6, 9, v0
	s_mov_b32 s3, 0
	s_waitcnt lgkmcnt(0)
	v_cmp_gt_i32_e32 vcc, s7, v2
	v_mov_b32_e32 v1, 0
	s_and_saveexec_b64 s[12:13], vcc
	s_cbranch_execz .LBB559_4
; %bb.1:
	s_load_dwordx4 s[20:23], s[4:5], 0x8
	s_load_dword s14, s[4:5], 0x18
	s_lshl_b64 s[0:1], s[2:3], 3
	s_waitcnt lgkmcnt(0)
	s_add_u32 s0, s20, s0
	s_addc_u32 s1, s21, s1
	s_load_dwordx2 s[0:1], s[0:1], 0x0
	v_mad_i64_i32 v[4:5], s[4:5], s14, v2, 0
	s_lshl_b32 s17, s16, 9
	s_lshl_b64 s[4:5], s[22:23], 1
	s_waitcnt lgkmcnt(0)
	s_add_u32 s0, s0, s4
	v_lshlrev_b64 v[6:7], 1, v[4:5]
	s_addc_u32 s1, s1, s5
	v_add_u32_e32 v4, s17, v2
	v_mov_b32_e32 v1, s1
	v_add_co_u32_e32 v2, vcc, s0, v6
	s_mul_hi_i32 s1, s14, s17
	s_mul_i32 s0, s14, s17
	s_lshl_b64 s[14:15], s[0:1], 1
	v_addc_co_u32_e32 v3, vcc, v1, v7, vcc
	s_mov_b64 s[4:5], 0
	v_mov_b32_e32 v1, 0
	v_mov_b32_e32 v5, s15
	s_mov_b32 s15, s3
.LBB559_2:                              ; =>This Inner Loop Header: Depth=1
	global_load_ushort v6, v[2:3], off
	s_add_i32 s18, s15, 1
	v_add_co_u32_e64 v2, s[0:1], s14, v2
	v_addc_co_u32_e64 v3, s[0:1], v3, v5, s[0:1]
	s_cmp_gt_u32 s15, 2
	v_cmp_le_i32_e32 vcc, s7, v4
	s_cselect_b64 s[0:1], -1, 0
	s_or_b64 s[0:1], s[0:1], vcc
	s_and_b64 s[0:1], exec, s[0:1]
	v_add_u32_e32 v4, s17, v4
	s_mov_b32 s15, s18
	s_or_b64 s[4:5], s[0:1], s[4:5]
	s_waitcnt vmcnt(0)
	v_lshlrev_b32_e32 v6, 16, v6
	v_fmac_f32_e32 v1, v6, v6
	s_andn2_b64 exec, exec, s[4:5]
	s_cbranch_execnz .LBB559_2
; %bb.3:
	s_or_b64 exec, exec, s[4:5]
.LBB559_4:
	s_or_b64 exec, exec, s[12:13]
	v_and_b32_e32 v3, 63, v0
	v_cmp_gt_u32_e32 vcc, 64, v0
	v_lshlrev_b32_e32 v2, 2, v3
	s_and_saveexec_b64 s[0:1], vcc
	s_cbranch_execz .LBB559_6
; %bb.5:
	v_mov_b32_e32 v4, 0
	ds_write_b32 v2, v4
.LBB559_6:
	s_or_b64 exec, exec, s[0:1]
	v_mbcnt_lo_u32_b32 v4, -1, 0
	v_mbcnt_hi_u32_b32 v6, -1, v4
	v_and_b32_e32 v7, 63, v6
	v_cmp_gt_u32_e64 s[0:1], 32, v7
	v_cndmask_b32_e64 v4, 0, 1, s[0:1]
	v_lshlrev_b32_e32 v4, 5, v4
	v_add_lshl_u32 v4, v4, v6, 2
	ds_bpermute_b32 v4, v4, v1
	v_cmp_gt_u32_e64 s[0:1], 48, v7
	v_cndmask_b32_e64 v5, 0, 1, s[0:1]
	v_lshlrev_b32_e32 v5, 4, v5
	v_cmp_gt_u32_e64 s[0:1], 56, v7
	s_waitcnt lgkmcnt(0)
	v_add_f32_e32 v1, v1, v4
	v_add_lshl_u32 v4, v5, v6, 2
	ds_bpermute_b32 v4, v4, v1
	v_cndmask_b32_e64 v5, 0, 1, s[0:1]
	v_lshlrev_b32_e32 v5, 3, v5
	v_cmp_gt_u32_e64 s[0:1], 60, v7
	s_waitcnt lgkmcnt(0)
	v_add_f32_e32 v1, v1, v4
	v_add_lshl_u32 v4, v5, v6, 2
	ds_bpermute_b32 v4, v4, v1
	v_cndmask_b32_e64 v5, 0, 1, s[0:1]
	v_lshlrev_b32_e32 v5, 2, v5
	v_cmp_gt_u32_e64 s[0:1], 62, v7
	v_cndmask_b32_e64 v8, 0, 1, s[0:1]
	s_waitcnt lgkmcnt(0)
	v_add_f32_e32 v1, v1, v4
	v_add_lshl_u32 v4, v5, v6, 2
	ds_bpermute_b32 v5, v4, v1
	v_lshlrev_b32_e32 v8, 1, v8
	v_cmp_ne_u32_e64 s[0:1], 63, v7
	s_barrier
	s_waitcnt lgkmcnt(0)
	v_add_f32_e32 v1, v1, v5
	v_add_lshl_u32 v5, v8, v6, 2
	ds_bpermute_b32 v8, v5, v1
	v_addc_co_u32_e64 v6, s[0:1], 0, v6, s[0:1]
	v_lshlrev_b32_e32 v6, 2, v6
	v_cmp_eq_u32_e64 s[0:1], 0, v3
	s_waitcnt lgkmcnt(0)
	v_add_f32_e32 v1, v1, v8
	ds_bpermute_b32 v7, v6, v1
	s_and_saveexec_b64 s[4:5], s[0:1]
	s_cbranch_execz .LBB559_8
; %bb.7:
	v_lshrrev_b32_e32 v3, 4, v0
	s_waitcnt lgkmcnt(0)
	v_add_f32_e32 v1, v1, v7
	v_and_b32_e32 v3, 28, v3
	ds_write_b32 v3, v1
.LBB559_8:
	s_or_b64 exec, exec, s[4:5]
	v_cmp_gt_u32_e64 s[0:1], 8, v0
	v_mov_b32_e32 v1, 0
	s_waitcnt lgkmcnt(0)
	s_barrier
	s_and_saveexec_b64 s[4:5], s[0:1]
	s_cbranch_execnz .LBB559_12
; %bb.9:
	s_or_b64 exec, exec, s[4:5]
	s_and_saveexec_b64 s[0:1], vcc
	s_cbranch_execnz .LBB559_13
.LBB559_10:
	s_or_b64 exec, exec, s[0:1]
	v_cmp_eq_u32_e32 vcc, 0, v0
	s_and_saveexec_b64 s[0:1], vcc
	s_cbranch_execnz .LBB559_14
.LBB559_11:
	s_endpgm
.LBB559_12:
	ds_read_b32 v1, v2
	s_or_b64 exec, exec, s[4:5]
	s_and_saveexec_b64 s[0:1], vcc
	s_cbranch_execz .LBB559_10
.LBB559_13:
	s_waitcnt lgkmcnt(0)
	ds_bpermute_b32 v2, v4, v1
	s_waitcnt lgkmcnt(0)
	v_add_f32_e32 v1, v1, v2
	ds_bpermute_b32 v2, v5, v1
	s_waitcnt lgkmcnt(0)
	v_add_f32_e32 v1, v1, v2
	;; [unrolled: 3-line block ×3, first 2 shown]
	s_or_b64 exec, exec, s[0:1]
	v_cmp_eq_u32_e32 vcc, 0, v0
	s_and_saveexec_b64 s[0:1], vcc
	s_cbranch_execz .LBB559_11
.LBB559_14:
	s_cmp_lg_u32 s16, 1
	s_cbranch_scc0 .LBB559_16
; %bb.15:
	s_mul_hi_u32 s1, s16, s2
	s_mul_i32 s0, s16, s2
	s_lshl_b64 s[0:1], s[0:1], 2
	s_mov_b32 s7, 0
	s_add_u32 s4, s8, s0
	s_addc_u32 s5, s9, s1
	s_lshl_b64 s[0:1], s[6:7], 2
	s_add_u32 s0, s4, s0
	s_addc_u32 s1, s5, s1
	s_cbranch_execz .LBB559_17
	s_branch .LBB559_18
.LBB559_16:
                                        ; implicit-def: $sgpr0_sgpr1
.LBB559_17:
	s_lshl_b64 s[0:1], s[2:3], 2
	s_add_u32 s0, s10, s0
	s_addc_u32 s1, s11, s1
.LBB559_18:
	v_mov_b32_e32 v0, 0
	s_waitcnt lgkmcnt(0)
	global_store_dword v0, v1, s[0:1]
	s_endpgm
	.section	.rodata,"a",@progbits
	.p2align	6, 0x0
	.amdhsa_kernel _ZL24rocblas_dot_kernel_magsqIiLb0ELi512ELi4ELb1EfPKPK16rocblas_bfloat16fEviT5_lT_liPT6_PT4_
		.amdhsa_group_segment_fixed_size 256
		.amdhsa_private_segment_fixed_size 0
		.amdhsa_kernarg_size 320
		.amdhsa_user_sgpr_count 6
		.amdhsa_user_sgpr_private_segment_buffer 1
		.amdhsa_user_sgpr_dispatch_ptr 0
		.amdhsa_user_sgpr_queue_ptr 0
		.amdhsa_user_sgpr_kernarg_segment_ptr 1
		.amdhsa_user_sgpr_dispatch_id 0
		.amdhsa_user_sgpr_flat_scratch_init 0
		.amdhsa_user_sgpr_kernarg_preload_length 0
		.amdhsa_user_sgpr_kernarg_preload_offset 0
		.amdhsa_user_sgpr_private_segment_size 0
		.amdhsa_uses_dynamic_stack 0
		.amdhsa_system_sgpr_private_segment_wavefront_offset 0
		.amdhsa_system_sgpr_workgroup_id_x 1
		.amdhsa_system_sgpr_workgroup_id_y 0
		.amdhsa_system_sgpr_workgroup_id_z 1
		.amdhsa_system_sgpr_workgroup_info 0
		.amdhsa_system_vgpr_workitem_id 0
		.amdhsa_next_free_vgpr 9
		.amdhsa_next_free_sgpr 24
		.amdhsa_accum_offset 12
		.amdhsa_reserve_vcc 1
		.amdhsa_reserve_flat_scratch 0
		.amdhsa_float_round_mode_32 0
		.amdhsa_float_round_mode_16_64 0
		.amdhsa_float_denorm_mode_32 3
		.amdhsa_float_denorm_mode_16_64 3
		.amdhsa_dx10_clamp 1
		.amdhsa_ieee_mode 1
		.amdhsa_fp16_overflow 0
		.amdhsa_tg_split 0
		.amdhsa_exception_fp_ieee_invalid_op 0
		.amdhsa_exception_fp_denorm_src 0
		.amdhsa_exception_fp_ieee_div_zero 0
		.amdhsa_exception_fp_ieee_overflow 0
		.amdhsa_exception_fp_ieee_underflow 0
		.amdhsa_exception_fp_ieee_inexact 0
		.amdhsa_exception_int_div_zero 0
	.end_amdhsa_kernel
	.section	.text._ZL24rocblas_dot_kernel_magsqIiLb0ELi512ELi4ELb1EfPKPK16rocblas_bfloat16fEviT5_lT_liPT6_PT4_,"axG",@progbits,_ZL24rocblas_dot_kernel_magsqIiLb0ELi512ELi4ELb1EfPKPK16rocblas_bfloat16fEviT5_lT_liPT6_PT4_,comdat
.Lfunc_end559:
	.size	_ZL24rocblas_dot_kernel_magsqIiLb0ELi512ELi4ELb1EfPKPK16rocblas_bfloat16fEviT5_lT_liPT6_PT4_, .Lfunc_end559-_ZL24rocblas_dot_kernel_magsqIiLb0ELi512ELi4ELb1EfPKPK16rocblas_bfloat16fEviT5_lT_liPT6_PT4_
                                        ; -- End function
	.section	.AMDGPU.csdata,"",@progbits
; Kernel info:
; codeLenInByte = 852
; NumSgprs: 28
; NumVgprs: 9
; NumAgprs: 0
; TotalNumVgprs: 9
; ScratchSize: 0
; MemoryBound: 0
; FloatMode: 240
; IeeeMode: 1
; LDSByteSize: 256 bytes/workgroup (compile time only)
; SGPRBlocks: 3
; VGPRBlocks: 1
; NumSGPRsForWavesPerEU: 28
; NumVGPRsForWavesPerEU: 9
; AccumOffset: 12
; Occupancy: 8
; WaveLimiterHint : 0
; COMPUTE_PGM_RSRC2:SCRATCH_EN: 0
; COMPUTE_PGM_RSRC2:USER_SGPR: 6
; COMPUTE_PGM_RSRC2:TRAP_HANDLER: 0
; COMPUTE_PGM_RSRC2:TGID_X_EN: 1
; COMPUTE_PGM_RSRC2:TGID_Y_EN: 0
; COMPUTE_PGM_RSRC2:TGID_Z_EN: 1
; COMPUTE_PGM_RSRC2:TIDIG_COMP_CNT: 0
; COMPUTE_PGM_RSRC3_GFX90A:ACCUM_OFFSET: 2
; COMPUTE_PGM_RSRC3_GFX90A:TG_SPLIT: 0
	.section	.text._ZL28rocblas_dot_batched_4_kernelIlLi32ELi4ELb1Ef16rocblas_bfloat16PKPKS0_EviT5_lT_lS5_lS6_liPT4_,"axG",@progbits,_ZL28rocblas_dot_batched_4_kernelIlLi32ELi4ELb1Ef16rocblas_bfloat16PKPKS0_EviT5_lT_lS5_lS6_liPT4_,comdat
	.globl	_ZL28rocblas_dot_batched_4_kernelIlLi32ELi4ELb1Ef16rocblas_bfloat16PKPKS0_EviT5_lT_lS5_lS6_liPT4_ ; -- Begin function _ZL28rocblas_dot_batched_4_kernelIlLi32ELi4ELb1Ef16rocblas_bfloat16PKPKS0_EviT5_lT_lS5_lS6_liPT4_
	.p2align	8
	.type	_ZL28rocblas_dot_batched_4_kernelIlLi32ELi4ELb1Ef16rocblas_bfloat16PKPKS0_EviT5_lT_lS5_lS6_liPT4_,@function
_ZL28rocblas_dot_batched_4_kernelIlLi32ELi4ELb1Ef16rocblas_bfloat16PKPKS0_EviT5_lT_lS5_lS6_liPT4_: ; @_ZL28rocblas_dot_batched_4_kernelIlLi32ELi4ELb1Ef16rocblas_bfloat16PKPKS0_EviT5_lT_lS5_lS6_liPT4_
; %bb.0:
	s_load_dword s0, s[4:5], 0x48
	v_bfe_u32 v1, v0, 10, 10
	v_lshl_add_u32 v2, s6, 2, v1
	s_waitcnt lgkmcnt(0)
	v_cmp_gt_u32_e32 vcc, s0, v2
	s_and_saveexec_b64 s[0:1], vcc
	s_cbranch_execz .LBB560_11
; %bb.1:
	s_load_dword s14, s[4:5], 0x0
	s_load_dwordx2 s[8:9], s[4:5], 0x50
	v_mov_b32_e32 v3, 0
	v_and_b32_e32 v6, 0x3ff, v0
	v_mov_b32_e32 v7, v3
	s_waitcnt lgkmcnt(0)
	v_cmp_gt_i32_e32 vcc, s14, v6
	s_and_saveexec_b64 s[10:11], vcc
	s_cbranch_execz .LBB560_5
; %bb.2:
	s_load_dwordx2 s[6:7], s[4:5], 0x8
	s_load_dwordx2 s[12:13], s[4:5], 0x28
	v_lshlrev_b64 v[0:1], 3, v[2:3]
	s_load_dwordx4 s[0:3], s[4:5], 0x10
	s_waitcnt lgkmcnt(0)
	v_mov_b32_e32 v5, s7
	v_add_co_u32_e32 v4, vcc, s6, v0
	v_addc_co_u32_e32 v5, vcc, v5, v1, vcc
	global_load_dwordx2 v[4:5], v[4:5], off
	v_mov_b32_e32 v7, s13
	v_add_co_u32_e32 v0, vcc, s12, v0
	v_addc_co_u32_e32 v1, vcc, v7, v1, vcc
	global_load_dwordx2 v[10:11], v[0:1], off
	s_load_dwordx4 s[4:7], s[4:5], 0x30
	v_mad_u64_u32 v[0:1], s[16:17], s2, v6, 0
	v_mov_b32_e32 v14, v1
	s_lshl_b64 s[16:17], s[0:1], 1
	s_lshl_b64 s[0:1], s[2:3], 6
	s_waitcnt lgkmcnt(0)
	v_mad_u64_u32 v[12:13], s[18:19], s6, v6, 0
	v_mad_u64_u32 v[14:15], s[2:3], s3, v6, v[14:15]
	v_mov_b32_e32 v16, v13
	v_mov_b32_e32 v1, v14
	v_mad_u64_u32 v[16:17], s[2:3], s7, v6, v[16:17]
	v_lshlrev_b64 v[0:1], 1, v[0:1]
	v_mov_b32_e32 v18, s17
	v_mov_b32_e32 v13, v16
	v_add_co_u32_e32 v0, vcc, s16, v0
	s_lshl_b64 s[18:19], s[4:5], 1
	v_lshlrev_b64 v[12:13], 1, v[12:13]
	v_addc_co_u32_e32 v1, vcc, v1, v18, vcc
	v_mov_b32_e32 v19, s19
	v_add_co_u32_e32 v12, vcc, s18, v12
	v_addc_co_u32_e32 v13, vcc, v13, v19, vcc
	s_lshl_b64 s[4:5], s[6:7], 6
	s_mov_b64 s[12:13], 0
	v_mov_b32_e32 v7, 0
	v_mov_b32_e32 v8, s1
	;; [unrolled: 1-line block ×3, first 2 shown]
	s_waitcnt vmcnt(1)
	v_add_co_u32_e32 v0, vcc, v4, v0
	v_addc_co_u32_e32 v1, vcc, v5, v1, vcc
	s_waitcnt vmcnt(0)
	v_add_co_u32_e32 v4, vcc, v10, v12
	v_addc_co_u32_e32 v5, vcc, v11, v13, vcc
	v_mov_b32_e32 v10, v6
.LBB560_3:                              ; =>This Inner Loop Header: Depth=1
	global_load_ushort v11, v[0:1], off
	global_load_ushort v12, v[4:5], off
	v_add_co_u32_e32 v0, vcc, s0, v0
	v_addc_co_u32_e32 v1, vcc, v1, v8, vcc
	v_add_co_u32_e32 v4, vcc, s4, v4
	v_add_u32_e32 v10, 32, v10
	v_addc_co_u32_e32 v5, vcc, v5, v9, vcc
	v_cmp_le_i32_e32 vcc, s14, v10
	s_or_b64 s[12:13], vcc, s[12:13]
	s_waitcnt vmcnt(1)
	v_lshlrev_b32_e32 v11, 16, v11
	s_waitcnt vmcnt(0)
	v_lshlrev_b32_e32 v12, 16, v12
	v_fmac_f32_e32 v7, v12, v11
	s_andn2_b64 exec, exec, s[12:13]
	s_cbranch_execnz .LBB560_3
; %bb.4:
	s_or_b64 exec, exec, s[12:13]
.LBB560_5:
	s_or_b64 exec, exec, s[10:11]
	v_mbcnt_lo_u32_b32 v0, -1, 0
	v_mbcnt_hi_u32_b32 v0, -1, v0
	v_and_b32_e32 v1, 63, v0
	v_cmp_gt_u32_e32 vcc, 48, v1
	v_cndmask_b32_e64 v4, 0, 1, vcc
	v_lshlrev_b32_e32 v4, 4, v4
	v_add_lshl_u32 v4, v4, v0, 2
	ds_bpermute_b32 v4, v4, v7
	v_cmp_gt_u32_e32 vcc, 56, v1
	v_cndmask_b32_e64 v5, 0, 1, vcc
	v_lshlrev_b32_e32 v5, 3, v5
	v_add_lshl_u32 v5, v5, v0, 2
	s_waitcnt lgkmcnt(0)
	v_add_f32_e32 v4, v7, v4
	ds_bpermute_b32 v5, v5, v4
	v_cmp_gt_u32_e32 vcc, 60, v1
	v_cndmask_b32_e64 v7, 0, 1, vcc
	v_lshlrev_b32_e32 v7, 2, v7
	v_cmp_gt_u32_e32 vcc, 62, v1
	s_waitcnt lgkmcnt(0)
	v_add_f32_e32 v4, v4, v5
	v_add_lshl_u32 v5, v7, v0, 2
	ds_bpermute_b32 v5, v5, v4
	v_cndmask_b32_e64 v7, 0, 1, vcc
	v_lshlrev_b32_e32 v7, 1, v7
	v_cmp_ne_u32_e32 vcc, 63, v1
	v_addc_co_u32_e32 v1, vcc, 0, v0, vcc
	s_waitcnt lgkmcnt(0)
	v_add_f32_e32 v4, v4, v5
	v_add_lshl_u32 v5, v7, v0, 2
	ds_bpermute_b32 v5, v5, v4
	v_lshlrev_b32_e32 v1, 2, v1
	v_cmp_eq_u32_e32 vcc, 0, v6
	s_waitcnt lgkmcnt(0)
	s_barrier
	v_add_f32_e32 v0, v4, v5
	ds_bpermute_b32 v1, v1, v0
	s_waitcnt lgkmcnt(0)
	s_and_b64 exec, exec, vcc
	s_cbranch_execz .LBB560_11
; %bb.6:
	v_add_f32_e32 v1, v0, v1
	s_mov_b32 s0, 0x7f800000
	v_and_b32_e32 v0, 0x7f800000, v1
	v_cmp_ne_u32_e32 vcc, s0, v0
                                        ; implicit-def: $vgpr0
	s_and_saveexec_b64 s[0:1], vcc
	s_xor_b64 s[0:1], exec, s[0:1]
; %bb.7:
	v_bfe_u32 v0, v1, 16, 1
	s_movk_i32 s2, 0x7fff
	v_add3_u32 v0, v1, v0, s2
                                        ; implicit-def: $vgpr1
; %bb.8:
	s_andn2_saveexec_b64 s[0:1], s[0:1]
; %bb.9:
	v_mov_b32_e32 v0, 0
	v_or_b32_e32 v4, 0x10000, v1
	v_cmp_eq_u32_sdwa vcc, v1, v0 src0_sel:WORD_0 src1_sel:DWORD
	v_cndmask_b32_e32 v0, v4, v1, vcc
; %bb.10:
	s_or_b64 exec, exec, s[0:1]
	v_lshlrev_b64 v[2:3], 1, v[2:3]
	v_mov_b32_e32 v1, s9
	v_add_co_u32_e32 v2, vcc, s8, v2
	v_addc_co_u32_e32 v3, vcc, v1, v3, vcc
	global_store_short_d16_hi v[2:3], v0, off
.LBB560_11:
	s_endpgm
	.section	.rodata,"a",@progbits
	.p2align	6, 0x0
	.amdhsa_kernel _ZL28rocblas_dot_batched_4_kernelIlLi32ELi4ELb1Ef16rocblas_bfloat16PKPKS0_EviT5_lT_lS5_lS6_liPT4_
		.amdhsa_group_segment_fixed_size 0
		.amdhsa_private_segment_fixed_size 0
		.amdhsa_kernarg_size 88
		.amdhsa_user_sgpr_count 6
		.amdhsa_user_sgpr_private_segment_buffer 1
		.amdhsa_user_sgpr_dispatch_ptr 0
		.amdhsa_user_sgpr_queue_ptr 0
		.amdhsa_user_sgpr_kernarg_segment_ptr 1
		.amdhsa_user_sgpr_dispatch_id 0
		.amdhsa_user_sgpr_flat_scratch_init 0
		.amdhsa_user_sgpr_kernarg_preload_length 0
		.amdhsa_user_sgpr_kernarg_preload_offset 0
		.amdhsa_user_sgpr_private_segment_size 0
		.amdhsa_uses_dynamic_stack 0
		.amdhsa_system_sgpr_private_segment_wavefront_offset 0
		.amdhsa_system_sgpr_workgroup_id_x 1
		.amdhsa_system_sgpr_workgroup_id_y 0
		.amdhsa_system_sgpr_workgroup_id_z 0
		.amdhsa_system_sgpr_workgroup_info 0
		.amdhsa_system_vgpr_workitem_id 1
		.amdhsa_next_free_vgpr 20
		.amdhsa_next_free_sgpr 20
		.amdhsa_accum_offset 20
		.amdhsa_reserve_vcc 1
		.amdhsa_reserve_flat_scratch 0
		.amdhsa_float_round_mode_32 0
		.amdhsa_float_round_mode_16_64 0
		.amdhsa_float_denorm_mode_32 3
		.amdhsa_float_denorm_mode_16_64 3
		.amdhsa_dx10_clamp 1
		.amdhsa_ieee_mode 1
		.amdhsa_fp16_overflow 0
		.amdhsa_tg_split 0
		.amdhsa_exception_fp_ieee_invalid_op 0
		.amdhsa_exception_fp_denorm_src 0
		.amdhsa_exception_fp_ieee_div_zero 0
		.amdhsa_exception_fp_ieee_overflow 0
		.amdhsa_exception_fp_ieee_underflow 0
		.amdhsa_exception_fp_ieee_inexact 0
		.amdhsa_exception_int_div_zero 0
	.end_amdhsa_kernel
	.section	.text._ZL28rocblas_dot_batched_4_kernelIlLi32ELi4ELb1Ef16rocblas_bfloat16PKPKS0_EviT5_lT_lS5_lS6_liPT4_,"axG",@progbits,_ZL28rocblas_dot_batched_4_kernelIlLi32ELi4ELb1Ef16rocblas_bfloat16PKPKS0_EviT5_lT_lS5_lS6_liPT4_,comdat
.Lfunc_end560:
	.size	_ZL28rocblas_dot_batched_4_kernelIlLi32ELi4ELb1Ef16rocblas_bfloat16PKPKS0_EviT5_lT_lS5_lS6_liPT4_, .Lfunc_end560-_ZL28rocblas_dot_batched_4_kernelIlLi32ELi4ELb1Ef16rocblas_bfloat16PKPKS0_EviT5_lT_lS5_lS6_liPT4_
                                        ; -- End function
	.section	.AMDGPU.csdata,"",@progbits
; Kernel info:
; codeLenInByte = 740
; NumSgprs: 24
; NumVgprs: 20
; NumAgprs: 0
; TotalNumVgprs: 20
; ScratchSize: 0
; MemoryBound: 0
; FloatMode: 240
; IeeeMode: 1
; LDSByteSize: 0 bytes/workgroup (compile time only)
; SGPRBlocks: 2
; VGPRBlocks: 2
; NumSGPRsForWavesPerEU: 24
; NumVGPRsForWavesPerEU: 20
; AccumOffset: 20
; Occupancy: 8
; WaveLimiterHint : 0
; COMPUTE_PGM_RSRC2:SCRATCH_EN: 0
; COMPUTE_PGM_RSRC2:USER_SGPR: 6
; COMPUTE_PGM_RSRC2:TRAP_HANDLER: 0
; COMPUTE_PGM_RSRC2:TGID_X_EN: 1
; COMPUTE_PGM_RSRC2:TGID_Y_EN: 0
; COMPUTE_PGM_RSRC2:TGID_Z_EN: 0
; COMPUTE_PGM_RSRC2:TIDIG_COMP_CNT: 1
; COMPUTE_PGM_RSRC3_GFX90A:ACCUM_OFFSET: 4
; COMPUTE_PGM_RSRC3_GFX90A:TG_SPLIT: 0
	.section	.text._ZL28rocblas_dot_batched_4_kernelIlLi64ELi4ELb1Ef16rocblas_bfloat16PKPKS0_EviT5_lT_lS5_lS6_liPT4_,"axG",@progbits,_ZL28rocblas_dot_batched_4_kernelIlLi64ELi4ELb1Ef16rocblas_bfloat16PKPKS0_EviT5_lT_lS5_lS6_liPT4_,comdat
	.globl	_ZL28rocblas_dot_batched_4_kernelIlLi64ELi4ELb1Ef16rocblas_bfloat16PKPKS0_EviT5_lT_lS5_lS6_liPT4_ ; -- Begin function _ZL28rocblas_dot_batched_4_kernelIlLi64ELi4ELb1Ef16rocblas_bfloat16PKPKS0_EviT5_lT_lS5_lS6_liPT4_
	.p2align	8
	.type	_ZL28rocblas_dot_batched_4_kernelIlLi64ELi4ELb1Ef16rocblas_bfloat16PKPKS0_EviT5_lT_lS5_lS6_liPT4_,@function
_ZL28rocblas_dot_batched_4_kernelIlLi64ELi4ELb1Ef16rocblas_bfloat16PKPKS0_EviT5_lT_lS5_lS6_liPT4_: ; @_ZL28rocblas_dot_batched_4_kernelIlLi64ELi4ELb1Ef16rocblas_bfloat16PKPKS0_EviT5_lT_lS5_lS6_liPT4_
; %bb.0:
	s_load_dword s0, s[4:5], 0x48
	v_bfe_u32 v1, v0, 10, 10
	v_lshl_add_u32 v2, s6, 2, v1
	s_waitcnt lgkmcnt(0)
	v_cmp_gt_u32_e32 vcc, s0, v2
	s_and_saveexec_b64 s[0:1], vcc
	s_cbranch_execz .LBB561_11
; %bb.1:
	s_load_dword s14, s[4:5], 0x0
	s_load_dwordx2 s[8:9], s[4:5], 0x50
	v_mov_b32_e32 v3, 0
	v_and_b32_e32 v6, 0x3ff, v0
	v_mov_b32_e32 v7, v3
	s_waitcnt lgkmcnt(0)
	v_cmp_gt_i32_e32 vcc, s14, v6
	s_and_saveexec_b64 s[10:11], vcc
	s_cbranch_execz .LBB561_5
; %bb.2:
	s_load_dwordx2 s[6:7], s[4:5], 0x8
	s_load_dwordx2 s[12:13], s[4:5], 0x28
	v_lshlrev_b64 v[0:1], 3, v[2:3]
	s_load_dwordx4 s[0:3], s[4:5], 0x10
	s_waitcnt lgkmcnt(0)
	v_mov_b32_e32 v5, s7
	v_add_co_u32_e32 v4, vcc, s6, v0
	v_addc_co_u32_e32 v5, vcc, v5, v1, vcc
	global_load_dwordx2 v[4:5], v[4:5], off
	v_mov_b32_e32 v7, s13
	v_add_co_u32_e32 v0, vcc, s12, v0
	v_addc_co_u32_e32 v1, vcc, v7, v1, vcc
	global_load_dwordx2 v[10:11], v[0:1], off
	s_load_dwordx4 s[4:7], s[4:5], 0x30
	v_mad_u64_u32 v[0:1], s[16:17], s2, v6, 0
	v_mov_b32_e32 v14, v1
	s_lshl_b64 s[16:17], s[0:1], 1
	s_lshl_b64 s[0:1], s[2:3], 7
	s_waitcnt lgkmcnt(0)
	v_mad_u64_u32 v[12:13], s[18:19], s6, v6, 0
	v_mad_u64_u32 v[14:15], s[2:3], s3, v6, v[14:15]
	v_mov_b32_e32 v16, v13
	v_mov_b32_e32 v1, v14
	v_mad_u64_u32 v[16:17], s[2:3], s7, v6, v[16:17]
	v_lshlrev_b64 v[0:1], 1, v[0:1]
	v_mov_b32_e32 v18, s17
	v_mov_b32_e32 v13, v16
	v_add_co_u32_e32 v0, vcc, s16, v0
	s_lshl_b64 s[18:19], s[4:5], 1
	v_lshlrev_b64 v[12:13], 1, v[12:13]
	v_addc_co_u32_e32 v1, vcc, v1, v18, vcc
	v_mov_b32_e32 v19, s19
	v_add_co_u32_e32 v12, vcc, s18, v12
	v_addc_co_u32_e32 v13, vcc, v13, v19, vcc
	s_lshl_b64 s[4:5], s[6:7], 7
	s_mov_b64 s[12:13], 0
	v_mov_b32_e32 v7, 0
	v_mov_b32_e32 v8, s1
	v_mov_b32_e32 v9, s5
	s_waitcnt vmcnt(1)
	v_add_co_u32_e32 v0, vcc, v4, v0
	v_addc_co_u32_e32 v1, vcc, v5, v1, vcc
	s_waitcnt vmcnt(0)
	v_add_co_u32_e32 v4, vcc, v10, v12
	v_addc_co_u32_e32 v5, vcc, v11, v13, vcc
	v_mov_b32_e32 v10, v6
.LBB561_3:                              ; =>This Inner Loop Header: Depth=1
	global_load_ushort v11, v[0:1], off
	global_load_ushort v12, v[4:5], off
	v_add_co_u32_e32 v0, vcc, s0, v0
	v_addc_co_u32_e32 v1, vcc, v1, v8, vcc
	v_add_co_u32_e32 v4, vcc, s4, v4
	v_add_u32_e32 v10, 64, v10
	v_addc_co_u32_e32 v5, vcc, v5, v9, vcc
	v_cmp_le_i32_e32 vcc, s14, v10
	s_or_b64 s[12:13], vcc, s[12:13]
	s_waitcnt vmcnt(1)
	v_lshlrev_b32_e32 v11, 16, v11
	s_waitcnt vmcnt(0)
	v_lshlrev_b32_e32 v12, 16, v12
	v_fmac_f32_e32 v7, v12, v11
	s_andn2_b64 exec, exec, s[12:13]
	s_cbranch_execnz .LBB561_3
; %bb.4:
	s_or_b64 exec, exec, s[12:13]
.LBB561_5:
	s_or_b64 exec, exec, s[10:11]
	v_mbcnt_lo_u32_b32 v0, -1, 0
	v_mbcnt_hi_u32_b32 v0, -1, v0
	v_and_b32_e32 v1, 63, v0
	v_cmp_gt_u32_e32 vcc, 32, v1
	v_cndmask_b32_e64 v4, 0, 1, vcc
	v_lshlrev_b32_e32 v4, 5, v4
	v_add_lshl_u32 v4, v4, v0, 2
	ds_bpermute_b32 v4, v4, v7
	v_cmp_gt_u32_e32 vcc, 48, v1
	v_cndmask_b32_e64 v5, 0, 1, vcc
	v_lshlrev_b32_e32 v5, 4, v5
	v_add_lshl_u32 v5, v5, v0, 2
	s_waitcnt lgkmcnt(0)
	v_add_f32_e32 v4, v7, v4
	ds_bpermute_b32 v5, v5, v4
	v_cmp_gt_u32_e32 vcc, 56, v1
	v_cndmask_b32_e64 v7, 0, 1, vcc
	v_lshlrev_b32_e32 v7, 3, v7
	v_cmp_gt_u32_e32 vcc, 60, v1
	s_waitcnt lgkmcnt(0)
	v_add_f32_e32 v4, v4, v5
	v_add_lshl_u32 v5, v7, v0, 2
	ds_bpermute_b32 v5, v5, v4
	v_cndmask_b32_e64 v7, 0, 1, vcc
	v_lshlrev_b32_e32 v7, 2, v7
	v_cmp_gt_u32_e32 vcc, 62, v1
	s_waitcnt lgkmcnt(0)
	v_add_f32_e32 v4, v4, v5
	v_add_lshl_u32 v5, v7, v0, 2
	ds_bpermute_b32 v5, v5, v4
	v_cndmask_b32_e64 v7, 0, 1, vcc
	v_lshlrev_b32_e32 v7, 1, v7
	v_cmp_ne_u32_e32 vcc, 63, v1
	v_addc_co_u32_e32 v1, vcc, 0, v0, vcc
	s_waitcnt lgkmcnt(0)
	v_add_f32_e32 v4, v4, v5
	v_add_lshl_u32 v5, v7, v0, 2
	ds_bpermute_b32 v5, v5, v4
	v_lshlrev_b32_e32 v1, 2, v1
	v_cmp_eq_u32_e32 vcc, 0, v6
	s_barrier
	s_waitcnt lgkmcnt(0)
	v_add_f32_e32 v0, v4, v5
	ds_bpermute_b32 v1, v1, v0
	s_and_b64 exec, exec, vcc
	s_cbranch_execz .LBB561_11
; %bb.6:
	s_waitcnt lgkmcnt(0)
	v_add_f32_e32 v1, v0, v1
	s_mov_b32 s0, 0x7f800000
	v_and_b32_e32 v0, 0x7f800000, v1
	v_cmp_ne_u32_e32 vcc, s0, v0
                                        ; implicit-def: $vgpr0
	s_and_saveexec_b64 s[0:1], vcc
	s_xor_b64 s[0:1], exec, s[0:1]
; %bb.7:
	v_bfe_u32 v0, v1, 16, 1
	s_movk_i32 s2, 0x7fff
	v_add3_u32 v0, v1, v0, s2
                                        ; implicit-def: $vgpr1
; %bb.8:
	s_andn2_saveexec_b64 s[0:1], s[0:1]
; %bb.9:
	v_mov_b32_e32 v0, 0
	v_or_b32_e32 v4, 0x10000, v1
	v_cmp_eq_u32_sdwa vcc, v1, v0 src0_sel:WORD_0 src1_sel:DWORD
	v_cndmask_b32_e32 v0, v4, v1, vcc
; %bb.10:
	s_or_b64 exec, exec, s[0:1]
	v_lshlrev_b64 v[2:3], 1, v[2:3]
	v_mov_b32_e32 v1, s9
	v_add_co_u32_e32 v2, vcc, s8, v2
	v_addc_co_u32_e32 v3, vcc, v1, v3, vcc
	global_store_short_d16_hi v[2:3], v0, off
.LBB561_11:
	s_endpgm
	.section	.rodata,"a",@progbits
	.p2align	6, 0x0
	.amdhsa_kernel _ZL28rocblas_dot_batched_4_kernelIlLi64ELi4ELb1Ef16rocblas_bfloat16PKPKS0_EviT5_lT_lS5_lS6_liPT4_
		.amdhsa_group_segment_fixed_size 0
		.amdhsa_private_segment_fixed_size 0
		.amdhsa_kernarg_size 88
		.amdhsa_user_sgpr_count 6
		.amdhsa_user_sgpr_private_segment_buffer 1
		.amdhsa_user_sgpr_dispatch_ptr 0
		.amdhsa_user_sgpr_queue_ptr 0
		.amdhsa_user_sgpr_kernarg_segment_ptr 1
		.amdhsa_user_sgpr_dispatch_id 0
		.amdhsa_user_sgpr_flat_scratch_init 0
		.amdhsa_user_sgpr_kernarg_preload_length 0
		.amdhsa_user_sgpr_kernarg_preload_offset 0
		.amdhsa_user_sgpr_private_segment_size 0
		.amdhsa_uses_dynamic_stack 0
		.amdhsa_system_sgpr_private_segment_wavefront_offset 0
		.amdhsa_system_sgpr_workgroup_id_x 1
		.amdhsa_system_sgpr_workgroup_id_y 0
		.amdhsa_system_sgpr_workgroup_id_z 0
		.amdhsa_system_sgpr_workgroup_info 0
		.amdhsa_system_vgpr_workitem_id 1
		.amdhsa_next_free_vgpr 20
		.amdhsa_next_free_sgpr 20
		.amdhsa_accum_offset 20
		.amdhsa_reserve_vcc 1
		.amdhsa_reserve_flat_scratch 0
		.amdhsa_float_round_mode_32 0
		.amdhsa_float_round_mode_16_64 0
		.amdhsa_float_denorm_mode_32 3
		.amdhsa_float_denorm_mode_16_64 3
		.amdhsa_dx10_clamp 1
		.amdhsa_ieee_mode 1
		.amdhsa_fp16_overflow 0
		.amdhsa_tg_split 0
		.amdhsa_exception_fp_ieee_invalid_op 0
		.amdhsa_exception_fp_denorm_src 0
		.amdhsa_exception_fp_ieee_div_zero 0
		.amdhsa_exception_fp_ieee_overflow 0
		.amdhsa_exception_fp_ieee_underflow 0
		.amdhsa_exception_fp_ieee_inexact 0
		.amdhsa_exception_int_div_zero 0
	.end_amdhsa_kernel
	.section	.text._ZL28rocblas_dot_batched_4_kernelIlLi64ELi4ELb1Ef16rocblas_bfloat16PKPKS0_EviT5_lT_lS5_lS6_liPT4_,"axG",@progbits,_ZL28rocblas_dot_batched_4_kernelIlLi64ELi4ELb1Ef16rocblas_bfloat16PKPKS0_EviT5_lT_lS5_lS6_liPT4_,comdat
.Lfunc_end561:
	.size	_ZL28rocblas_dot_batched_4_kernelIlLi64ELi4ELb1Ef16rocblas_bfloat16PKPKS0_EviT5_lT_lS5_lS6_liPT4_, .Lfunc_end561-_ZL28rocblas_dot_batched_4_kernelIlLi64ELi4ELb1Ef16rocblas_bfloat16PKPKS0_EviT5_lT_lS5_lS6_liPT4_
                                        ; -- End function
	.section	.AMDGPU.csdata,"",@progbits
; Kernel info:
; codeLenInByte = 780
; NumSgprs: 24
; NumVgprs: 20
; NumAgprs: 0
; TotalNumVgprs: 20
; ScratchSize: 0
; MemoryBound: 0
; FloatMode: 240
; IeeeMode: 1
; LDSByteSize: 0 bytes/workgroup (compile time only)
; SGPRBlocks: 2
; VGPRBlocks: 2
; NumSGPRsForWavesPerEU: 24
; NumVGPRsForWavesPerEU: 20
; AccumOffset: 20
; Occupancy: 8
; WaveLimiterHint : 0
; COMPUTE_PGM_RSRC2:SCRATCH_EN: 0
; COMPUTE_PGM_RSRC2:USER_SGPR: 6
; COMPUTE_PGM_RSRC2:TRAP_HANDLER: 0
; COMPUTE_PGM_RSRC2:TGID_X_EN: 1
; COMPUTE_PGM_RSRC2:TGID_Y_EN: 0
; COMPUTE_PGM_RSRC2:TGID_Z_EN: 0
; COMPUTE_PGM_RSRC2:TIDIG_COMP_CNT: 1
; COMPUTE_PGM_RSRC3_GFX90A:ACCUM_OFFSET: 4
; COMPUTE_PGM_RSRC3_GFX90A:TG_SPLIT: 0
	.section	.text._ZL18rocblas_dot_kernelIlLb1ELi1024ELi32ELb1E16rocblas_bfloat16PKPKS0_fEviT5_lT_lS5_lS6_liPT6_PT4_,"axG",@progbits,_ZL18rocblas_dot_kernelIlLb1ELi1024ELi32ELb1E16rocblas_bfloat16PKPKS0_fEviT5_lT_lS5_lS6_liPT6_PT4_,comdat
	.globl	_ZL18rocblas_dot_kernelIlLb1ELi1024ELi32ELb1E16rocblas_bfloat16PKPKS0_fEviT5_lT_lS5_lS6_liPT6_PT4_ ; -- Begin function _ZL18rocblas_dot_kernelIlLb1ELi1024ELi32ELb1E16rocblas_bfloat16PKPKS0_fEviT5_lT_lS5_lS6_liPT6_PT4_
	.p2align	8
	.type	_ZL18rocblas_dot_kernelIlLb1ELi1024ELi32ELb1E16rocblas_bfloat16PKPKS0_fEviT5_lT_lS5_lS6_liPT6_PT4_,@function
_ZL18rocblas_dot_kernelIlLb1ELi1024ELi32ELb1E16rocblas_bfloat16PKPKS0_fEviT5_lT_lS5_lS6_liPT6_PT4_: ; @_ZL18rocblas_dot_kernelIlLb1ELi1024ELi32ELb1E16rocblas_bfloat16PKPKS0_fEviT5_lT_lS5_lS6_liPT6_PT4_
; %bb.0:
	s_load_dword s16, s[4:5], 0x0
	s_load_dwordx2 s[12:13], s[4:5], 0x58
	s_mov_b32 s6, s7
	s_mov_b32 s7, 0
	v_mov_b32_e32 v6, 0
	s_waitcnt lgkmcnt(0)
	v_cmp_gt_i32_e32 vcc, s16, v0
	s_and_saveexec_b64 s[14:15], vcc
	s_cbranch_execz .LBB562_4
; %bb.1:
	s_load_dwordx2 s[18:19], s[4:5], 0x8
	s_load_dwordx4 s[8:11], s[4:5], 0x10
	s_load_dwordx2 s[20:21], s[4:5], 0x28
	s_load_dwordx4 s[0:3], s[4:5], 0x30
	s_lshl_b64 s[22:23], s[6:7], 3
	s_waitcnt lgkmcnt(0)
	s_add_u32 s18, s18, s22
	s_addc_u32 s19, s19, s23
	s_load_dword s17, s[4:5], 0x60
	s_load_dwordx2 s[24:25], s[18:19], 0x0
	s_add_u32 s4, s20, s22
	s_addc_u32 s5, s21, s23
	s_load_dwordx2 s[18:19], s[4:5], 0x0
	v_mad_u64_u32 v[2:3], s[4:5], s10, v0, 0
	v_mov_b32_e32 v4, v3
	v_mad_u64_u32 v[4:5], s[4:5], s11, v0, v[4:5]
	s_waitcnt lgkmcnt(0)
	s_lshl_b32 s17, s17, 10
	s_lshl_b64 s[4:5], s[8:9], 1
	v_mov_b32_e32 v3, v4
	s_add_u32 s4, s24, s4
	v_lshlrev_b64 v[2:3], 1, v[2:3]
	s_addc_u32 s5, s25, s5
	s_ashr_i32 s20, s17, 31
	v_mov_b32_e32 v4, s5
	v_add_co_u32_e32 v2, vcc, s4, v2
	s_mul_i32 s4, s10, s20
	s_mul_hi_u32 s5, s10, s17
	v_addc_co_u32_e32 v3, vcc, v4, v3, vcc
	s_add_i32 s4, s5, s4
	s_mul_i32 s5, s11, s17
	v_mad_u64_u32 v[4:5], s[8:9], s2, v0, 0
	s_add_i32 s5, s4, s5
	s_mul_i32 s4, s10, s17
	v_mov_b32_e32 v6, v5
	s_lshl_b64 s[4:5], s[4:5], 1
	v_mad_u64_u32 v[6:7], s[8:9], s3, v0, v[6:7]
	s_lshl_b64 s[0:1], s[0:1], 1
	v_mov_b32_e32 v5, v6
	s_add_u32 s0, s18, s0
	v_lshlrev_b64 v[4:5], 1, v[4:5]
	s_addc_u32 s1, s19, s1
	v_mov_b32_e32 v6, s1
	v_add_co_u32_e32 v4, vcc, s0, v4
	s_mul_i32 s0, s2, s20
	s_mul_hi_u32 s1, s2, s17
	s_add_i32 s0, s1, s0
	s_mul_i32 s1, s3, s17
	s_add_i32 s1, s0, s1
	s_mul_i32 s0, s2, s17
	s_lshl_b64 s[8:9], s[0:1], 1
	v_or_b32_e32 v1, s17, v0
	v_addc_co_u32_e32 v5, vcc, v6, v5, vcc
	s_mov_b64 s[2:3], 0
	v_mov_b32_e32 v6, 0
	v_mov_b32_e32 v7, s5
	;; [unrolled: 1-line block ×3, first 2 shown]
	s_mov_b32 s5, s7
.LBB562_2:                              ; =>This Inner Loop Header: Depth=1
	global_load_ushort v9, v[4:5], off
	global_load_ushort v10, v[2:3], off
	v_add_co_u32_e64 v2, s[0:1], s4, v2
	v_addc_co_u32_e64 v3, s[0:1], v3, v7, s[0:1]
	s_add_i32 s9, s5, 1
	v_add_co_u32_e64 v4, s[0:1], s8, v4
	v_addc_co_u32_e64 v5, s[0:1], v5, v8, s[0:1]
	s_cmp_gt_u32 s5, 30
	v_cmp_le_i32_e32 vcc, s16, v1
	s_cselect_b64 s[0:1], -1, 0
	s_or_b64 s[0:1], s[0:1], vcc
	s_and_b64 s[0:1], exec, s[0:1]
	v_add_u32_e32 v1, s17, v1
	s_mov_b32 s5, s9
	s_or_b64 s[2:3], s[0:1], s[2:3]
	s_waitcnt vmcnt(1)
	v_lshlrev_b32_e32 v9, 16, v9
	s_waitcnt vmcnt(0)
	v_lshlrev_b32_e32 v10, 16, v10
	v_fmac_f32_e32 v6, v10, v9
	s_andn2_b64 exec, exec, s[2:3]
	s_cbranch_execnz .LBB562_2
; %bb.3:
	s_or_b64 exec, exec, s[2:3]
.LBB562_4:
	s_or_b64 exec, exec, s[14:15]
	v_and_b32_e32 v2, 63, v0
	v_cmp_gt_u32_e32 vcc, 64, v0
	v_lshlrev_b32_e32 v1, 2, v2
	s_and_saveexec_b64 s[0:1], vcc
	s_cbranch_execz .LBB562_6
; %bb.5:
	v_mov_b32_e32 v3, 0
	ds_write_b32 v1, v3
.LBB562_6:
	s_or_b64 exec, exec, s[0:1]
	v_mbcnt_lo_u32_b32 v3, -1, 0
	v_mbcnt_hi_u32_b32 v7, -1, v3
	v_and_b32_e32 v8, 63, v7
	v_cmp_gt_u32_e64 s[0:1], 32, v8
	v_cndmask_b32_e64 v3, 0, 1, s[0:1]
	v_lshlrev_b32_e32 v3, 5, v3
	v_add_lshl_u32 v3, v3, v7, 2
	ds_bpermute_b32 v3, v3, v6
	v_cmp_gt_u32_e64 s[0:1], 48, v8
	v_cndmask_b32_e64 v4, 0, 1, s[0:1]
	v_lshlrev_b32_e32 v4, 4, v4
	v_add_lshl_u32 v4, v4, v7, 2
	s_waitcnt lgkmcnt(0)
	v_add_f32_e32 v3, v6, v3
	ds_bpermute_b32 v4, v4, v3
	v_cmp_gt_u32_e64 s[0:1], 56, v8
	v_cndmask_b32_e64 v5, 0, 1, s[0:1]
	v_lshlrev_b32_e32 v5, 3, v5
	v_cmp_gt_u32_e64 s[0:1], 60, v8
	s_waitcnt lgkmcnt(0)
	v_add_f32_e32 v4, v3, v4
	v_add_lshl_u32 v3, v5, v7, 2
	ds_bpermute_b32 v5, v3, v4
	v_cndmask_b32_e64 v6, 0, 1, s[0:1]
	v_lshlrev_b32_e32 v6, 2, v6
	v_cmp_gt_u32_e64 s[0:1], 62, v8
	v_cndmask_b32_e64 v9, 0, 1, s[0:1]
	s_waitcnt lgkmcnt(0)
	v_add_f32_e32 v5, v4, v5
	v_add_lshl_u32 v4, v6, v7, 2
	ds_bpermute_b32 v6, v4, v5
	v_lshlrev_b32_e32 v9, 1, v9
	v_cmp_ne_u32_e64 s[0:1], 63, v8
	v_addc_co_u32_e64 v8, s[0:1], 0, v7, s[0:1]
	s_waitcnt lgkmcnt(0)
	v_add_f32_e32 v6, v5, v6
	v_add_lshl_u32 v5, v9, v7, 2
	ds_bpermute_b32 v9, v5, v6
	v_cmp_eq_u32_e64 s[0:1], 0, v2
	s_waitcnt lgkmcnt(0)
	s_barrier
	v_add_f32_e32 v7, v6, v9
	v_lshlrev_b32_e32 v6, 2, v8
	ds_bpermute_b32 v8, v6, v7
	s_and_saveexec_b64 s[2:3], s[0:1]
	s_cbranch_execz .LBB562_8
; %bb.7:
	s_waitcnt lgkmcnt(0)
	v_add_f32_e32 v2, v7, v8
	v_lshrrev_b32_e32 v7, 4, v0
	v_and_b32_e32 v7, 60, v7
	ds_write_b32 v7, v2
.LBB562_8:
	s_or_b64 exec, exec, s[2:3]
	v_cmp_gt_u32_e64 s[0:1], 16, v0
	v_mov_b32_e32 v2, 0
	s_waitcnt lgkmcnt(0)
	s_barrier
	s_and_saveexec_b64 s[2:3], s[0:1]
	s_cbranch_execnz .LBB562_12
; %bb.9:
	s_or_b64 exec, exec, s[2:3]
	s_and_saveexec_b64 s[0:1], vcc
	s_cbranch_execnz .LBB562_13
.LBB562_10:
	s_or_b64 exec, exec, s[0:1]
	v_cmp_eq_u32_e32 vcc, 0, v0
	s_and_saveexec_b64 s[0:1], vcc
	s_cbranch_execnz .LBB562_14
.LBB562_11:
	s_endpgm
.LBB562_12:
	ds_read_b32 v2, v1
	s_or_b64 exec, exec, s[2:3]
	s_and_saveexec_b64 s[0:1], vcc
	s_cbranch_execz .LBB562_10
.LBB562_13:
	s_waitcnt lgkmcnt(0)
	ds_bpermute_b32 v1, v3, v2
	s_waitcnt lgkmcnt(0)
	v_add_f32_e32 v1, v2, v1
	ds_bpermute_b32 v2, v4, v1
	s_waitcnt lgkmcnt(0)
	v_add_f32_e32 v1, v1, v2
	ds_bpermute_b32 v2, v5, v1
	s_waitcnt lgkmcnt(0)
	v_add_f32_e32 v1, v1, v2
	ds_bpermute_b32 v2, v6, v1
	s_waitcnt lgkmcnt(0)
	v_add_f32_e32 v2, v1, v2
	s_or_b64 exec, exec, s[0:1]
	v_cmp_eq_u32_e32 vcc, 0, v0
	s_and_saveexec_b64 s[0:1], vcc
	s_cbranch_execz .LBB562_11
.LBB562_14:
	s_mov_b32 s0, 0x7f800000
	s_waitcnt lgkmcnt(0)
	v_and_b32_e32 v0, 0x7f800000, v2
	v_cmp_ne_u32_e32 vcc, s0, v0
                                        ; implicit-def: $vgpr0
	s_and_saveexec_b64 s[0:1], vcc
	s_xor_b64 s[0:1], exec, s[0:1]
; %bb.15:
	v_bfe_u32 v0, v2, 16, 1
	s_movk_i32 s2, 0x7fff
	v_add3_u32 v0, v2, v0, s2
                                        ; implicit-def: $vgpr2
; %bb.16:
	s_andn2_saveexec_b64 s[0:1], s[0:1]
; %bb.17:
	v_mov_b32_e32 v0, 0
	v_or_b32_e32 v1, 0x10000, v2
	v_cmp_eq_u32_sdwa vcc, v2, v0 src0_sel:WORD_0 src1_sel:DWORD
	v_cndmask_b32_e32 v0, v1, v2, vcc
; %bb.18:
	s_or_b64 exec, exec, s[0:1]
	s_lshl_b64 s[0:1], s[6:7], 1
	s_add_u32 s0, s12, s0
	s_addc_u32 s1, s13, s1
	v_mov_b32_e32 v1, 0
	global_store_short_d16_hi v1, v0, s[0:1]
	s_endpgm
	.section	.rodata,"a",@progbits
	.p2align	6, 0x0
	.amdhsa_kernel _ZL18rocblas_dot_kernelIlLb1ELi1024ELi32ELb1E16rocblas_bfloat16PKPKS0_fEviT5_lT_lS5_lS6_liPT6_PT4_
		.amdhsa_group_segment_fixed_size 256
		.amdhsa_private_segment_fixed_size 0
		.amdhsa_kernarg_size 352
		.amdhsa_user_sgpr_count 6
		.amdhsa_user_sgpr_private_segment_buffer 1
		.amdhsa_user_sgpr_dispatch_ptr 0
		.amdhsa_user_sgpr_queue_ptr 0
		.amdhsa_user_sgpr_kernarg_segment_ptr 1
		.amdhsa_user_sgpr_dispatch_id 0
		.amdhsa_user_sgpr_flat_scratch_init 0
		.amdhsa_user_sgpr_kernarg_preload_length 0
		.amdhsa_user_sgpr_kernarg_preload_offset 0
		.amdhsa_user_sgpr_private_segment_size 0
		.amdhsa_uses_dynamic_stack 0
		.amdhsa_system_sgpr_private_segment_wavefront_offset 0
		.amdhsa_system_sgpr_workgroup_id_x 1
		.amdhsa_system_sgpr_workgroup_id_y 0
		.amdhsa_system_sgpr_workgroup_id_z 1
		.amdhsa_system_sgpr_workgroup_info 0
		.amdhsa_system_vgpr_workitem_id 0
		.amdhsa_next_free_vgpr 11
		.amdhsa_next_free_sgpr 26
		.amdhsa_accum_offset 12
		.amdhsa_reserve_vcc 1
		.amdhsa_reserve_flat_scratch 0
		.amdhsa_float_round_mode_32 0
		.amdhsa_float_round_mode_16_64 0
		.amdhsa_float_denorm_mode_32 3
		.amdhsa_float_denorm_mode_16_64 3
		.amdhsa_dx10_clamp 1
		.amdhsa_ieee_mode 1
		.amdhsa_fp16_overflow 0
		.amdhsa_tg_split 0
		.amdhsa_exception_fp_ieee_invalid_op 0
		.amdhsa_exception_fp_denorm_src 0
		.amdhsa_exception_fp_ieee_div_zero 0
		.amdhsa_exception_fp_ieee_overflow 0
		.amdhsa_exception_fp_ieee_underflow 0
		.amdhsa_exception_fp_ieee_inexact 0
		.amdhsa_exception_int_div_zero 0
	.end_amdhsa_kernel
	.section	.text._ZL18rocblas_dot_kernelIlLb1ELi1024ELi32ELb1E16rocblas_bfloat16PKPKS0_fEviT5_lT_lS5_lS6_liPT6_PT4_,"axG",@progbits,_ZL18rocblas_dot_kernelIlLb1ELi1024ELi32ELb1E16rocblas_bfloat16PKPKS0_fEviT5_lT_lS5_lS6_liPT6_PT4_,comdat
.Lfunc_end562:
	.size	_ZL18rocblas_dot_kernelIlLb1ELi1024ELi32ELb1E16rocblas_bfloat16PKPKS0_fEviT5_lT_lS5_lS6_liPT6_PT4_, .Lfunc_end562-_ZL18rocblas_dot_kernelIlLb1ELi1024ELi32ELb1E16rocblas_bfloat16PKPKS0_fEviT5_lT_lS5_lS6_liPT6_PT4_
                                        ; -- End function
	.section	.AMDGPU.csdata,"",@progbits
; Kernel info:
; codeLenInByte = 1076
; NumSgprs: 30
; NumVgprs: 11
; NumAgprs: 0
; TotalNumVgprs: 11
; ScratchSize: 0
; MemoryBound: 0
; FloatMode: 240
; IeeeMode: 1
; LDSByteSize: 256 bytes/workgroup (compile time only)
; SGPRBlocks: 3
; VGPRBlocks: 1
; NumSGPRsForWavesPerEU: 30
; NumVGPRsForWavesPerEU: 11
; AccumOffset: 12
; Occupancy: 8
; WaveLimiterHint : 0
; COMPUTE_PGM_RSRC2:SCRATCH_EN: 0
; COMPUTE_PGM_RSRC2:USER_SGPR: 6
; COMPUTE_PGM_RSRC2:TRAP_HANDLER: 0
; COMPUTE_PGM_RSRC2:TGID_X_EN: 1
; COMPUTE_PGM_RSRC2:TGID_Y_EN: 0
; COMPUTE_PGM_RSRC2:TGID_Z_EN: 1
; COMPUTE_PGM_RSRC2:TIDIG_COMP_CNT: 0
; COMPUTE_PGM_RSRC3_GFX90A:ACCUM_OFFSET: 2
; COMPUTE_PGM_RSRC3_GFX90A:TG_SPLIT: 0
	.section	.text._ZL24rocblas_dot_kernel_magsqIlLb1ELi1024ELi32ELb1E16rocblas_bfloat16PKPKS0_fEviT5_lT_liPT6_PT4_,"axG",@progbits,_ZL24rocblas_dot_kernel_magsqIlLb1ELi1024ELi32ELb1E16rocblas_bfloat16PKPKS0_fEviT5_lT_liPT6_PT4_,comdat
	.globl	_ZL24rocblas_dot_kernel_magsqIlLb1ELi1024ELi32ELb1E16rocblas_bfloat16PKPKS0_fEviT5_lT_liPT6_PT4_ ; -- Begin function _ZL24rocblas_dot_kernel_magsqIlLb1ELi1024ELi32ELb1E16rocblas_bfloat16PKPKS0_fEviT5_lT_liPT6_PT4_
	.p2align	8
	.type	_ZL24rocblas_dot_kernel_magsqIlLb1ELi1024ELi32ELb1E16rocblas_bfloat16PKPKS0_fEviT5_lT_liPT6_PT4_,@function
_ZL24rocblas_dot_kernel_magsqIlLb1ELi1024ELi32ELb1E16rocblas_bfloat16PKPKS0_fEviT5_lT_liPT6_PT4_: ; @_ZL24rocblas_dot_kernel_magsqIlLb1ELi1024ELi32ELb1E16rocblas_bfloat16PKPKS0_fEviT5_lT_liPT6_PT4_
; %bb.0:
	s_mov_b32 s2, s7
	s_load_dword s12, s[4:5], 0x0
	s_load_dwordx2 s[6:7], s[4:5], 0x38
	s_mov_b32 s3, 0
	v_mov_b32_e32 v1, 0
	s_waitcnt lgkmcnt(0)
	v_cmp_gt_i32_e32 vcc, s12, v0
	s_and_saveexec_b64 s[8:9], vcc
	s_cbranch_execz .LBB563_4
; %bb.1:
	s_load_dwordx2 s[0:1], s[4:5], 0x8
	s_load_dword s10, s[4:5], 0x40
	s_load_dwordx4 s[16:19], s[4:5], 0x10
	s_lshl_b64 s[4:5], s[2:3], 3
	s_waitcnt lgkmcnt(0)
	s_add_u32 s0, s0, s4
	s_addc_u32 s1, s1, s5
	s_load_dwordx2 s[0:1], s[0:1], 0x0
	v_mad_u64_u32 v[2:3], s[4:5], s18, v0, 0
	v_mov_b32_e32 v6, v3
	v_mad_u64_u32 v[6:7], s[4:5], s19, v0, v[6:7]
	s_lshl_b32 s13, s10, 10
	v_mov_b32_e32 v3, v6
	s_lshl_b64 s[4:5], s[16:17], 1
	v_lshlrev_b64 v[2:3], 1, v[2:3]
	s_waitcnt lgkmcnt(0)
	s_add_u32 s0, s0, s4
	s_addc_u32 s1, s1, s5
	v_add_co_u32_e32 v2, vcc, s0, v2
	s_ashr_i32 s0, s13, 31
	v_mov_b32_e32 v1, s1
	s_mul_i32 s0, s18, s0
	s_mul_hi_u32 s1, s18, s13
	s_add_i32 s0, s1, s0
	s_mul_i32 s1, s19, s13
	s_add_i32 s1, s0, s1
	s_mul_i32 s0, s18, s13
	s_lshl_b64 s[10:11], s[0:1], 1
	v_or_b32_e32 v4, s13, v0
	v_addc_co_u32_e32 v3, vcc, v1, v3, vcc
	s_mov_b64 s[4:5], 0
	v_mov_b32_e32 v1, 0
	v_mov_b32_e32 v5, s11
	s_mov_b32 s11, s3
.LBB563_2:                              ; =>This Inner Loop Header: Depth=1
	global_load_ushort v6, v[2:3], off
	s_add_i32 s14, s11, 1
	v_add_co_u32_e64 v2, s[0:1], s10, v2
	v_addc_co_u32_e64 v3, s[0:1], v3, v5, s[0:1]
	s_cmp_gt_u32 s11, 30
	v_cmp_le_i32_e32 vcc, s12, v4
	s_cselect_b64 s[0:1], -1, 0
	s_or_b64 s[0:1], s[0:1], vcc
	s_and_b64 s[0:1], exec, s[0:1]
	v_add_u32_e32 v4, s13, v4
	s_mov_b32 s11, s14
	s_or_b64 s[4:5], s[0:1], s[4:5]
	s_waitcnt vmcnt(0)
	v_lshlrev_b32_e32 v6, 16, v6
	v_fmac_f32_e32 v1, v6, v6
	s_andn2_b64 exec, exec, s[4:5]
	s_cbranch_execnz .LBB563_2
; %bb.3:
	s_or_b64 exec, exec, s[4:5]
.LBB563_4:
	s_or_b64 exec, exec, s[8:9]
	v_and_b32_e32 v3, 63, v0
	v_cmp_gt_u32_e32 vcc, 64, v0
	v_lshlrev_b32_e32 v2, 2, v3
	s_and_saveexec_b64 s[0:1], vcc
	s_cbranch_execz .LBB563_6
; %bb.5:
	v_mov_b32_e32 v4, 0
	ds_write_b32 v2, v4
.LBB563_6:
	s_or_b64 exec, exec, s[0:1]
	v_mbcnt_lo_u32_b32 v4, -1, 0
	v_mbcnt_hi_u32_b32 v6, -1, v4
	v_and_b32_e32 v7, 63, v6
	v_cmp_gt_u32_e64 s[0:1], 32, v7
	v_cndmask_b32_e64 v4, 0, 1, s[0:1]
	v_lshlrev_b32_e32 v4, 5, v4
	v_add_lshl_u32 v4, v4, v6, 2
	ds_bpermute_b32 v4, v4, v1
	v_cmp_gt_u32_e64 s[0:1], 48, v7
	v_cndmask_b32_e64 v5, 0, 1, s[0:1]
	v_lshlrev_b32_e32 v5, 4, v5
	v_cmp_gt_u32_e64 s[0:1], 56, v7
	s_waitcnt lgkmcnt(0)
	v_add_f32_e32 v1, v1, v4
	v_add_lshl_u32 v4, v5, v6, 2
	ds_bpermute_b32 v4, v4, v1
	v_cndmask_b32_e64 v5, 0, 1, s[0:1]
	v_lshlrev_b32_e32 v5, 3, v5
	v_cmp_gt_u32_e64 s[0:1], 60, v7
	v_cndmask_b32_e64 v8, 0, 1, s[0:1]
	s_waitcnt lgkmcnt(0)
	v_add_f32_e32 v4, v1, v4
	v_add_lshl_u32 v1, v5, v6, 2
	ds_bpermute_b32 v5, v1, v4
	v_lshlrev_b32_e32 v8, 2, v8
	v_cmp_gt_u32_e64 s[0:1], 62, v7
	v_cndmask_b32_e64 v9, 0, 1, s[0:1]
	v_lshlrev_b32_e32 v9, 1, v9
	s_waitcnt lgkmcnt(0)
	v_add_f32_e32 v5, v4, v5
	v_add_lshl_u32 v4, v8, v6, 2
	ds_bpermute_b32 v8, v4, v5
	v_cmp_ne_u32_e64 s[0:1], 63, v7
	s_waitcnt lgkmcnt(0)
	s_barrier
	v_add_f32_e32 v8, v5, v8
	v_add_lshl_u32 v5, v9, v6, 2
	ds_bpermute_b32 v9, v5, v8
	v_addc_co_u32_e64 v6, s[0:1], 0, v6, s[0:1]
	v_lshlrev_b32_e32 v6, 2, v6
	v_cmp_eq_u32_e64 s[0:1], 0, v3
	s_waitcnt lgkmcnt(0)
	v_add_f32_e32 v7, v8, v9
	ds_bpermute_b32 v8, v6, v7
	s_and_saveexec_b64 s[4:5], s[0:1]
	s_cbranch_execz .LBB563_8
; %bb.7:
	s_waitcnt lgkmcnt(0)
	v_add_f32_e32 v3, v7, v8
	v_lshrrev_b32_e32 v7, 4, v0
	v_and_b32_e32 v7, 60, v7
	ds_write_b32 v7, v3
.LBB563_8:
	s_or_b64 exec, exec, s[4:5]
	v_cmp_gt_u32_e64 s[0:1], 16, v0
	v_mov_b32_e32 v3, 0
	s_waitcnt lgkmcnt(0)
	s_barrier
	s_and_saveexec_b64 s[4:5], s[0:1]
	s_cbranch_execnz .LBB563_12
; %bb.9:
	s_or_b64 exec, exec, s[4:5]
	s_and_saveexec_b64 s[0:1], vcc
	s_cbranch_execnz .LBB563_13
.LBB563_10:
	s_or_b64 exec, exec, s[0:1]
	v_cmp_eq_u32_e32 vcc, 0, v0
	s_and_saveexec_b64 s[0:1], vcc
	s_cbranch_execnz .LBB563_14
.LBB563_11:
	s_endpgm
.LBB563_12:
	ds_read_b32 v3, v2
	s_or_b64 exec, exec, s[4:5]
	s_and_saveexec_b64 s[0:1], vcc
	s_cbranch_execz .LBB563_10
.LBB563_13:
	s_waitcnt lgkmcnt(0)
	ds_bpermute_b32 v1, v1, v3
	s_waitcnt lgkmcnt(0)
	v_add_f32_e32 v1, v3, v1
	ds_bpermute_b32 v2, v4, v1
	s_waitcnt lgkmcnt(0)
	v_add_f32_e32 v1, v1, v2
	;; [unrolled: 3-line block ×4, first 2 shown]
	s_or_b64 exec, exec, s[0:1]
	v_cmp_eq_u32_e32 vcc, 0, v0
	s_and_saveexec_b64 s[0:1], vcc
	s_cbranch_execz .LBB563_11
.LBB563_14:
	s_mov_b32 s0, 0x7f800000
	s_waitcnt lgkmcnt(0)
	v_and_b32_e32 v0, 0x7f800000, v3
	v_cmp_ne_u32_e32 vcc, s0, v0
                                        ; implicit-def: $vgpr0
	s_and_saveexec_b64 s[0:1], vcc
	s_xor_b64 s[0:1], exec, s[0:1]
; %bb.15:
	v_bfe_u32 v0, v3, 16, 1
	s_movk_i32 s4, 0x7fff
	v_add3_u32 v0, v3, v0, s4
                                        ; implicit-def: $vgpr3
; %bb.16:
	s_andn2_saveexec_b64 s[0:1], s[0:1]
; %bb.17:
	v_mov_b32_e32 v0, 0
	v_or_b32_e32 v1, 0x10000, v3
	v_cmp_eq_u32_sdwa vcc, v3, v0 src0_sel:WORD_0 src1_sel:DWORD
	v_cndmask_b32_e32 v0, v1, v3, vcc
; %bb.18:
	s_or_b64 exec, exec, s[0:1]
	s_lshl_b64 s[0:1], s[2:3], 1
	s_add_u32 s0, s6, s0
	s_addc_u32 s1, s7, s1
	v_mov_b32_e32 v1, 0
	global_store_short_d16_hi v1, v0, s[0:1]
	s_endpgm
	.section	.rodata,"a",@progbits
	.p2align	6, 0x0
	.amdhsa_kernel _ZL24rocblas_dot_kernel_magsqIlLb1ELi1024ELi32ELb1E16rocblas_bfloat16PKPKS0_fEviT5_lT_liPT6_PT4_
		.amdhsa_group_segment_fixed_size 256
		.amdhsa_private_segment_fixed_size 0
		.amdhsa_kernarg_size 320
		.amdhsa_user_sgpr_count 6
		.amdhsa_user_sgpr_private_segment_buffer 1
		.amdhsa_user_sgpr_dispatch_ptr 0
		.amdhsa_user_sgpr_queue_ptr 0
		.amdhsa_user_sgpr_kernarg_segment_ptr 1
		.amdhsa_user_sgpr_dispatch_id 0
		.amdhsa_user_sgpr_flat_scratch_init 0
		.amdhsa_user_sgpr_kernarg_preload_length 0
		.amdhsa_user_sgpr_kernarg_preload_offset 0
		.amdhsa_user_sgpr_private_segment_size 0
		.amdhsa_uses_dynamic_stack 0
		.amdhsa_system_sgpr_private_segment_wavefront_offset 0
		.amdhsa_system_sgpr_workgroup_id_x 1
		.amdhsa_system_sgpr_workgroup_id_y 0
		.amdhsa_system_sgpr_workgroup_id_z 1
		.amdhsa_system_sgpr_workgroup_info 0
		.amdhsa_system_vgpr_workitem_id 0
		.amdhsa_next_free_vgpr 10
		.amdhsa_next_free_sgpr 20
		.amdhsa_accum_offset 12
		.amdhsa_reserve_vcc 1
		.amdhsa_reserve_flat_scratch 0
		.amdhsa_float_round_mode_32 0
		.amdhsa_float_round_mode_16_64 0
		.amdhsa_float_denorm_mode_32 3
		.amdhsa_float_denorm_mode_16_64 3
		.amdhsa_dx10_clamp 1
		.amdhsa_ieee_mode 1
		.amdhsa_fp16_overflow 0
		.amdhsa_tg_split 0
		.amdhsa_exception_fp_ieee_invalid_op 0
		.amdhsa_exception_fp_denorm_src 0
		.amdhsa_exception_fp_ieee_div_zero 0
		.amdhsa_exception_fp_ieee_overflow 0
		.amdhsa_exception_fp_ieee_underflow 0
		.amdhsa_exception_fp_ieee_inexact 0
		.amdhsa_exception_int_div_zero 0
	.end_amdhsa_kernel
	.section	.text._ZL24rocblas_dot_kernel_magsqIlLb1ELi1024ELi32ELb1E16rocblas_bfloat16PKPKS0_fEviT5_lT_liPT6_PT4_,"axG",@progbits,_ZL24rocblas_dot_kernel_magsqIlLb1ELi1024ELi32ELb1E16rocblas_bfloat16PKPKS0_fEviT5_lT_liPT6_PT4_,comdat
.Lfunc_end563:
	.size	_ZL24rocblas_dot_kernel_magsqIlLb1ELi1024ELi32ELb1E16rocblas_bfloat16PKPKS0_fEviT5_lT_liPT6_PT4_, .Lfunc_end563-_ZL24rocblas_dot_kernel_magsqIlLb1ELi1024ELi32ELb1E16rocblas_bfloat16PKPKS0_fEviT5_lT_liPT6_PT4_
                                        ; -- End function
	.section	.AMDGPU.csdata,"",@progbits
; Kernel info:
; codeLenInByte = 924
; NumSgprs: 24
; NumVgprs: 10
; NumAgprs: 0
; TotalNumVgprs: 10
; ScratchSize: 0
; MemoryBound: 0
; FloatMode: 240
; IeeeMode: 1
; LDSByteSize: 256 bytes/workgroup (compile time only)
; SGPRBlocks: 2
; VGPRBlocks: 1
; NumSGPRsForWavesPerEU: 24
; NumVGPRsForWavesPerEU: 10
; AccumOffset: 12
; Occupancy: 8
; WaveLimiterHint : 0
; COMPUTE_PGM_RSRC2:SCRATCH_EN: 0
; COMPUTE_PGM_RSRC2:USER_SGPR: 6
; COMPUTE_PGM_RSRC2:TRAP_HANDLER: 0
; COMPUTE_PGM_RSRC2:TGID_X_EN: 1
; COMPUTE_PGM_RSRC2:TGID_Y_EN: 0
; COMPUTE_PGM_RSRC2:TGID_Z_EN: 1
; COMPUTE_PGM_RSRC2:TIDIG_COMP_CNT: 0
; COMPUTE_PGM_RSRC3_GFX90A:ACCUM_OFFSET: 2
; COMPUTE_PGM_RSRC3_GFX90A:TG_SPLIT: 0
	.section	.text._ZL18rocblas_dot_kernelIlLb0ELi512ELi8ELb1E16rocblas_bfloat16PKPKS0_fEviT5_lT_lS5_lS6_liPT6_PT4_,"axG",@progbits,_ZL18rocblas_dot_kernelIlLb0ELi512ELi8ELb1E16rocblas_bfloat16PKPKS0_fEviT5_lT_lS5_lS6_liPT6_PT4_,comdat
	.globl	_ZL18rocblas_dot_kernelIlLb0ELi512ELi8ELb1E16rocblas_bfloat16PKPKS0_fEviT5_lT_lS5_lS6_liPT6_PT4_ ; -- Begin function _ZL18rocblas_dot_kernelIlLb0ELi512ELi8ELb1E16rocblas_bfloat16PKPKS0_fEviT5_lT_lS5_lS6_liPT6_PT4_
	.p2align	8
	.type	_ZL18rocblas_dot_kernelIlLb0ELi512ELi8ELb1E16rocblas_bfloat16PKPKS0_fEviT5_lT_lS5_lS6_liPT6_PT4_,@function
_ZL18rocblas_dot_kernelIlLb0ELi512ELi8ELb1E16rocblas_bfloat16PKPKS0_fEviT5_lT_lS5_lS6_liPT6_PT4_: ; @_ZL18rocblas_dot_kernelIlLb0ELi512ELi8ELb1E16rocblas_bfloat16PKPKS0_fEviT5_lT_lS5_lS6_liPT6_PT4_
; %bb.0:
	s_mov_b32 s16, s7
	s_load_dword s20, s[4:5], 0x60
	s_load_dword s7, s[4:5], 0x0
	s_load_dwordx4 s[8:11], s[4:5], 0x50
	v_lshl_or_b32 v4, s6, 9, v0
	s_mov_b32 s17, 0
	v_mov_b32_e32 v6, 0
	s_waitcnt lgkmcnt(0)
	v_cmp_gt_i32_e32 vcc, s7, v4
	s_and_saveexec_b64 s[18:19], vcc
	s_cbranch_execz .LBB564_4
; %bb.1:
	s_load_dwordx2 s[22:23], s[4:5], 0x8
	s_load_dwordx4 s[12:15], s[4:5], 0x10
	s_load_dwordx2 s[24:25], s[4:5], 0x28
	s_load_dwordx4 s[0:3], s[4:5], 0x30
	s_lshl_b64 s[4:5], s[16:17], 3
	s_waitcnt lgkmcnt(0)
	s_add_u32 s22, s22, s4
	s_addc_u32 s23, s23, s5
	s_load_dwordx2 s[22:23], s[22:23], 0x0
	s_add_u32 s4, s24, s4
	s_addc_u32 s5, s25, s5
	s_load_dwordx2 s[24:25], s[4:5], 0x0
	v_ashrrev_i32_e32 v5, 31, v4
	v_mad_u64_u32 v[2:3], s[4:5], s14, v4, 0
	s_lshl_b32 s21, s20, 9
	v_mul_lo_u32 v6, s15, v4
	v_mul_lo_u32 v7, s14, v5
	s_lshl_b64 s[4:5], s[12:13], 1
	v_add3_u32 v3, v3, v7, v6
	s_waitcnt lgkmcnt(0)
	s_add_u32 s4, s22, s4
	v_lshlrev_b64 v[2:3], 1, v[2:3]
	s_addc_u32 s5, s23, s5
	s_ashr_i32 s22, s21, 31
	v_mov_b32_e32 v6, s5
	v_add_co_u32_e32 v2, vcc, s4, v2
	s_mul_i32 s4, s14, s22
	s_mul_hi_u32 s5, s14, s21
	s_add_i32 s4, s5, s4
	s_mul_i32 s5, s15, s21
	s_add_i32 s5, s4, s5
	s_mul_i32 s4, s14, s21
	v_add_u32_e32 v1, s21, v4
	v_addc_co_u32_e32 v3, vcc, v6, v3, vcc
	s_lshl_b64 s[4:5], s[4:5], 1
	v_mul_lo_u32 v6, s3, v4
	v_mul_lo_u32 v7, s2, v5
	v_mad_u64_u32 v[4:5], s[12:13], s2, v4, 0
	s_lshl_b64 s[0:1], s[0:1], 1
	v_add3_u32 v5, v5, v7, v6
	s_add_u32 s0, s24, s0
	v_lshlrev_b64 v[4:5], 1, v[4:5]
	s_addc_u32 s1, s25, s1
	v_mov_b32_e32 v6, s1
	v_add_co_u32_e32 v4, vcc, s0, v4
	s_mul_i32 s0, s2, s22
	s_mul_hi_u32 s1, s2, s21
	s_add_i32 s0, s1, s0
	s_mul_i32 s1, s3, s21
	s_add_i32 s1, s0, s1
	s_mul_i32 s0, s2, s21
	s_lshl_b64 s[12:13], s[0:1], 1
	v_addc_co_u32_e32 v5, vcc, v6, v5, vcc
	s_mov_b64 s[2:3], 0
	v_mov_b32_e32 v6, 0
	v_mov_b32_e32 v7, s5
	;; [unrolled: 1-line block ×3, first 2 shown]
	s_mov_b32 s5, s17
.LBB564_2:                              ; =>This Inner Loop Header: Depth=1
	global_load_ushort v9, v[4:5], off
	global_load_ushort v10, v[2:3], off
	v_add_co_u32_e64 v2, s[0:1], s4, v2
	v_addc_co_u32_e64 v3, s[0:1], v3, v7, s[0:1]
	s_add_i32 s13, s5, 1
	v_add_co_u32_e64 v4, s[0:1], s12, v4
	v_addc_co_u32_e64 v5, s[0:1], v5, v8, s[0:1]
	s_cmp_gt_u32 s5, 6
	v_cmp_le_i32_e32 vcc, s7, v1
	s_cselect_b64 s[0:1], -1, 0
	s_or_b64 s[0:1], s[0:1], vcc
	s_and_b64 s[0:1], exec, s[0:1]
	v_add_u32_e32 v1, s21, v1
	s_mov_b32 s5, s13
	s_or_b64 s[2:3], s[0:1], s[2:3]
	s_waitcnt vmcnt(1)
	v_lshlrev_b32_e32 v9, 16, v9
	s_waitcnt vmcnt(0)
	v_lshlrev_b32_e32 v10, 16, v10
	v_fmac_f32_e32 v6, v10, v9
	s_andn2_b64 exec, exec, s[2:3]
	s_cbranch_execnz .LBB564_2
; %bb.3:
	s_or_b64 exec, exec, s[2:3]
.LBB564_4:
	s_or_b64 exec, exec, s[18:19]
	v_and_b32_e32 v1, 63, v0
	v_cmp_gt_u32_e32 vcc, 64, v0
	v_lshlrev_b32_e32 v2, 2, v1
	s_and_saveexec_b64 s[0:1], vcc
	s_cbranch_execz .LBB564_6
; %bb.5:
	v_mov_b32_e32 v3, 0
	ds_write_b32 v2, v3
.LBB564_6:
	s_or_b64 exec, exec, s[0:1]
	v_mbcnt_lo_u32_b32 v3, -1, 0
	v_mbcnt_hi_u32_b32 v5, -1, v3
	v_and_b32_e32 v7, 63, v5
	v_cmp_gt_u32_e64 s[0:1], 32, v7
	v_cndmask_b32_e64 v3, 0, 1, s[0:1]
	v_lshlrev_b32_e32 v3, 5, v3
	v_add_lshl_u32 v3, v3, v5, 2
	ds_bpermute_b32 v3, v3, v6
	v_cmp_gt_u32_e64 s[0:1], 48, v7
	v_cndmask_b32_e64 v4, 0, 1, s[0:1]
	v_lshlrev_b32_e32 v4, 4, v4
	v_add_lshl_u32 v4, v4, v5, 2
	s_waitcnt lgkmcnt(0)
	v_add_f32_e32 v3, v6, v3
	ds_bpermute_b32 v4, v4, v3
	v_cmp_gt_u32_e64 s[0:1], 56, v7
	v_cndmask_b32_e64 v6, 0, 1, s[0:1]
	v_lshlrev_b32_e32 v6, 3, v6
	v_cmp_gt_u32_e64 s[0:1], 60, v7
	s_waitcnt lgkmcnt(0)
	v_add_f32_e32 v3, v3, v4
	v_add_lshl_u32 v4, v6, v5, 2
	ds_bpermute_b32 v4, v4, v3
	v_cndmask_b32_e64 v6, 0, 1, s[0:1]
	v_lshlrev_b32_e32 v6, 2, v6
	v_cmp_gt_u32_e64 s[0:1], 62, v7
	v_cndmask_b32_e64 v8, 0, 1, s[0:1]
	s_waitcnt lgkmcnt(0)
	v_add_f32_e32 v4, v3, v4
	v_add_lshl_u32 v3, v6, v5, 2
	ds_bpermute_b32 v6, v3, v4
	v_lshlrev_b32_e32 v8, 1, v8
	v_cmp_ne_u32_e64 s[0:1], 63, v7
	s_waitcnt lgkmcnt(0)
	s_barrier
	v_add_f32_e32 v6, v4, v6
	v_add_lshl_u32 v4, v8, v5, 2
	ds_bpermute_b32 v8, v4, v6
	v_addc_co_u32_e64 v5, s[0:1], 0, v5, s[0:1]
	v_lshlrev_b32_e32 v5, 2, v5
	v_cmp_eq_u32_e64 s[0:1], 0, v1
	s_waitcnt lgkmcnt(0)
	v_add_f32_e32 v6, v6, v8
	ds_bpermute_b32 v7, v5, v6
	s_waitcnt lgkmcnt(0)
	s_and_saveexec_b64 s[2:3], s[0:1]
	s_cbranch_execz .LBB564_8
; %bb.7:
	v_add_f32_e32 v1, v6, v7
	v_lshrrev_b32_e32 v6, 4, v0
	v_and_b32_e32 v6, 28, v6
	ds_write_b32 v6, v1
.LBB564_8:
	s_or_b64 exec, exec, s[2:3]
	v_cmp_gt_u32_e64 s[0:1], 8, v0
	v_mov_b32_e32 v1, 0
	s_waitcnt lgkmcnt(0)
	s_barrier
	s_and_saveexec_b64 s[2:3], s[0:1]
	s_cbranch_execnz .LBB564_12
; %bb.9:
	s_or_b64 exec, exec, s[2:3]
	s_and_saveexec_b64 s[0:1], vcc
	s_cbranch_execnz .LBB564_13
.LBB564_10:
	s_or_b64 exec, exec, s[0:1]
	v_cmp_eq_u32_e32 vcc, 0, v0
	s_and_saveexec_b64 s[0:1], vcc
	s_cbranch_execnz .LBB564_14
.LBB564_11:
	s_endpgm
.LBB564_12:
	ds_read_b32 v1, v2
	s_or_b64 exec, exec, s[2:3]
	s_and_saveexec_b64 s[0:1], vcc
	s_cbranch_execz .LBB564_10
.LBB564_13:
	s_waitcnt lgkmcnt(0)
	ds_bpermute_b32 v2, v3, v1
	s_waitcnt lgkmcnt(0)
	v_add_f32_e32 v1, v1, v2
	ds_bpermute_b32 v2, v4, v1
	s_waitcnt lgkmcnt(0)
	v_add_f32_e32 v1, v1, v2
	;; [unrolled: 3-line block ×3, first 2 shown]
	s_or_b64 exec, exec, s[0:1]
	v_cmp_eq_u32_e32 vcc, 0, v0
	s_and_saveexec_b64 s[0:1], vcc
	s_cbranch_execz .LBB564_11
.LBB564_14:
	s_cmp_lg_u32 s20, 1
	s_mov_b64 s[0:1], -1
	s_cbranch_scc0 .LBB564_16
; %bb.15:
	s_mul_hi_u32 s1, s20, s16
	s_mul_i32 s0, s20, s16
	s_lshl_b64 s[0:1], s[0:1], 2
	s_mov_b32 s7, 0
	s_add_u32 s2, s8, s0
	s_addc_u32 s3, s9, s1
	s_lshl_b64 s[0:1], s[6:7], 2
	s_add_u32 s0, s2, s0
	s_addc_u32 s1, s3, s1
	v_mov_b32_e32 v0, 0
	s_waitcnt lgkmcnt(0)
	global_store_dword v0, v1, s[0:1]
	s_mov_b64 s[0:1], 0
.LBB564_16:
	s_andn2_b64 vcc, exec, s[0:1]
	s_cbranch_vccnz .LBB564_11
; %bb.17:
	s_mov_b32 s0, 0x7f800000
	s_waitcnt lgkmcnt(0)
	v_and_b32_e32 v0, 0x7f800000, v1
	v_cmp_ne_u32_e32 vcc, s0, v0
                                        ; implicit-def: $vgpr0
	s_and_saveexec_b64 s[0:1], vcc
	s_xor_b64 s[0:1], exec, s[0:1]
; %bb.18:
	v_bfe_u32 v0, v1, 16, 1
	s_movk_i32 s2, 0x7fff
	v_add3_u32 v0, v1, v0, s2
                                        ; implicit-def: $vgpr1
; %bb.19:
	s_andn2_saveexec_b64 s[0:1], s[0:1]
; %bb.20:
	v_mov_b32_e32 v0, 0
	v_or_b32_e32 v2, 0x10000, v1
	v_cmp_eq_u32_sdwa vcc, v1, v0 src0_sel:WORD_0 src1_sel:DWORD
	v_cndmask_b32_e32 v0, v2, v1, vcc
; %bb.21:
	s_or_b64 exec, exec, s[0:1]
	s_lshl_b64 s[0:1], s[16:17], 1
	s_add_u32 s0, s10, s0
	s_addc_u32 s1, s11, s1
	v_mov_b32_e32 v1, 0
	global_store_short_d16_hi v1, v0, s[0:1]
	s_endpgm
	.section	.rodata,"a",@progbits
	.p2align	6, 0x0
	.amdhsa_kernel _ZL18rocblas_dot_kernelIlLb0ELi512ELi8ELb1E16rocblas_bfloat16PKPKS0_fEviT5_lT_lS5_lS6_liPT6_PT4_
		.amdhsa_group_segment_fixed_size 256
		.amdhsa_private_segment_fixed_size 0
		.amdhsa_kernarg_size 352
		.amdhsa_user_sgpr_count 6
		.amdhsa_user_sgpr_private_segment_buffer 1
		.amdhsa_user_sgpr_dispatch_ptr 0
		.amdhsa_user_sgpr_queue_ptr 0
		.amdhsa_user_sgpr_kernarg_segment_ptr 1
		.amdhsa_user_sgpr_dispatch_id 0
		.amdhsa_user_sgpr_flat_scratch_init 0
		.amdhsa_user_sgpr_kernarg_preload_length 0
		.amdhsa_user_sgpr_kernarg_preload_offset 0
		.amdhsa_user_sgpr_private_segment_size 0
		.amdhsa_uses_dynamic_stack 0
		.amdhsa_system_sgpr_private_segment_wavefront_offset 0
		.amdhsa_system_sgpr_workgroup_id_x 1
		.amdhsa_system_sgpr_workgroup_id_y 0
		.amdhsa_system_sgpr_workgroup_id_z 1
		.amdhsa_system_sgpr_workgroup_info 0
		.amdhsa_system_vgpr_workitem_id 0
		.amdhsa_next_free_vgpr 11
		.amdhsa_next_free_sgpr 26
		.amdhsa_accum_offset 12
		.amdhsa_reserve_vcc 1
		.amdhsa_reserve_flat_scratch 0
		.amdhsa_float_round_mode_32 0
		.amdhsa_float_round_mode_16_64 0
		.amdhsa_float_denorm_mode_32 3
		.amdhsa_float_denorm_mode_16_64 3
		.amdhsa_dx10_clamp 1
		.amdhsa_ieee_mode 1
		.amdhsa_fp16_overflow 0
		.amdhsa_tg_split 0
		.amdhsa_exception_fp_ieee_invalid_op 0
		.amdhsa_exception_fp_denorm_src 0
		.amdhsa_exception_fp_ieee_div_zero 0
		.amdhsa_exception_fp_ieee_overflow 0
		.amdhsa_exception_fp_ieee_underflow 0
		.amdhsa_exception_fp_ieee_inexact 0
		.amdhsa_exception_int_div_zero 0
	.end_amdhsa_kernel
	.section	.text._ZL18rocblas_dot_kernelIlLb0ELi512ELi8ELb1E16rocblas_bfloat16PKPKS0_fEviT5_lT_lS5_lS6_liPT6_PT4_,"axG",@progbits,_ZL18rocblas_dot_kernelIlLb0ELi512ELi8ELb1E16rocblas_bfloat16PKPKS0_fEviT5_lT_lS5_lS6_liPT6_PT4_,comdat
.Lfunc_end564:
	.size	_ZL18rocblas_dot_kernelIlLb0ELi512ELi8ELb1E16rocblas_bfloat16PKPKS0_fEviT5_lT_lS5_lS6_liPT6_PT4_, .Lfunc_end564-_ZL18rocblas_dot_kernelIlLb0ELi512ELi8ELb1E16rocblas_bfloat16PKPKS0_fEviT5_lT_lS5_lS6_liPT6_PT4_
                                        ; -- End function
	.section	.AMDGPU.csdata,"",@progbits
; Kernel info:
; codeLenInByte = 1164
; NumSgprs: 30
; NumVgprs: 11
; NumAgprs: 0
; TotalNumVgprs: 11
; ScratchSize: 0
; MemoryBound: 0
; FloatMode: 240
; IeeeMode: 1
; LDSByteSize: 256 bytes/workgroup (compile time only)
; SGPRBlocks: 3
; VGPRBlocks: 1
; NumSGPRsForWavesPerEU: 30
; NumVGPRsForWavesPerEU: 11
; AccumOffset: 12
; Occupancy: 8
; WaveLimiterHint : 0
; COMPUTE_PGM_RSRC2:SCRATCH_EN: 0
; COMPUTE_PGM_RSRC2:USER_SGPR: 6
; COMPUTE_PGM_RSRC2:TRAP_HANDLER: 0
; COMPUTE_PGM_RSRC2:TGID_X_EN: 1
; COMPUTE_PGM_RSRC2:TGID_Y_EN: 0
; COMPUTE_PGM_RSRC2:TGID_Z_EN: 1
; COMPUTE_PGM_RSRC2:TIDIG_COMP_CNT: 0
; COMPUTE_PGM_RSRC3_GFX90A:ACCUM_OFFSET: 2
; COMPUTE_PGM_RSRC3_GFX90A:TG_SPLIT: 0
	.section	.text._ZL24rocblas_dot_kernel_magsqIlLb0ELi512ELi8ELb1E16rocblas_bfloat16PKPKS0_fEviT5_lT_liPT6_PT4_,"axG",@progbits,_ZL24rocblas_dot_kernel_magsqIlLb0ELi512ELi8ELb1E16rocblas_bfloat16PKPKS0_fEviT5_lT_liPT6_PT4_,comdat
	.globl	_ZL24rocblas_dot_kernel_magsqIlLb0ELi512ELi8ELb1E16rocblas_bfloat16PKPKS0_fEviT5_lT_liPT6_PT4_ ; -- Begin function _ZL24rocblas_dot_kernel_magsqIlLb0ELi512ELi8ELb1E16rocblas_bfloat16PKPKS0_fEviT5_lT_liPT6_PT4_
	.p2align	8
	.type	_ZL24rocblas_dot_kernel_magsqIlLb0ELi512ELi8ELb1E16rocblas_bfloat16PKPKS0_fEviT5_lT_liPT6_PT4_,@function
_ZL24rocblas_dot_kernel_magsqIlLb0ELi512ELi8ELb1E16rocblas_bfloat16PKPKS0_fEviT5_lT_liPT6_PT4_: ; @_ZL24rocblas_dot_kernel_magsqIlLb0ELi512ELi8ELb1E16rocblas_bfloat16PKPKS0_fEviT5_lT_liPT6_PT4_
; %bb.0:
	s_mov_b32 s2, s7
	s_load_dword s7, s[4:5], 0x0
	s_load_dwordx4 s[8:11], s[4:5], 0x30
	s_load_dword s16, s[4:5], 0x40
	v_lshl_or_b32 v2, s6, 9, v0
	s_mov_b32 s3, 0
	s_waitcnt lgkmcnt(0)
	v_cmp_gt_i32_e32 vcc, s7, v2
	v_mov_b32_e32 v1, 0
	s_and_saveexec_b64 s[12:13], vcc
	s_cbranch_execz .LBB565_4
; %bb.1:
	s_load_dwordx2 s[0:1], s[4:5], 0x8
	s_load_dwordx4 s[20:23], s[4:5], 0x10
	s_lshl_b64 s[4:5], s[2:3], 3
	v_ashrrev_i32_e32 v1, 31, v2
	s_waitcnt lgkmcnt(0)
	s_add_u32 s0, s0, s4
	s_addc_u32 s1, s1, s5
	s_load_dwordx2 s[0:1], s[0:1], 0x0
	s_lshl_b32 s17, s16, 9
	v_add_u32_e32 v4, s17, v2
	v_mul_lo_u32 v5, s23, v2
	v_mul_lo_u32 v1, s22, v1
	v_mad_u64_u32 v[2:3], s[4:5], s22, v2, 0
	v_add3_u32 v3, v3, v1, v5
	s_lshl_b64 s[4:5], s[20:21], 1
	v_lshlrev_b64 v[2:3], 1, v[2:3]
	s_waitcnt lgkmcnt(0)
	s_add_u32 s0, s0, s4
	s_addc_u32 s1, s1, s5
	v_add_co_u32_e32 v2, vcc, s0, v2
	s_ashr_i32 s0, s17, 31
	v_mov_b32_e32 v1, s1
	s_mul_i32 s0, s22, s0
	s_mul_hi_u32 s1, s22, s17
	s_add_i32 s0, s1, s0
	s_mul_i32 s1, s23, s17
	s_add_i32 s1, s0, s1
	s_mul_i32 s0, s22, s17
	s_lshl_b64 s[14:15], s[0:1], 1
	v_addc_co_u32_e32 v3, vcc, v1, v3, vcc
	s_mov_b64 s[4:5], 0
	v_mov_b32_e32 v1, 0
	v_mov_b32_e32 v5, s15
	s_mov_b32 s15, s3
.LBB565_2:                              ; =>This Inner Loop Header: Depth=1
	global_load_ushort v6, v[2:3], off
	s_add_i32 s18, s15, 1
	v_add_co_u32_e64 v2, s[0:1], s14, v2
	v_addc_co_u32_e64 v3, s[0:1], v3, v5, s[0:1]
	s_cmp_gt_u32 s15, 6
	v_cmp_le_i32_e32 vcc, s7, v4
	s_cselect_b64 s[0:1], -1, 0
	s_or_b64 s[0:1], s[0:1], vcc
	s_and_b64 s[0:1], exec, s[0:1]
	v_add_u32_e32 v4, s17, v4
	s_mov_b32 s15, s18
	s_or_b64 s[4:5], s[0:1], s[4:5]
	s_waitcnt vmcnt(0)
	v_lshlrev_b32_e32 v6, 16, v6
	v_fmac_f32_e32 v1, v6, v6
	s_andn2_b64 exec, exec, s[4:5]
	s_cbranch_execnz .LBB565_2
; %bb.3:
	s_or_b64 exec, exec, s[4:5]
.LBB565_4:
	s_or_b64 exec, exec, s[12:13]
	v_and_b32_e32 v3, 63, v0
	v_cmp_gt_u32_e32 vcc, 64, v0
	v_lshlrev_b32_e32 v2, 2, v3
	s_and_saveexec_b64 s[0:1], vcc
	s_cbranch_execz .LBB565_6
; %bb.5:
	v_mov_b32_e32 v4, 0
	ds_write_b32 v2, v4
.LBB565_6:
	s_or_b64 exec, exec, s[0:1]
	v_mbcnt_lo_u32_b32 v4, -1, 0
	v_mbcnt_hi_u32_b32 v6, -1, v4
	v_and_b32_e32 v7, 63, v6
	v_cmp_gt_u32_e64 s[0:1], 32, v7
	v_cndmask_b32_e64 v4, 0, 1, s[0:1]
	v_lshlrev_b32_e32 v4, 5, v4
	v_add_lshl_u32 v4, v4, v6, 2
	ds_bpermute_b32 v4, v4, v1
	v_cmp_gt_u32_e64 s[0:1], 48, v7
	v_cndmask_b32_e64 v5, 0, 1, s[0:1]
	v_lshlrev_b32_e32 v5, 4, v5
	v_cmp_gt_u32_e64 s[0:1], 56, v7
	s_waitcnt lgkmcnt(0)
	v_add_f32_e32 v1, v1, v4
	v_add_lshl_u32 v4, v5, v6, 2
	ds_bpermute_b32 v4, v4, v1
	v_cndmask_b32_e64 v5, 0, 1, s[0:1]
	v_lshlrev_b32_e32 v5, 3, v5
	v_cmp_gt_u32_e64 s[0:1], 60, v7
	s_waitcnt lgkmcnt(0)
	v_add_f32_e32 v1, v1, v4
	v_add_lshl_u32 v4, v5, v6, 2
	ds_bpermute_b32 v4, v4, v1
	v_cndmask_b32_e64 v5, 0, 1, s[0:1]
	v_lshlrev_b32_e32 v5, 2, v5
	v_cmp_gt_u32_e64 s[0:1], 62, v7
	v_cndmask_b32_e64 v8, 0, 1, s[0:1]
	s_waitcnt lgkmcnt(0)
	v_add_f32_e32 v1, v1, v4
	v_add_lshl_u32 v4, v5, v6, 2
	ds_bpermute_b32 v5, v4, v1
	v_lshlrev_b32_e32 v8, 1, v8
	v_cmp_ne_u32_e64 s[0:1], 63, v7
	s_barrier
	s_waitcnt lgkmcnt(0)
	v_add_f32_e32 v1, v1, v5
	v_add_lshl_u32 v5, v8, v6, 2
	ds_bpermute_b32 v8, v5, v1
	v_addc_co_u32_e64 v6, s[0:1], 0, v6, s[0:1]
	v_lshlrev_b32_e32 v6, 2, v6
	v_cmp_eq_u32_e64 s[0:1], 0, v3
	s_waitcnt lgkmcnt(0)
	v_add_f32_e32 v1, v1, v8
	ds_bpermute_b32 v7, v6, v1
	s_and_saveexec_b64 s[4:5], s[0:1]
	s_cbranch_execz .LBB565_8
; %bb.7:
	v_lshrrev_b32_e32 v3, 4, v0
	s_waitcnt lgkmcnt(0)
	v_add_f32_e32 v1, v1, v7
	v_and_b32_e32 v3, 28, v3
	ds_write_b32 v3, v1
.LBB565_8:
	s_or_b64 exec, exec, s[4:5]
	v_cmp_gt_u32_e64 s[0:1], 8, v0
	v_mov_b32_e32 v1, 0
	s_waitcnt lgkmcnt(0)
	s_barrier
	s_and_saveexec_b64 s[4:5], s[0:1]
	s_cbranch_execnz .LBB565_12
; %bb.9:
	s_or_b64 exec, exec, s[4:5]
	s_and_saveexec_b64 s[0:1], vcc
	s_cbranch_execnz .LBB565_13
.LBB565_10:
	s_or_b64 exec, exec, s[0:1]
	v_cmp_eq_u32_e32 vcc, 0, v0
	s_and_saveexec_b64 s[0:1], vcc
	s_cbranch_execnz .LBB565_14
.LBB565_11:
	s_endpgm
.LBB565_12:
	ds_read_b32 v1, v2
	s_or_b64 exec, exec, s[4:5]
	s_and_saveexec_b64 s[0:1], vcc
	s_cbranch_execz .LBB565_10
.LBB565_13:
	s_waitcnt lgkmcnt(0)
	ds_bpermute_b32 v2, v4, v1
	s_waitcnt lgkmcnt(0)
	v_add_f32_e32 v1, v1, v2
	ds_bpermute_b32 v2, v5, v1
	s_waitcnt lgkmcnt(0)
	v_add_f32_e32 v1, v1, v2
	;; [unrolled: 3-line block ×3, first 2 shown]
	s_or_b64 exec, exec, s[0:1]
	v_cmp_eq_u32_e32 vcc, 0, v0
	s_and_saveexec_b64 s[0:1], vcc
	s_cbranch_execz .LBB565_11
.LBB565_14:
	s_cmp_lg_u32 s16, 1
	s_mov_b64 s[0:1], -1
	s_cbranch_scc0 .LBB565_16
; %bb.15:
	s_mul_hi_u32 s1, s16, s2
	s_mul_i32 s0, s16, s2
	s_lshl_b64 s[0:1], s[0:1], 2
	s_mov_b32 s7, 0
	s_add_u32 s4, s8, s0
	s_addc_u32 s5, s9, s1
	s_lshl_b64 s[0:1], s[6:7], 2
	s_add_u32 s0, s4, s0
	s_addc_u32 s1, s5, s1
	v_mov_b32_e32 v0, 0
	s_waitcnt lgkmcnt(0)
	global_store_dword v0, v1, s[0:1]
	s_mov_b64 s[0:1], 0
.LBB565_16:
	s_andn2_b64 vcc, exec, s[0:1]
	s_cbranch_vccnz .LBB565_11
; %bb.17:
	s_mov_b32 s0, 0x7f800000
	s_waitcnt lgkmcnt(0)
	v_and_b32_e32 v0, 0x7f800000, v1
	v_cmp_ne_u32_e32 vcc, s0, v0
                                        ; implicit-def: $vgpr0
	s_and_saveexec_b64 s[0:1], vcc
	s_xor_b64 s[0:1], exec, s[0:1]
; %bb.18:
	v_bfe_u32 v0, v1, 16, 1
	s_movk_i32 s4, 0x7fff
	v_add3_u32 v0, v1, v0, s4
                                        ; implicit-def: $vgpr1
; %bb.19:
	s_andn2_saveexec_b64 s[0:1], s[0:1]
; %bb.20:
	v_mov_b32_e32 v0, 0
	v_or_b32_e32 v2, 0x10000, v1
	v_cmp_eq_u32_sdwa vcc, v1, v0 src0_sel:WORD_0 src1_sel:DWORD
	v_cndmask_b32_e32 v0, v2, v1, vcc
; %bb.21:
	s_or_b64 exec, exec, s[0:1]
	s_lshl_b64 s[0:1], s[2:3], 1
	s_add_u32 s0, s10, s0
	s_addc_u32 s1, s11, s1
	v_mov_b32_e32 v1, 0
	global_store_short_d16_hi v1, v0, s[0:1]
	s_endpgm
	.section	.rodata,"a",@progbits
	.p2align	6, 0x0
	.amdhsa_kernel _ZL24rocblas_dot_kernel_magsqIlLb0ELi512ELi8ELb1E16rocblas_bfloat16PKPKS0_fEviT5_lT_liPT6_PT4_
		.amdhsa_group_segment_fixed_size 256
		.amdhsa_private_segment_fixed_size 0
		.amdhsa_kernarg_size 320
		.amdhsa_user_sgpr_count 6
		.amdhsa_user_sgpr_private_segment_buffer 1
		.amdhsa_user_sgpr_dispatch_ptr 0
		.amdhsa_user_sgpr_queue_ptr 0
		.amdhsa_user_sgpr_kernarg_segment_ptr 1
		.amdhsa_user_sgpr_dispatch_id 0
		.amdhsa_user_sgpr_flat_scratch_init 0
		.amdhsa_user_sgpr_kernarg_preload_length 0
		.amdhsa_user_sgpr_kernarg_preload_offset 0
		.amdhsa_user_sgpr_private_segment_size 0
		.amdhsa_uses_dynamic_stack 0
		.amdhsa_system_sgpr_private_segment_wavefront_offset 0
		.amdhsa_system_sgpr_workgroup_id_x 1
		.amdhsa_system_sgpr_workgroup_id_y 0
		.amdhsa_system_sgpr_workgroup_id_z 1
		.amdhsa_system_sgpr_workgroup_info 0
		.amdhsa_system_vgpr_workitem_id 0
		.amdhsa_next_free_vgpr 9
		.amdhsa_next_free_sgpr 24
		.amdhsa_accum_offset 12
		.amdhsa_reserve_vcc 1
		.amdhsa_reserve_flat_scratch 0
		.amdhsa_float_round_mode_32 0
		.amdhsa_float_round_mode_16_64 0
		.amdhsa_float_denorm_mode_32 3
		.amdhsa_float_denorm_mode_16_64 3
		.amdhsa_dx10_clamp 1
		.amdhsa_ieee_mode 1
		.amdhsa_fp16_overflow 0
		.amdhsa_tg_split 0
		.amdhsa_exception_fp_ieee_invalid_op 0
		.amdhsa_exception_fp_denorm_src 0
		.amdhsa_exception_fp_ieee_div_zero 0
		.amdhsa_exception_fp_ieee_overflow 0
		.amdhsa_exception_fp_ieee_underflow 0
		.amdhsa_exception_fp_ieee_inexact 0
		.amdhsa_exception_int_div_zero 0
	.end_amdhsa_kernel
	.section	.text._ZL24rocblas_dot_kernel_magsqIlLb0ELi512ELi8ELb1E16rocblas_bfloat16PKPKS0_fEviT5_lT_liPT6_PT4_,"axG",@progbits,_ZL24rocblas_dot_kernel_magsqIlLb0ELi512ELi8ELb1E16rocblas_bfloat16PKPKS0_fEviT5_lT_liPT6_PT4_,comdat
.Lfunc_end565:
	.size	_ZL24rocblas_dot_kernel_magsqIlLb0ELi512ELi8ELb1E16rocblas_bfloat16PKPKS0_fEviT5_lT_liPT6_PT4_, .Lfunc_end565-_ZL24rocblas_dot_kernel_magsqIlLb0ELi512ELi8ELb1E16rocblas_bfloat16PKPKS0_fEviT5_lT_liPT6_PT4_
                                        ; -- End function
	.section	.AMDGPU.csdata,"",@progbits
; Kernel info:
; codeLenInByte = 1004
; NumSgprs: 28
; NumVgprs: 9
; NumAgprs: 0
; TotalNumVgprs: 9
; ScratchSize: 0
; MemoryBound: 0
; FloatMode: 240
; IeeeMode: 1
; LDSByteSize: 256 bytes/workgroup (compile time only)
; SGPRBlocks: 3
; VGPRBlocks: 1
; NumSGPRsForWavesPerEU: 28
; NumVGPRsForWavesPerEU: 9
; AccumOffset: 12
; Occupancy: 8
; WaveLimiterHint : 0
; COMPUTE_PGM_RSRC2:SCRATCH_EN: 0
; COMPUTE_PGM_RSRC2:USER_SGPR: 6
; COMPUTE_PGM_RSRC2:TRAP_HANDLER: 0
; COMPUTE_PGM_RSRC2:TGID_X_EN: 1
; COMPUTE_PGM_RSRC2:TGID_Y_EN: 0
; COMPUTE_PGM_RSRC2:TGID_Z_EN: 1
; COMPUTE_PGM_RSRC2:TIDIG_COMP_CNT: 0
; COMPUTE_PGM_RSRC3_GFX90A:ACCUM_OFFSET: 2
; COMPUTE_PGM_RSRC3_GFX90A:TG_SPLIT: 0
	.section	.text._ZL28rocblas_dot_batched_4_kernelIiLi32ELi4ELb1EddPKfEviT5_lT_lS2_lS3_liPT4_,"axG",@progbits,_ZL28rocblas_dot_batched_4_kernelIiLi32ELi4ELb1EddPKfEviT5_lT_lS2_lS3_liPT4_,comdat
	.globl	_ZL28rocblas_dot_batched_4_kernelIiLi32ELi4ELb1EddPKfEviT5_lT_lS2_lS3_liPT4_ ; -- Begin function _ZL28rocblas_dot_batched_4_kernelIiLi32ELi4ELb1EddPKfEviT5_lT_lS2_lS3_liPT4_
	.p2align	8
	.type	_ZL28rocblas_dot_batched_4_kernelIiLi32ELi4ELb1EddPKfEviT5_lT_lS2_lS3_liPT4_,@function
_ZL28rocblas_dot_batched_4_kernelIiLi32ELi4ELb1EddPKfEviT5_lT_lS2_lS3_liPT4_: ; @_ZL28rocblas_dot_batched_4_kernelIiLi32ELi4ELb1EddPKfEviT5_lT_lS2_lS3_liPT4_
; %bb.0:
	s_load_dword s0, s[4:5], 0x48
	v_bfe_u32 v1, v0, 10, 10
	v_lshl_add_u32 v2, s6, 2, v1
	s_waitcnt lgkmcnt(0)
	v_cmp_gt_u32_e32 vcc, s0, v2
	s_and_saveexec_b64 s[0:1], vcc
	s_cbranch_execz .LBB566_7
; %bb.1:
	s_load_dword s10, s[4:5], 0x0
	s_load_dwordx2 s[0:1], s[4:5], 0x50
	v_and_b32_e32 v8, 0x3ff, v0
	v_mov_b32_e32 v3, 0
	v_pk_mov_b32 v[0:1], 0, 0
	s_waitcnt lgkmcnt(0)
	v_cmp_gt_i32_e32 vcc, s10, v8
	s_and_saveexec_b64 s[2:3], vcc
	s_cbranch_execz .LBB566_5
; %bb.2:
	s_load_dwordx4 s[12:15], s[4:5], 0x8
	s_load_dword s6, s[4:5], 0x18
	s_load_dword s8, s[4:5], 0x38
	s_load_dwordx4 s[16:19], s[4:5], 0x20
	s_load_dwordx2 s[20:21], s[4:5], 0x30
	s_load_dwordx2 s[22:23], s[4:5], 0x40
	s_waitcnt lgkmcnt(0)
	v_mad_i64_i32 v[0:1], s[4:5], s6, v8, 0
	v_mad_u64_u32 v[4:5], s[4:5], s16, v2, 0
	v_mov_b32_e32 v6, v5
	v_mad_u64_u32 v[6:7], s[4:5], s17, v2, v[6:7]
	v_mov_b32_e32 v5, v6
	s_ashr_i32 s7, s6, 31
	s_ashr_i32 s9, s8, 31
	v_lshlrev_b64 v[0:1], 2, v[0:1]
	v_lshlrev_b64 v[4:5], 2, v[4:5]
	s_lshl_b64 s[4:5], s[14:15], 2
	v_add_co_u32_e32 v0, vcc, v0, v4
	s_add_u32 s4, s12, s4
	v_addc_co_u32_e32 v1, vcc, v1, v5, vcc
	s_addc_u32 s5, s13, s5
	v_mov_b32_e32 v5, s5
	v_add_co_u32_e32 v4, vcc, s4, v0
	s_lshl_b64 s[4:5], s[6:7], 7
	v_mad_u64_u32 v[6:7], s[6:7], s22, v2, 0
	v_mov_b32_e32 v10, v7
	v_mad_u64_u32 v[10:11], s[6:7], s23, v2, v[10:11]
	v_addc_co_u32_e32 v5, vcc, v5, v1, vcc
	v_mad_i64_i32 v[0:1], s[6:7], s8, v8, 0
	v_mov_b32_e32 v7, v10
	v_lshlrev_b64 v[0:1], 2, v[0:1]
	v_lshlrev_b64 v[6:7], 2, v[6:7]
	s_lshl_b64 s[6:7], s[20:21], 2
	v_add_co_u32_e32 v0, vcc, v0, v6
	s_add_u32 s6, s18, s6
	v_addc_co_u32_e32 v1, vcc, v1, v7, vcc
	s_addc_u32 s7, s19, s7
	v_mov_b32_e32 v7, s7
	v_add_co_u32_e32 v6, vcc, s6, v0
	s_lshl_b64 s[8:9], s[8:9], 7
	v_addc_co_u32_e32 v7, vcc, v7, v1, vcc
	s_mov_b64 s[6:7], 0
	v_pk_mov_b32 v[0:1], 0, 0
	v_mov_b32_e32 v9, s5
	v_mov_b32_e32 v10, s9
	;; [unrolled: 1-line block ×3, first 2 shown]
.LBB566_3:                              ; =>This Inner Loop Header: Depth=1
	global_load_dword v12, v[4:5], off
	global_load_dword v14, v[6:7], off
	v_add_co_u32_e32 v4, vcc, s4, v4
	v_addc_co_u32_e32 v5, vcc, v5, v9, vcc
	v_add_co_u32_e32 v6, vcc, s8, v6
	v_add_u32_e32 v11, 32, v11
	v_addc_co_u32_e32 v7, vcc, v7, v10, vcc
	v_cmp_le_i32_e32 vcc, s10, v11
	s_or_b64 s[6:7], vcc, s[6:7]
	s_waitcnt vmcnt(1)
	v_cvt_f64_f32_e32 v[12:13], v12
	s_waitcnt vmcnt(0)
	v_cvt_f64_f32_e32 v[14:15], v14
	v_fmac_f64_e32 v[0:1], v[12:13], v[14:15]
	s_andn2_b64 exec, exec, s[6:7]
	s_cbranch_execnz .LBB566_3
; %bb.4:
	s_or_b64 exec, exec, s[6:7]
.LBB566_5:
	s_or_b64 exec, exec, s[2:3]
	v_mbcnt_lo_u32_b32 v4, -1, 0
	v_mbcnt_hi_u32_b32 v6, -1, v4
	v_and_b32_e32 v7, 63, v6
	v_cmp_gt_u32_e32 vcc, 48, v7
	v_cndmask_b32_e64 v4, 0, 1, vcc
	v_lshlrev_b32_e32 v4, 4, v4
	v_add_lshl_u32 v5, v4, v6, 2
	ds_bpermute_b32 v4, v5, v0
	ds_bpermute_b32 v5, v5, v1
	v_cmp_gt_u32_e32 vcc, 56, v7
	v_cndmask_b32_e64 v9, 0, 1, vcc
	v_cmp_gt_u32_e32 vcc, 60, v7
	s_waitcnt lgkmcnt(0)
	v_add_f64 v[0:1], v[0:1], v[4:5]
	v_lshlrev_b32_e32 v4, 3, v9
	v_add_lshl_u32 v5, v4, v6, 2
	ds_bpermute_b32 v4, v5, v0
	ds_bpermute_b32 v5, v5, v1
	s_barrier
	s_waitcnt lgkmcnt(0)
	v_add_f64 v[0:1], v[0:1], v[4:5]
	v_cndmask_b32_e64 v4, 0, 1, vcc
	v_lshlrev_b32_e32 v4, 2, v4
	v_add_lshl_u32 v5, v4, v6, 2
	ds_bpermute_b32 v4, v5, v0
	ds_bpermute_b32 v5, v5, v1
	v_cmp_gt_u32_e32 vcc, 62, v7
	s_waitcnt lgkmcnt(0)
	v_add_f64 v[0:1], v[0:1], v[4:5]
	v_cndmask_b32_e64 v4, 0, 1, vcc
	v_lshlrev_b32_e32 v4, 1, v4
	v_add_lshl_u32 v5, v4, v6, 2
	ds_bpermute_b32 v4, v5, v0
	ds_bpermute_b32 v5, v5, v1
	v_cmp_ne_u32_e32 vcc, 63, v7
	s_waitcnt lgkmcnt(0)
	v_add_f64 v[0:1], v[0:1], v[4:5]
	v_addc_co_u32_e32 v4, vcc, 0, v6, vcc
	v_lshlrev_b32_e32 v5, 2, v4
	ds_bpermute_b32 v4, v5, v0
	ds_bpermute_b32 v5, v5, v1
	v_cmp_eq_u32_e32 vcc, 0, v8
	s_and_b64 exec, exec, vcc
	s_cbranch_execz .LBB566_7
; %bb.6:
	v_lshlrev_b64 v[2:3], 3, v[2:3]
	v_mov_b32_e32 v6, s1
	v_add_co_u32_e32 v2, vcc, s0, v2
	v_addc_co_u32_e32 v3, vcc, v6, v3, vcc
	s_waitcnt lgkmcnt(0)
	v_add_f64 v[0:1], v[0:1], v[4:5]
	global_store_dwordx2 v[2:3], v[0:1], off
.LBB566_7:
	s_endpgm
	.section	.rodata,"a",@progbits
	.p2align	6, 0x0
	.amdhsa_kernel _ZL28rocblas_dot_batched_4_kernelIiLi32ELi4ELb1EddPKfEviT5_lT_lS2_lS3_liPT4_
		.amdhsa_group_segment_fixed_size 0
		.amdhsa_private_segment_fixed_size 0
		.amdhsa_kernarg_size 88
		.amdhsa_user_sgpr_count 6
		.amdhsa_user_sgpr_private_segment_buffer 1
		.amdhsa_user_sgpr_dispatch_ptr 0
		.amdhsa_user_sgpr_queue_ptr 0
		.amdhsa_user_sgpr_kernarg_segment_ptr 1
		.amdhsa_user_sgpr_dispatch_id 0
		.amdhsa_user_sgpr_flat_scratch_init 0
		.amdhsa_user_sgpr_kernarg_preload_length 0
		.amdhsa_user_sgpr_kernarg_preload_offset 0
		.amdhsa_user_sgpr_private_segment_size 0
		.amdhsa_uses_dynamic_stack 0
		.amdhsa_system_sgpr_private_segment_wavefront_offset 0
		.amdhsa_system_sgpr_workgroup_id_x 1
		.amdhsa_system_sgpr_workgroup_id_y 0
		.amdhsa_system_sgpr_workgroup_id_z 0
		.amdhsa_system_sgpr_workgroup_info 0
		.amdhsa_system_vgpr_workitem_id 1
		.amdhsa_next_free_vgpr 16
		.amdhsa_next_free_sgpr 24
		.amdhsa_accum_offset 16
		.amdhsa_reserve_vcc 1
		.amdhsa_reserve_flat_scratch 0
		.amdhsa_float_round_mode_32 0
		.amdhsa_float_round_mode_16_64 0
		.amdhsa_float_denorm_mode_32 3
		.amdhsa_float_denorm_mode_16_64 3
		.amdhsa_dx10_clamp 1
		.amdhsa_ieee_mode 1
		.amdhsa_fp16_overflow 0
		.amdhsa_tg_split 0
		.amdhsa_exception_fp_ieee_invalid_op 0
		.amdhsa_exception_fp_denorm_src 0
		.amdhsa_exception_fp_ieee_div_zero 0
		.amdhsa_exception_fp_ieee_overflow 0
		.amdhsa_exception_fp_ieee_underflow 0
		.amdhsa_exception_fp_ieee_inexact 0
		.amdhsa_exception_int_div_zero 0
	.end_amdhsa_kernel
	.section	.text._ZL28rocblas_dot_batched_4_kernelIiLi32ELi4ELb1EddPKfEviT5_lT_lS2_lS3_liPT4_,"axG",@progbits,_ZL28rocblas_dot_batched_4_kernelIiLi32ELi4ELb1EddPKfEviT5_lT_lS2_lS3_liPT4_,comdat
.Lfunc_end566:
	.size	_ZL28rocblas_dot_batched_4_kernelIiLi32ELi4ELb1EddPKfEviT5_lT_lS2_lS3_liPT4_, .Lfunc_end566-_ZL28rocblas_dot_batched_4_kernelIiLi32ELi4ELb1EddPKfEviT5_lT_lS2_lS3_liPT4_
                                        ; -- End function
	.section	.AMDGPU.csdata,"",@progbits
; Kernel info:
; codeLenInByte = 740
; NumSgprs: 28
; NumVgprs: 16
; NumAgprs: 0
; TotalNumVgprs: 16
; ScratchSize: 0
; MemoryBound: 0
; FloatMode: 240
; IeeeMode: 1
; LDSByteSize: 0 bytes/workgroup (compile time only)
; SGPRBlocks: 3
; VGPRBlocks: 1
; NumSGPRsForWavesPerEU: 28
; NumVGPRsForWavesPerEU: 16
; AccumOffset: 16
; Occupancy: 8
; WaveLimiterHint : 0
; COMPUTE_PGM_RSRC2:SCRATCH_EN: 0
; COMPUTE_PGM_RSRC2:USER_SGPR: 6
; COMPUTE_PGM_RSRC2:TRAP_HANDLER: 0
; COMPUTE_PGM_RSRC2:TGID_X_EN: 1
; COMPUTE_PGM_RSRC2:TGID_Y_EN: 0
; COMPUTE_PGM_RSRC2:TGID_Z_EN: 0
; COMPUTE_PGM_RSRC2:TIDIG_COMP_CNT: 1
; COMPUTE_PGM_RSRC3_GFX90A:ACCUM_OFFSET: 3
; COMPUTE_PGM_RSRC3_GFX90A:TG_SPLIT: 0
	.section	.text._ZL28rocblas_dot_batched_4_kernelIiLi64ELi4ELb1EddPKfEviT5_lT_lS2_lS3_liPT4_,"axG",@progbits,_ZL28rocblas_dot_batched_4_kernelIiLi64ELi4ELb1EddPKfEviT5_lT_lS2_lS3_liPT4_,comdat
	.globl	_ZL28rocblas_dot_batched_4_kernelIiLi64ELi4ELb1EddPKfEviT5_lT_lS2_lS3_liPT4_ ; -- Begin function _ZL28rocblas_dot_batched_4_kernelIiLi64ELi4ELb1EddPKfEviT5_lT_lS2_lS3_liPT4_
	.p2align	8
	.type	_ZL28rocblas_dot_batched_4_kernelIiLi64ELi4ELb1EddPKfEviT5_lT_lS2_lS3_liPT4_,@function
_ZL28rocblas_dot_batched_4_kernelIiLi64ELi4ELb1EddPKfEviT5_lT_lS2_lS3_liPT4_: ; @_ZL28rocblas_dot_batched_4_kernelIiLi64ELi4ELb1EddPKfEviT5_lT_lS2_lS3_liPT4_
; %bb.0:
	s_load_dword s0, s[4:5], 0x48
	v_bfe_u32 v1, v0, 10, 10
	v_lshl_add_u32 v2, s6, 2, v1
	s_waitcnt lgkmcnt(0)
	v_cmp_gt_u32_e32 vcc, s0, v2
	s_and_saveexec_b64 s[0:1], vcc
	s_cbranch_execz .LBB567_7
; %bb.1:
	s_load_dword s10, s[4:5], 0x0
	s_load_dwordx2 s[0:1], s[4:5], 0x50
	v_and_b32_e32 v8, 0x3ff, v0
	v_mov_b32_e32 v3, 0
	v_pk_mov_b32 v[0:1], 0, 0
	s_waitcnt lgkmcnt(0)
	v_cmp_gt_i32_e32 vcc, s10, v8
	s_and_saveexec_b64 s[2:3], vcc
	s_cbranch_execz .LBB567_5
; %bb.2:
	s_load_dwordx4 s[12:15], s[4:5], 0x8
	s_load_dword s6, s[4:5], 0x18
	s_load_dword s8, s[4:5], 0x38
	s_load_dwordx4 s[16:19], s[4:5], 0x20
	s_load_dwordx2 s[20:21], s[4:5], 0x30
	s_load_dwordx2 s[22:23], s[4:5], 0x40
	s_waitcnt lgkmcnt(0)
	v_mad_i64_i32 v[0:1], s[4:5], s6, v8, 0
	v_mad_u64_u32 v[4:5], s[4:5], s16, v2, 0
	v_mov_b32_e32 v6, v5
	v_mad_u64_u32 v[6:7], s[4:5], s17, v2, v[6:7]
	v_mov_b32_e32 v5, v6
	s_ashr_i32 s7, s6, 31
	s_ashr_i32 s9, s8, 31
	v_lshlrev_b64 v[0:1], 2, v[0:1]
	v_lshlrev_b64 v[4:5], 2, v[4:5]
	s_lshl_b64 s[4:5], s[14:15], 2
	v_add_co_u32_e32 v0, vcc, v0, v4
	s_add_u32 s4, s12, s4
	v_addc_co_u32_e32 v1, vcc, v1, v5, vcc
	s_addc_u32 s5, s13, s5
	v_mov_b32_e32 v5, s5
	v_add_co_u32_e32 v4, vcc, s4, v0
	s_lshl_b64 s[4:5], s[6:7], 8
	v_mad_u64_u32 v[6:7], s[6:7], s22, v2, 0
	v_mov_b32_e32 v10, v7
	v_mad_u64_u32 v[10:11], s[6:7], s23, v2, v[10:11]
	v_addc_co_u32_e32 v5, vcc, v5, v1, vcc
	v_mad_i64_i32 v[0:1], s[6:7], s8, v8, 0
	v_mov_b32_e32 v7, v10
	v_lshlrev_b64 v[0:1], 2, v[0:1]
	v_lshlrev_b64 v[6:7], 2, v[6:7]
	s_lshl_b64 s[6:7], s[20:21], 2
	v_add_co_u32_e32 v0, vcc, v0, v6
	s_add_u32 s6, s18, s6
	v_addc_co_u32_e32 v1, vcc, v1, v7, vcc
	s_addc_u32 s7, s19, s7
	v_mov_b32_e32 v7, s7
	v_add_co_u32_e32 v6, vcc, s6, v0
	s_lshl_b64 s[8:9], s[8:9], 8
	v_addc_co_u32_e32 v7, vcc, v7, v1, vcc
	s_mov_b64 s[6:7], 0
	v_pk_mov_b32 v[0:1], 0, 0
	v_mov_b32_e32 v9, s5
	v_mov_b32_e32 v10, s9
	;; [unrolled: 1-line block ×3, first 2 shown]
.LBB567_3:                              ; =>This Inner Loop Header: Depth=1
	global_load_dword v12, v[4:5], off
	global_load_dword v14, v[6:7], off
	v_add_co_u32_e32 v4, vcc, s4, v4
	v_addc_co_u32_e32 v5, vcc, v5, v9, vcc
	v_add_co_u32_e32 v6, vcc, s8, v6
	v_add_u32_e32 v11, 64, v11
	v_addc_co_u32_e32 v7, vcc, v7, v10, vcc
	v_cmp_le_i32_e32 vcc, s10, v11
	s_or_b64 s[6:7], vcc, s[6:7]
	s_waitcnt vmcnt(1)
	v_cvt_f64_f32_e32 v[12:13], v12
	s_waitcnt vmcnt(0)
	v_cvt_f64_f32_e32 v[14:15], v14
	v_fmac_f64_e32 v[0:1], v[12:13], v[14:15]
	s_andn2_b64 exec, exec, s[6:7]
	s_cbranch_execnz .LBB567_3
; %bb.4:
	s_or_b64 exec, exec, s[6:7]
.LBB567_5:
	s_or_b64 exec, exec, s[2:3]
	v_mbcnt_lo_u32_b32 v4, -1, 0
	v_mbcnt_hi_u32_b32 v6, -1, v4
	v_and_b32_e32 v7, 63, v6
	v_cmp_gt_u32_e32 vcc, 32, v7
	v_cndmask_b32_e64 v4, 0, 1, vcc
	v_lshlrev_b32_e32 v4, 5, v4
	v_add_lshl_u32 v5, v4, v6, 2
	ds_bpermute_b32 v4, v5, v0
	ds_bpermute_b32 v5, v5, v1
	v_cmp_gt_u32_e32 vcc, 48, v7
	v_cndmask_b32_e64 v9, 0, 1, vcc
	v_cmp_gt_u32_e32 vcc, 56, v7
	s_waitcnt lgkmcnt(0)
	v_add_f64 v[0:1], v[0:1], v[4:5]
	v_lshlrev_b32_e32 v4, 4, v9
	v_add_lshl_u32 v5, v4, v6, 2
	ds_bpermute_b32 v4, v5, v0
	ds_bpermute_b32 v5, v5, v1
	s_barrier
	s_waitcnt lgkmcnt(0)
	v_add_f64 v[0:1], v[0:1], v[4:5]
	v_cndmask_b32_e64 v4, 0, 1, vcc
	v_lshlrev_b32_e32 v4, 3, v4
	v_add_lshl_u32 v5, v4, v6, 2
	ds_bpermute_b32 v4, v5, v0
	ds_bpermute_b32 v5, v5, v1
	v_cmp_gt_u32_e32 vcc, 60, v7
	s_waitcnt lgkmcnt(0)
	v_add_f64 v[0:1], v[0:1], v[4:5]
	v_cndmask_b32_e64 v4, 0, 1, vcc
	v_lshlrev_b32_e32 v4, 2, v4
	v_add_lshl_u32 v5, v4, v6, 2
	ds_bpermute_b32 v4, v5, v0
	ds_bpermute_b32 v5, v5, v1
	v_cmp_gt_u32_e32 vcc, 62, v7
	s_waitcnt lgkmcnt(0)
	v_add_f64 v[0:1], v[0:1], v[4:5]
	v_cndmask_b32_e64 v4, 0, 1, vcc
	v_lshlrev_b32_e32 v4, 1, v4
	v_add_lshl_u32 v5, v4, v6, 2
	ds_bpermute_b32 v4, v5, v0
	ds_bpermute_b32 v5, v5, v1
	v_cmp_ne_u32_e32 vcc, 63, v7
	s_waitcnt lgkmcnt(0)
	v_add_f64 v[0:1], v[0:1], v[4:5]
	v_addc_co_u32_e32 v4, vcc, 0, v6, vcc
	v_lshlrev_b32_e32 v5, 2, v4
	ds_bpermute_b32 v4, v5, v0
	ds_bpermute_b32 v5, v5, v1
	v_cmp_eq_u32_e32 vcc, 0, v8
	s_and_b64 exec, exec, vcc
	s_cbranch_execz .LBB567_7
; %bb.6:
	v_lshlrev_b64 v[2:3], 3, v[2:3]
	v_mov_b32_e32 v6, s1
	v_add_co_u32_e32 v2, vcc, s0, v2
	v_addc_co_u32_e32 v3, vcc, v6, v3, vcc
	s_waitcnt lgkmcnt(0)
	v_add_f64 v[0:1], v[0:1], v[4:5]
	global_store_dwordx2 v[2:3], v[0:1], off
.LBB567_7:
	s_endpgm
	.section	.rodata,"a",@progbits
	.p2align	6, 0x0
	.amdhsa_kernel _ZL28rocblas_dot_batched_4_kernelIiLi64ELi4ELb1EddPKfEviT5_lT_lS2_lS3_liPT4_
		.amdhsa_group_segment_fixed_size 0
		.amdhsa_private_segment_fixed_size 0
		.amdhsa_kernarg_size 88
		.amdhsa_user_sgpr_count 6
		.amdhsa_user_sgpr_private_segment_buffer 1
		.amdhsa_user_sgpr_dispatch_ptr 0
		.amdhsa_user_sgpr_queue_ptr 0
		.amdhsa_user_sgpr_kernarg_segment_ptr 1
		.amdhsa_user_sgpr_dispatch_id 0
		.amdhsa_user_sgpr_flat_scratch_init 0
		.amdhsa_user_sgpr_kernarg_preload_length 0
		.amdhsa_user_sgpr_kernarg_preload_offset 0
		.amdhsa_user_sgpr_private_segment_size 0
		.amdhsa_uses_dynamic_stack 0
		.amdhsa_system_sgpr_private_segment_wavefront_offset 0
		.amdhsa_system_sgpr_workgroup_id_x 1
		.amdhsa_system_sgpr_workgroup_id_y 0
		.amdhsa_system_sgpr_workgroup_id_z 0
		.amdhsa_system_sgpr_workgroup_info 0
		.amdhsa_system_vgpr_workitem_id 1
		.amdhsa_next_free_vgpr 16
		.amdhsa_next_free_sgpr 24
		.amdhsa_accum_offset 16
		.amdhsa_reserve_vcc 1
		.amdhsa_reserve_flat_scratch 0
		.amdhsa_float_round_mode_32 0
		.amdhsa_float_round_mode_16_64 0
		.amdhsa_float_denorm_mode_32 3
		.amdhsa_float_denorm_mode_16_64 3
		.amdhsa_dx10_clamp 1
		.amdhsa_ieee_mode 1
		.amdhsa_fp16_overflow 0
		.amdhsa_tg_split 0
		.amdhsa_exception_fp_ieee_invalid_op 0
		.amdhsa_exception_fp_denorm_src 0
		.amdhsa_exception_fp_ieee_div_zero 0
		.amdhsa_exception_fp_ieee_overflow 0
		.amdhsa_exception_fp_ieee_underflow 0
		.amdhsa_exception_fp_ieee_inexact 0
		.amdhsa_exception_int_div_zero 0
	.end_amdhsa_kernel
	.section	.text._ZL28rocblas_dot_batched_4_kernelIiLi64ELi4ELb1EddPKfEviT5_lT_lS2_lS3_liPT4_,"axG",@progbits,_ZL28rocblas_dot_batched_4_kernelIiLi64ELi4ELb1EddPKfEviT5_lT_lS2_lS3_liPT4_,comdat
.Lfunc_end567:
	.size	_ZL28rocblas_dot_batched_4_kernelIiLi64ELi4ELb1EddPKfEviT5_lT_lS2_lS3_liPT4_, .Lfunc_end567-_ZL28rocblas_dot_batched_4_kernelIiLi64ELi4ELb1EddPKfEviT5_lT_lS2_lS3_liPT4_
                                        ; -- End function
	.section	.AMDGPU.csdata,"",@progbits
; Kernel info:
; codeLenInByte = 792
; NumSgprs: 28
; NumVgprs: 16
; NumAgprs: 0
; TotalNumVgprs: 16
; ScratchSize: 0
; MemoryBound: 0
; FloatMode: 240
; IeeeMode: 1
; LDSByteSize: 0 bytes/workgroup (compile time only)
; SGPRBlocks: 3
; VGPRBlocks: 1
; NumSGPRsForWavesPerEU: 28
; NumVGPRsForWavesPerEU: 16
; AccumOffset: 16
; Occupancy: 8
; WaveLimiterHint : 0
; COMPUTE_PGM_RSRC2:SCRATCH_EN: 0
; COMPUTE_PGM_RSRC2:USER_SGPR: 6
; COMPUTE_PGM_RSRC2:TRAP_HANDLER: 0
; COMPUTE_PGM_RSRC2:TGID_X_EN: 1
; COMPUTE_PGM_RSRC2:TGID_Y_EN: 0
; COMPUTE_PGM_RSRC2:TGID_Z_EN: 0
; COMPUTE_PGM_RSRC2:TIDIG_COMP_CNT: 1
; COMPUTE_PGM_RSRC3_GFX90A:ACCUM_OFFSET: 3
; COMPUTE_PGM_RSRC3_GFX90A:TG_SPLIT: 0
	.section	.text._ZL26rocblas_dot_kernel_inc1by2ILb1ELi1024ELi32ELb1EdPKfdEviT4_llS2_lliPT5_PT3_,"axG",@progbits,_ZL26rocblas_dot_kernel_inc1by2ILb1ELi1024ELi32ELb1EdPKfdEviT4_llS2_lliPT5_PT3_,comdat
	.globl	_ZL26rocblas_dot_kernel_inc1by2ILb1ELi1024ELi32ELb1EdPKfdEviT4_llS2_lliPT5_PT3_ ; -- Begin function _ZL26rocblas_dot_kernel_inc1by2ILb1ELi1024ELi32ELb1EdPKfdEviT4_llS2_lliPT5_PT3_
	.p2align	8
	.type	_ZL26rocblas_dot_kernel_inc1by2ILb1ELi1024ELi32ELb1EdPKfdEviT4_llS2_lliPT5_PT3_,@function
_ZL26rocblas_dot_kernel_inc1by2ILb1ELi1024ELi32ELb1EdPKfdEviT4_llS2_lliPT5_PT3_: ; @_ZL26rocblas_dot_kernel_inc1by2ILb1ELi1024ELi32ELb1EdPKfdEviT4_llS2_lliPT5_PT3_
; %bb.0:
	s_mov_b32 s2, s7
	s_load_dword s10, s[4:5], 0x0
	s_load_dwordx2 s[6:7], s[4:5], 0x48
	s_mov_b32 s3, 0
	v_pk_mov_b32 v[2:3], 0, 0
	s_waitcnt lgkmcnt(0)
	v_cmp_gt_i32_e32 vcc, s10, v0
	s_and_saveexec_b64 s[8:9], vcc
	s_cbranch_execz .LBB568_4
; %bb.1:
	s_load_dwordx4 s[12:15], s[4:5], 0x28
	s_load_dwordx2 s[0:1], s[4:5], 0x20
	s_load_dwordx2 s[20:21], s[4:5], 0x8
	s_load_dwordx4 s[16:19], s[4:5], 0x10
	v_lshlrev_b32_e32 v2, 2, v0
	s_waitcnt lgkmcnt(0)
	s_mul_i32 s4, s15, s2
	s_mul_hi_u32 s5, s14, s2
	s_add_i32 s5, s5, s4
	s_mul_i32 s4, s14, s2
	s_lshl_b64 s[4:5], s[4:5], 2
	s_lshl_b64 s[12:13], s[12:13], 2
	s_add_u32 s4, s4, s12
	s_addc_u32 s5, s5, s13
	s_add_u32 s0, s0, s4
	s_addc_u32 s1, s1, s5
	v_mov_b32_e32 v3, s1
	v_add_co_u32_e32 v4, vcc, s0, v2
	s_mul_i32 s0, s19, s2
	s_mul_hi_u32 s1, s18, s2
	s_add_i32 s1, s1, s0
	s_mul_i32 s0, s18, s2
	s_lshl_b64 s[0:1], s[0:1], 2
	s_lshl_b64 s[4:5], s[16:17], 2
	s_add_u32 s0, s0, s4
	s_addc_u32 s1, s1, s5
	s_add_u32 s0, s20, s0
	v_addc_co_u32_e32 v5, vcc, 0, v3, vcc
	s_addc_u32 s1, s21, s1
	v_mov_b32_e32 v3, s1
	v_add_co_u32_e32 v6, vcc, s0, v2
	v_or_b32_e32 v1, 0x400, v0
	v_addc_co_u32_e32 v7, vcc, 0, v3, vcc
	s_mov_b64 s[4:5], 0
	v_pk_mov_b32 v[2:3], 0, 0
	s_mov_b32 s11, s3
.LBB568_2:                              ; =>This Inner Loop Header: Depth=1
	global_load_dword v8, v[4:5], off
	global_load_dword v10, v[6:7], off
	s_add_i32 s12, s11, 1
	s_cmp_gt_u32 s11, 30
	v_cmp_le_i32_e64 s[0:1], s10, v1
	v_add_co_u32_e32 v4, vcc, 0x1000, v4
	s_mov_b32 s11, s12
	s_cselect_b64 s[12:13], -1, 0
	v_addc_co_u32_e32 v5, vcc, 0, v5, vcc
	s_or_b64 s[0:1], s[12:13], s[0:1]
	v_add_co_u32_e32 v6, vcc, 0x1000, v6
	s_and_b64 s[0:1], exec, s[0:1]
	v_add_u32_e32 v1, 0x400, v1
	v_addc_co_u32_e32 v7, vcc, 0, v7, vcc
	s_or_b64 s[4:5], s[0:1], s[4:5]
	s_waitcnt vmcnt(1)
	v_cvt_f64_f32_e32 v[8:9], v8
	s_waitcnt vmcnt(0)
	v_cvt_f64_f32_e32 v[10:11], v10
	v_fmac_f64_e32 v[2:3], v[8:9], v[10:11]
	s_andn2_b64 exec, exec, s[4:5]
	s_cbranch_execnz .LBB568_2
; %bb.3:
	s_or_b64 exec, exec, s[4:5]
.LBB568_4:
	s_or_b64 exec, exec, s[8:9]
	v_and_b32_e32 v6, 63, v0
	v_cmp_gt_u32_e32 vcc, 64, v0
	v_lshlrev_b32_e32 v1, 3, v6
	s_and_saveexec_b64 s[0:1], vcc
	s_cbranch_execz .LBB568_6
; %bb.5:
	v_mov_b32_e32 v4, 0
	v_mov_b32_e32 v5, v4
	ds_write_b64 v1, v[4:5]
.LBB568_6:
	s_or_b64 exec, exec, s[0:1]
	v_mbcnt_lo_u32_b32 v4, -1, 0
	v_mbcnt_hi_u32_b32 v10, -1, v4
	v_and_b32_e32 v11, 63, v10
	v_cmp_gt_u32_e64 s[0:1], 32, v11
	v_cndmask_b32_e64 v4, 0, 1, s[0:1]
	v_lshlrev_b32_e32 v4, 5, v4
	v_add_lshl_u32 v5, v4, v10, 2
	ds_bpermute_b32 v4, v5, v2
	ds_bpermute_b32 v5, v5, v3
	v_cmp_gt_u32_e64 s[0:1], 48, v11
	v_cndmask_b32_e64 v7, 0, 1, s[0:1]
	v_cmp_gt_u32_e64 s[0:1], 56, v11
	s_waitcnt lgkmcnt(0)
	v_add_f64 v[2:3], v[2:3], v[4:5]
	v_lshlrev_b32_e32 v4, 4, v7
	v_add_lshl_u32 v5, v4, v10, 2
	ds_bpermute_b32 v4, v5, v2
	ds_bpermute_b32 v5, v5, v3
	s_barrier
	s_waitcnt lgkmcnt(0)
	v_add_f64 v[2:3], v[2:3], v[4:5]
	v_cndmask_b32_e64 v4, 0, 1, s[0:1]
	v_lshlrev_b32_e32 v4, 3, v4
	v_add_lshl_u32 v7, v4, v10, 2
	ds_bpermute_b32 v4, v7, v2
	ds_bpermute_b32 v5, v7, v3
	v_cmp_gt_u32_e64 s[0:1], 60, v11
	s_waitcnt lgkmcnt(0)
	v_add_f64 v[2:3], v[2:3], v[4:5]
	v_cndmask_b32_e64 v4, 0, 1, s[0:1]
	v_lshlrev_b32_e32 v4, 2, v4
	v_add_lshl_u32 v8, v4, v10, 2
	ds_bpermute_b32 v4, v8, v2
	ds_bpermute_b32 v5, v8, v3
	v_cmp_gt_u32_e64 s[0:1], 62, v11
	s_waitcnt lgkmcnt(0)
	v_add_f64 v[2:3], v[2:3], v[4:5]
	v_cndmask_b32_e64 v4, 0, 1, s[0:1]
	v_lshlrev_b32_e32 v4, 1, v4
	v_add_lshl_u32 v9, v4, v10, 2
	ds_bpermute_b32 v4, v9, v2
	ds_bpermute_b32 v5, v9, v3
	v_cmp_ne_u32_e64 s[0:1], 63, v11
	s_waitcnt lgkmcnt(0)
	v_add_f64 v[2:3], v[2:3], v[4:5]
	v_addc_co_u32_e64 v4, s[0:1], 0, v10, s[0:1]
	v_lshlrev_b32_e32 v10, 2, v4
	ds_bpermute_b32 v4, v10, v2
	ds_bpermute_b32 v5, v10, v3
	v_cmp_eq_u32_e64 s[0:1], 0, v6
	s_and_saveexec_b64 s[4:5], s[0:1]
	s_cbranch_execz .LBB568_8
; %bb.7:
	s_waitcnt lgkmcnt(0)
	v_add_f64 v[2:3], v[2:3], v[4:5]
	v_lshrrev_b32_e32 v4, 3, v0
	v_and_b32_e32 v4, 0x78, v4
	ds_write_b64 v4, v[2:3]
.LBB568_8:
	s_or_b64 exec, exec, s[4:5]
	v_cmp_gt_u32_e64 s[0:1], 16, v0
	v_pk_mov_b32 v[2:3], 0, 0
	s_waitcnt lgkmcnt(0)
	s_barrier
	s_and_saveexec_b64 s[4:5], s[0:1]
	s_cbranch_execnz .LBB568_12
; %bb.9:
	s_or_b64 exec, exec, s[4:5]
	s_and_saveexec_b64 s[0:1], vcc
	s_cbranch_execnz .LBB568_13
.LBB568_10:
	s_or_b64 exec, exec, s[0:1]
	v_cmp_eq_u32_e32 vcc, 0, v0
	s_and_saveexec_b64 s[0:1], vcc
	s_cbranch_execnz .LBB568_14
.LBB568_11:
	s_endpgm
.LBB568_12:
	ds_read_b64 v[2:3], v1
	s_or_b64 exec, exec, s[4:5]
	s_and_saveexec_b64 s[0:1], vcc
	s_cbranch_execz .LBB568_10
.LBB568_13:
	s_waitcnt lgkmcnt(0)
	ds_bpermute_b32 v4, v7, v2
	ds_bpermute_b32 v5, v7, v3
	s_waitcnt lgkmcnt(0)
	v_add_f64 v[2:3], v[2:3], v[4:5]
	ds_bpermute_b32 v4, v8, v2
	ds_bpermute_b32 v5, v8, v3
	s_waitcnt lgkmcnt(0)
	v_add_f64 v[2:3], v[2:3], v[4:5]
	;; [unrolled: 4-line block ×4, first 2 shown]
	s_or_b64 exec, exec, s[0:1]
	v_cmp_eq_u32_e32 vcc, 0, v0
	s_and_saveexec_b64 s[0:1], vcc
	s_cbranch_execz .LBB568_11
.LBB568_14:
	s_lshl_b64 s[0:1], s[2:3], 3
	s_add_u32 s0, s6, s0
	s_addc_u32 s1, s7, s1
	v_mov_b32_e32 v0, 0
	s_waitcnt lgkmcnt(0)
	global_store_dwordx2 v0, v[2:3], s[0:1]
	s_endpgm
	.section	.rodata,"a",@progbits
	.p2align	6, 0x0
	.amdhsa_kernel _ZL26rocblas_dot_kernel_inc1by2ILb1ELi1024ELi32ELb1EdPKfdEviT4_llS2_lliPT5_PT3_
		.amdhsa_group_segment_fixed_size 512
		.amdhsa_private_segment_fixed_size 0
		.amdhsa_kernarg_size 80
		.amdhsa_user_sgpr_count 6
		.amdhsa_user_sgpr_private_segment_buffer 1
		.amdhsa_user_sgpr_dispatch_ptr 0
		.amdhsa_user_sgpr_queue_ptr 0
		.amdhsa_user_sgpr_kernarg_segment_ptr 1
		.amdhsa_user_sgpr_dispatch_id 0
		.amdhsa_user_sgpr_flat_scratch_init 0
		.amdhsa_user_sgpr_kernarg_preload_length 0
		.amdhsa_user_sgpr_kernarg_preload_offset 0
		.amdhsa_user_sgpr_private_segment_size 0
		.amdhsa_uses_dynamic_stack 0
		.amdhsa_system_sgpr_private_segment_wavefront_offset 0
		.amdhsa_system_sgpr_workgroup_id_x 1
		.amdhsa_system_sgpr_workgroup_id_y 0
		.amdhsa_system_sgpr_workgroup_id_z 1
		.amdhsa_system_sgpr_workgroup_info 0
		.amdhsa_system_vgpr_workitem_id 0
		.amdhsa_next_free_vgpr 12
		.amdhsa_next_free_sgpr 22
		.amdhsa_accum_offset 12
		.amdhsa_reserve_vcc 1
		.amdhsa_reserve_flat_scratch 0
		.amdhsa_float_round_mode_32 0
		.amdhsa_float_round_mode_16_64 0
		.amdhsa_float_denorm_mode_32 3
		.amdhsa_float_denorm_mode_16_64 3
		.amdhsa_dx10_clamp 1
		.amdhsa_ieee_mode 1
		.amdhsa_fp16_overflow 0
		.amdhsa_tg_split 0
		.amdhsa_exception_fp_ieee_invalid_op 0
		.amdhsa_exception_fp_denorm_src 0
		.amdhsa_exception_fp_ieee_div_zero 0
		.amdhsa_exception_fp_ieee_overflow 0
		.amdhsa_exception_fp_ieee_underflow 0
		.amdhsa_exception_fp_ieee_inexact 0
		.amdhsa_exception_int_div_zero 0
	.end_amdhsa_kernel
	.section	.text._ZL26rocblas_dot_kernel_inc1by2ILb1ELi1024ELi32ELb1EdPKfdEviT4_llS2_lliPT5_PT3_,"axG",@progbits,_ZL26rocblas_dot_kernel_inc1by2ILb1ELi1024ELi32ELb1EdPKfdEviT4_llS2_lliPT5_PT3_,comdat
.Lfunc_end568:
	.size	_ZL26rocblas_dot_kernel_inc1by2ILb1ELi1024ELi32ELb1EdPKfdEviT4_llS2_lliPT5_PT3_, .Lfunc_end568-_ZL26rocblas_dot_kernel_inc1by2ILb1ELi1024ELi32ELb1EdPKfdEviT4_llS2_lliPT5_PT3_
                                        ; -- End function
	.section	.AMDGPU.csdata,"",@progbits
; Kernel info:
; codeLenInByte = 1016
; NumSgprs: 26
; NumVgprs: 12
; NumAgprs: 0
; TotalNumVgprs: 12
; ScratchSize: 0
; MemoryBound: 0
; FloatMode: 240
; IeeeMode: 1
; LDSByteSize: 512 bytes/workgroup (compile time only)
; SGPRBlocks: 3
; VGPRBlocks: 1
; NumSGPRsForWavesPerEU: 26
; NumVGPRsForWavesPerEU: 12
; AccumOffset: 12
; Occupancy: 8
; WaveLimiterHint : 0
; COMPUTE_PGM_RSRC2:SCRATCH_EN: 0
; COMPUTE_PGM_RSRC2:USER_SGPR: 6
; COMPUTE_PGM_RSRC2:TRAP_HANDLER: 0
; COMPUTE_PGM_RSRC2:TGID_X_EN: 1
; COMPUTE_PGM_RSRC2:TGID_Y_EN: 0
; COMPUTE_PGM_RSRC2:TGID_Z_EN: 1
; COMPUTE_PGM_RSRC2:TIDIG_COMP_CNT: 0
; COMPUTE_PGM_RSRC3_GFX90A:ACCUM_OFFSET: 2
; COMPUTE_PGM_RSRC3_GFX90A:TG_SPLIT: 0
	.section	.text._ZL18rocblas_dot_kernelIiLb1ELi1024ELi32ELb1EdPKfdEviT5_lT_lS2_lS3_liPT6_PT4_,"axG",@progbits,_ZL18rocblas_dot_kernelIiLb1ELi1024ELi32ELb1EdPKfdEviT5_lT_lS2_lS3_liPT6_PT4_,comdat
	.globl	_ZL18rocblas_dot_kernelIiLb1ELi1024ELi32ELb1EdPKfdEviT5_lT_lS2_lS3_liPT6_PT4_ ; -- Begin function _ZL18rocblas_dot_kernelIiLb1ELi1024ELi32ELb1EdPKfdEviT5_lT_lS2_lS3_liPT6_PT4_
	.p2align	8
	.type	_ZL18rocblas_dot_kernelIiLb1ELi1024ELi32ELb1EdPKfdEviT5_lT_lS2_lS3_liPT6_PT4_,@function
_ZL18rocblas_dot_kernelIiLb1ELi1024ELi32ELb1EdPKfdEviT5_lT_lS2_lS3_liPT6_PT4_: ; @_ZL18rocblas_dot_kernelIiLb1ELi1024ELi32ELb1EdPKfdEviT5_lT_lS2_lS3_liPT6_PT4_
; %bb.0:
	s_load_dword s14, s[4:5], 0x0
	s_load_dwordx2 s[8:9], s[4:5], 0x58
	s_mov_b32 s6, s7
	s_mov_b32 s7, 0
	v_pk_mov_b32 v[2:3], 0, 0
	s_waitcnt lgkmcnt(0)
	v_cmp_gt_i32_e32 vcc, s14, v0
	s_and_saveexec_b64 s[10:11], vcc
	s_cbranch_execz .LBB569_4
; %bb.1:
	s_load_dword s22, s[4:5], 0x38
	s_load_dwordx2 s[12:13], s[4:5], 0x40
	s_load_dword s15, s[4:5], 0x60
	s_load_dwordx4 s[0:3], s[4:5], 0x20
	s_load_dwordx4 s[16:19], s[4:5], 0x8
	s_load_dword s23, s[4:5], 0x18
	s_load_dwordx2 s[20:21], s[4:5], 0x30
	s_waitcnt lgkmcnt(0)
	s_lshl_b32 s15, s15, 10
	s_mul_i32 s1, s1, s6
	s_mul_hi_u32 s4, s0, s6
	s_add_i32 s1, s4, s1
	s_mul_i32 s0, s0, s6
	v_mad_i64_i32 v[2:3], s[4:5], s23, v0, 0
	s_lshl_b64 s[0:1], s[0:1], 2
	s_lshl_b64 s[4:5], s[18:19], 2
	s_add_u32 s4, s16, s4
	s_addc_u32 s5, s17, s5
	s_add_u32 s0, s4, s0
	v_lshlrev_b64 v[2:3], 2, v[2:3]
	s_addc_u32 s1, s5, s1
	v_mov_b32_e32 v5, s1
	v_add_co_u32_e32 v4, vcc, s0, v2
	s_mul_hi_i32 s1, s23, s15
	s_mul_i32 s0, s23, s15
	s_lshl_b64 s[4:5], s[0:1], 2
	s_mul_i32 s0, s13, s6
	s_mul_hi_u32 s1, s12, s6
	v_addc_co_u32_e32 v5, vcc, v5, v3, vcc
	s_add_i32 s1, s1, s0
	s_mul_i32 s0, s12, s6
	v_mad_i64_i32 v[2:3], s[12:13], s22, v0, 0
	s_lshl_b64 s[0:1], s[0:1], 2
	s_lshl_b64 s[12:13], s[20:21], 2
	s_add_u32 s2, s2, s12
	s_addc_u32 s3, s3, s13
	s_add_u32 s0, s2, s0
	v_lshlrev_b64 v[2:3], 2, v[2:3]
	s_addc_u32 s1, s3, s1
	v_mov_b32_e32 v7, s1
	v_add_co_u32_e32 v6, vcc, s0, v2
	s_mul_hi_i32 s1, s22, s15
	s_mul_i32 s0, s22, s15
	s_lshl_b64 s[12:13], s[0:1], 2
	v_or_b32_e32 v1, s15, v0
	v_addc_co_u32_e32 v7, vcc, v7, v3, vcc
	s_mov_b64 s[2:3], 0
	v_pk_mov_b32 v[2:3], 0, 0
	v_mov_b32_e32 v8, s5
	v_mov_b32_e32 v9, s13
	s_mov_b32 s5, s7
.LBB569_2:                              ; =>This Inner Loop Header: Depth=1
	global_load_dword v10, v[6:7], off
	global_load_dword v12, v[4:5], off
	v_add_co_u32_e64 v4, s[0:1], s4, v4
	v_addc_co_u32_e64 v5, s[0:1], v5, v8, s[0:1]
	s_add_i32 s13, s5, 1
	v_add_co_u32_e64 v6, s[0:1], s12, v6
	v_addc_co_u32_e64 v7, s[0:1], v7, v9, s[0:1]
	s_cmp_gt_u32 s5, 30
	v_cmp_le_i32_e32 vcc, s14, v1
	s_cselect_b64 s[0:1], -1, 0
	s_or_b64 s[0:1], s[0:1], vcc
	s_and_b64 s[0:1], exec, s[0:1]
	v_add_u32_e32 v1, s15, v1
	s_mov_b32 s5, s13
	s_or_b64 s[2:3], s[0:1], s[2:3]
	s_waitcnt vmcnt(1)
	v_cvt_f64_f32_e32 v[10:11], v10
	s_waitcnt vmcnt(0)
	v_cvt_f64_f32_e32 v[12:13], v12
	v_fmac_f64_e32 v[2:3], v[10:11], v[12:13]
	s_andn2_b64 exec, exec, s[2:3]
	s_cbranch_execnz .LBB569_2
; %bb.3:
	s_or_b64 exec, exec, s[2:3]
.LBB569_4:
	s_or_b64 exec, exec, s[10:11]
	v_and_b32_e32 v6, 63, v0
	v_cmp_gt_u32_e32 vcc, 64, v0
	v_lshlrev_b32_e32 v1, 3, v6
	s_and_saveexec_b64 s[0:1], vcc
	s_cbranch_execz .LBB569_6
; %bb.5:
	v_mov_b32_e32 v4, 0
	v_mov_b32_e32 v5, v4
	ds_write_b64 v1, v[4:5]
.LBB569_6:
	s_or_b64 exec, exec, s[0:1]
	v_mbcnt_lo_u32_b32 v4, -1, 0
	v_mbcnt_hi_u32_b32 v10, -1, v4
	v_and_b32_e32 v11, 63, v10
	v_cmp_gt_u32_e64 s[0:1], 32, v11
	v_cndmask_b32_e64 v4, 0, 1, s[0:1]
	v_lshlrev_b32_e32 v4, 5, v4
	v_add_lshl_u32 v5, v4, v10, 2
	ds_bpermute_b32 v4, v5, v2
	ds_bpermute_b32 v5, v5, v3
	v_cmp_gt_u32_e64 s[0:1], 48, v11
	v_cndmask_b32_e64 v7, 0, 1, s[0:1]
	v_cmp_gt_u32_e64 s[0:1], 56, v11
	s_waitcnt lgkmcnt(0)
	v_add_f64 v[2:3], v[2:3], v[4:5]
	v_lshlrev_b32_e32 v4, 4, v7
	v_add_lshl_u32 v5, v4, v10, 2
	ds_bpermute_b32 v4, v5, v2
	ds_bpermute_b32 v5, v5, v3
	s_barrier
	s_waitcnt lgkmcnt(0)
	v_add_f64 v[2:3], v[2:3], v[4:5]
	v_cndmask_b32_e64 v4, 0, 1, s[0:1]
	v_lshlrev_b32_e32 v4, 3, v4
	v_add_lshl_u32 v7, v4, v10, 2
	ds_bpermute_b32 v4, v7, v2
	ds_bpermute_b32 v5, v7, v3
	v_cmp_gt_u32_e64 s[0:1], 60, v11
	s_waitcnt lgkmcnt(0)
	v_add_f64 v[2:3], v[2:3], v[4:5]
	v_cndmask_b32_e64 v4, 0, 1, s[0:1]
	v_lshlrev_b32_e32 v4, 2, v4
	v_add_lshl_u32 v8, v4, v10, 2
	ds_bpermute_b32 v4, v8, v2
	ds_bpermute_b32 v5, v8, v3
	v_cmp_gt_u32_e64 s[0:1], 62, v11
	s_waitcnt lgkmcnt(0)
	v_add_f64 v[2:3], v[2:3], v[4:5]
	v_cndmask_b32_e64 v4, 0, 1, s[0:1]
	v_lshlrev_b32_e32 v4, 1, v4
	v_add_lshl_u32 v9, v4, v10, 2
	ds_bpermute_b32 v4, v9, v2
	ds_bpermute_b32 v5, v9, v3
	v_cmp_ne_u32_e64 s[0:1], 63, v11
	s_waitcnt lgkmcnt(0)
	v_add_f64 v[2:3], v[2:3], v[4:5]
	v_addc_co_u32_e64 v4, s[0:1], 0, v10, s[0:1]
	v_lshlrev_b32_e32 v10, 2, v4
	ds_bpermute_b32 v4, v10, v2
	ds_bpermute_b32 v5, v10, v3
	v_cmp_eq_u32_e64 s[0:1], 0, v6
	s_and_saveexec_b64 s[2:3], s[0:1]
	s_cbranch_execz .LBB569_8
; %bb.7:
	s_waitcnt lgkmcnt(0)
	v_add_f64 v[2:3], v[2:3], v[4:5]
	v_lshrrev_b32_e32 v4, 3, v0
	v_and_b32_e32 v4, 0x78, v4
	ds_write_b64 v4, v[2:3]
.LBB569_8:
	s_or_b64 exec, exec, s[2:3]
	v_cmp_gt_u32_e64 s[0:1], 16, v0
	v_pk_mov_b32 v[2:3], 0, 0
	s_waitcnt lgkmcnt(0)
	s_barrier
	s_and_saveexec_b64 s[2:3], s[0:1]
	s_cbranch_execnz .LBB569_12
; %bb.9:
	s_or_b64 exec, exec, s[2:3]
	s_and_saveexec_b64 s[0:1], vcc
	s_cbranch_execnz .LBB569_13
.LBB569_10:
	s_or_b64 exec, exec, s[0:1]
	v_cmp_eq_u32_e32 vcc, 0, v0
	s_and_saveexec_b64 s[0:1], vcc
	s_cbranch_execnz .LBB569_14
.LBB569_11:
	s_endpgm
.LBB569_12:
	ds_read_b64 v[2:3], v1
	s_or_b64 exec, exec, s[2:3]
	s_and_saveexec_b64 s[0:1], vcc
	s_cbranch_execz .LBB569_10
.LBB569_13:
	s_waitcnt lgkmcnt(0)
	ds_bpermute_b32 v4, v7, v2
	ds_bpermute_b32 v5, v7, v3
	s_waitcnt lgkmcnt(0)
	v_add_f64 v[2:3], v[2:3], v[4:5]
	ds_bpermute_b32 v4, v8, v2
	ds_bpermute_b32 v5, v8, v3
	s_waitcnt lgkmcnt(0)
	v_add_f64 v[2:3], v[2:3], v[4:5]
	;; [unrolled: 4-line block ×4, first 2 shown]
	s_or_b64 exec, exec, s[0:1]
	v_cmp_eq_u32_e32 vcc, 0, v0
	s_and_saveexec_b64 s[0:1], vcc
	s_cbranch_execz .LBB569_11
.LBB569_14:
	s_lshl_b64 s[0:1], s[6:7], 3
	s_add_u32 s0, s8, s0
	s_addc_u32 s1, s9, s1
	v_mov_b32_e32 v0, 0
	s_waitcnt lgkmcnt(0)
	global_store_dwordx2 v0, v[2:3], s[0:1]
	s_endpgm
	.section	.rodata,"a",@progbits
	.p2align	6, 0x0
	.amdhsa_kernel _ZL18rocblas_dot_kernelIiLb1ELi1024ELi32ELb1EdPKfdEviT5_lT_lS2_lS3_liPT6_PT4_
		.amdhsa_group_segment_fixed_size 512
		.amdhsa_private_segment_fixed_size 0
		.amdhsa_kernarg_size 352
		.amdhsa_user_sgpr_count 6
		.amdhsa_user_sgpr_private_segment_buffer 1
		.amdhsa_user_sgpr_dispatch_ptr 0
		.amdhsa_user_sgpr_queue_ptr 0
		.amdhsa_user_sgpr_kernarg_segment_ptr 1
		.amdhsa_user_sgpr_dispatch_id 0
		.amdhsa_user_sgpr_flat_scratch_init 0
		.amdhsa_user_sgpr_kernarg_preload_length 0
		.amdhsa_user_sgpr_kernarg_preload_offset 0
		.amdhsa_user_sgpr_private_segment_size 0
		.amdhsa_uses_dynamic_stack 0
		.amdhsa_system_sgpr_private_segment_wavefront_offset 0
		.amdhsa_system_sgpr_workgroup_id_x 1
		.amdhsa_system_sgpr_workgroup_id_y 0
		.amdhsa_system_sgpr_workgroup_id_z 1
		.amdhsa_system_sgpr_workgroup_info 0
		.amdhsa_system_vgpr_workitem_id 0
		.amdhsa_next_free_vgpr 14
		.amdhsa_next_free_sgpr 24
		.amdhsa_accum_offset 16
		.amdhsa_reserve_vcc 1
		.amdhsa_reserve_flat_scratch 0
		.amdhsa_float_round_mode_32 0
		.amdhsa_float_round_mode_16_64 0
		.amdhsa_float_denorm_mode_32 3
		.amdhsa_float_denorm_mode_16_64 3
		.amdhsa_dx10_clamp 1
		.amdhsa_ieee_mode 1
		.amdhsa_fp16_overflow 0
		.amdhsa_tg_split 0
		.amdhsa_exception_fp_ieee_invalid_op 0
		.amdhsa_exception_fp_denorm_src 0
		.amdhsa_exception_fp_ieee_div_zero 0
		.amdhsa_exception_fp_ieee_overflow 0
		.amdhsa_exception_fp_ieee_underflow 0
		.amdhsa_exception_fp_ieee_inexact 0
		.amdhsa_exception_int_div_zero 0
	.end_amdhsa_kernel
	.section	.text._ZL18rocblas_dot_kernelIiLb1ELi1024ELi32ELb1EdPKfdEviT5_lT_lS2_lS3_liPT6_PT4_,"axG",@progbits,_ZL18rocblas_dot_kernelIiLb1ELi1024ELi32ELb1EdPKfdEviT5_lT_lS2_lS3_liPT6_PT4_,comdat
.Lfunc_end569:
	.size	_ZL18rocblas_dot_kernelIiLb1ELi1024ELi32ELb1EdPKfdEviT5_lT_lS2_lS3_liPT6_PT4_, .Lfunc_end569-_ZL18rocblas_dot_kernelIiLb1ELi1024ELi32ELb1EdPKfdEviT5_lT_lS2_lS3_liPT6_PT4_
                                        ; -- End function
	.section	.AMDGPU.csdata,"",@progbits
; Kernel info:
; codeLenInByte = 1100
; NumSgprs: 28
; NumVgprs: 14
; NumAgprs: 0
; TotalNumVgprs: 14
; ScratchSize: 0
; MemoryBound: 0
; FloatMode: 240
; IeeeMode: 1
; LDSByteSize: 512 bytes/workgroup (compile time only)
; SGPRBlocks: 3
; VGPRBlocks: 1
; NumSGPRsForWavesPerEU: 28
; NumVGPRsForWavesPerEU: 14
; AccumOffset: 16
; Occupancy: 8
; WaveLimiterHint : 0
; COMPUTE_PGM_RSRC2:SCRATCH_EN: 0
; COMPUTE_PGM_RSRC2:USER_SGPR: 6
; COMPUTE_PGM_RSRC2:TRAP_HANDLER: 0
; COMPUTE_PGM_RSRC2:TGID_X_EN: 1
; COMPUTE_PGM_RSRC2:TGID_Y_EN: 0
; COMPUTE_PGM_RSRC2:TGID_Z_EN: 1
; COMPUTE_PGM_RSRC2:TIDIG_COMP_CNT: 0
; COMPUTE_PGM_RSRC3_GFX90A:ACCUM_OFFSET: 3
; COMPUTE_PGM_RSRC3_GFX90A:TG_SPLIT: 0
	.section	.text._ZL24rocblas_dot_kernel_magsqIiLb1ELi1024ELi32ELb1EdPKfdEviT5_lT_liPT6_PT4_,"axG",@progbits,_ZL24rocblas_dot_kernel_magsqIiLb1ELi1024ELi32ELb1EdPKfdEviT5_lT_liPT6_PT4_,comdat
	.globl	_ZL24rocblas_dot_kernel_magsqIiLb1ELi1024ELi32ELb1EdPKfdEviT5_lT_liPT6_PT4_ ; -- Begin function _ZL24rocblas_dot_kernel_magsqIiLb1ELi1024ELi32ELb1EdPKfdEviT5_lT_liPT6_PT4_
	.p2align	8
	.type	_ZL24rocblas_dot_kernel_magsqIiLb1ELi1024ELi32ELb1EdPKfdEviT5_lT_liPT6_PT4_,@function
_ZL24rocblas_dot_kernel_magsqIiLb1ELi1024ELi32ELb1EdPKfdEviT5_lT_liPT6_PT4_: ; @_ZL24rocblas_dot_kernel_magsqIiLb1ELi1024ELi32ELb1EdPKfdEviT5_lT_liPT6_PT4_
; %bb.0:
	s_mov_b32 s2, s7
	s_load_dword s12, s[4:5], 0x0
	s_load_dwordx2 s[6:7], s[4:5], 0x38
	s_mov_b32 s3, 0
	v_pk_mov_b32 v[2:3], 0, 0
	s_waitcnt lgkmcnt(0)
	v_cmp_gt_i32_e32 vcc, s12, v0
	s_and_saveexec_b64 s[8:9], vcc
	s_cbranch_execz .LBB570_4
; %bb.1:
	s_load_dword s10, s[4:5], 0x40
	s_load_dwordx2 s[0:1], s[4:5], 0x20
	s_load_dwordx4 s[16:19], s[4:5], 0x8
	s_load_dword s11, s[4:5], 0x18
	s_waitcnt lgkmcnt(0)
	s_lshl_b32 s13, s10, 10
	s_mul_i32 s1, s1, s2
	s_mul_hi_u32 s4, s0, s2
	s_add_i32 s1, s4, s1
	s_mul_i32 s0, s0, s2
	v_mad_i64_i32 v[2:3], s[4:5], s11, v0, 0
	s_lshl_b64 s[0:1], s[0:1], 2
	s_lshl_b64 s[4:5], s[18:19], 2
	s_add_u32 s4, s16, s4
	s_addc_u32 s5, s17, s5
	s_add_u32 s0, s4, s0
	v_lshlrev_b64 v[2:3], 2, v[2:3]
	s_addc_u32 s1, s5, s1
	v_mov_b32_e32 v5, s1
	v_add_co_u32_e32 v4, vcc, s0, v2
	s_mul_hi_i32 s1, s11, s13
	s_mul_i32 s0, s11, s13
	s_lshl_b64 s[10:11], s[0:1], 2
	v_or_b32_e32 v1, s13, v0
	v_addc_co_u32_e32 v5, vcc, v5, v3, vcc
	s_mov_b64 s[4:5], 0
	v_pk_mov_b32 v[2:3], 0, 0
	v_mov_b32_e32 v6, s11
	s_mov_b32 s11, s3
.LBB570_2:                              ; =>This Inner Loop Header: Depth=1
	global_load_dword v7, v[4:5], off
	s_add_i32 s14, s11, 1
	v_add_co_u32_e64 v4, s[0:1], s10, v4
	v_addc_co_u32_e64 v5, s[0:1], v5, v6, s[0:1]
	s_cmp_gt_u32 s11, 30
	v_cmp_le_i32_e32 vcc, s12, v1
	s_cselect_b64 s[0:1], -1, 0
	s_or_b64 s[0:1], s[0:1], vcc
	s_and_b64 s[0:1], exec, s[0:1]
	v_add_u32_e32 v1, s13, v1
	s_mov_b32 s11, s14
	s_or_b64 s[4:5], s[0:1], s[4:5]
	s_waitcnt vmcnt(0)
	v_cvt_f64_f32_e32 v[8:9], v7
	v_fmac_f64_e32 v[2:3], v[8:9], v[8:9]
	s_andn2_b64 exec, exec, s[4:5]
	s_cbranch_execnz .LBB570_2
; %bb.3:
	s_or_b64 exec, exec, s[4:5]
.LBB570_4:
	s_or_b64 exec, exec, s[8:9]
	v_and_b32_e32 v6, 63, v0
	v_cmp_gt_u32_e32 vcc, 64, v0
	v_lshlrev_b32_e32 v1, 3, v6
	s_and_saveexec_b64 s[0:1], vcc
	s_cbranch_execz .LBB570_6
; %bb.5:
	v_mov_b32_e32 v4, 0
	v_mov_b32_e32 v5, v4
	ds_write_b64 v1, v[4:5]
.LBB570_6:
	s_or_b64 exec, exec, s[0:1]
	v_mbcnt_lo_u32_b32 v4, -1, 0
	v_mbcnt_hi_u32_b32 v10, -1, v4
	v_and_b32_e32 v11, 63, v10
	v_cmp_gt_u32_e64 s[0:1], 32, v11
	v_cndmask_b32_e64 v4, 0, 1, s[0:1]
	v_lshlrev_b32_e32 v4, 5, v4
	v_add_lshl_u32 v5, v4, v10, 2
	ds_bpermute_b32 v4, v5, v2
	ds_bpermute_b32 v5, v5, v3
	v_cmp_gt_u32_e64 s[0:1], 48, v11
	v_cndmask_b32_e64 v7, 0, 1, s[0:1]
	v_cmp_gt_u32_e64 s[0:1], 56, v11
	s_waitcnt lgkmcnt(0)
	v_add_f64 v[2:3], v[2:3], v[4:5]
	v_lshlrev_b32_e32 v4, 4, v7
	v_add_lshl_u32 v5, v4, v10, 2
	ds_bpermute_b32 v4, v5, v2
	ds_bpermute_b32 v5, v5, v3
	s_barrier
	s_waitcnt lgkmcnt(0)
	v_add_f64 v[2:3], v[2:3], v[4:5]
	v_cndmask_b32_e64 v4, 0, 1, s[0:1]
	v_lshlrev_b32_e32 v4, 3, v4
	v_add_lshl_u32 v7, v4, v10, 2
	ds_bpermute_b32 v4, v7, v2
	ds_bpermute_b32 v5, v7, v3
	v_cmp_gt_u32_e64 s[0:1], 60, v11
	s_waitcnt lgkmcnt(0)
	v_add_f64 v[2:3], v[2:3], v[4:5]
	v_cndmask_b32_e64 v4, 0, 1, s[0:1]
	v_lshlrev_b32_e32 v4, 2, v4
	v_add_lshl_u32 v8, v4, v10, 2
	ds_bpermute_b32 v4, v8, v2
	ds_bpermute_b32 v5, v8, v3
	v_cmp_gt_u32_e64 s[0:1], 62, v11
	s_waitcnt lgkmcnt(0)
	v_add_f64 v[2:3], v[2:3], v[4:5]
	v_cndmask_b32_e64 v4, 0, 1, s[0:1]
	v_lshlrev_b32_e32 v4, 1, v4
	v_add_lshl_u32 v9, v4, v10, 2
	ds_bpermute_b32 v4, v9, v2
	ds_bpermute_b32 v5, v9, v3
	v_cmp_ne_u32_e64 s[0:1], 63, v11
	s_waitcnt lgkmcnt(0)
	v_add_f64 v[2:3], v[2:3], v[4:5]
	v_addc_co_u32_e64 v4, s[0:1], 0, v10, s[0:1]
	v_lshlrev_b32_e32 v10, 2, v4
	ds_bpermute_b32 v4, v10, v2
	ds_bpermute_b32 v5, v10, v3
	v_cmp_eq_u32_e64 s[0:1], 0, v6
	s_and_saveexec_b64 s[4:5], s[0:1]
	s_cbranch_execz .LBB570_8
; %bb.7:
	s_waitcnt lgkmcnt(0)
	v_add_f64 v[2:3], v[2:3], v[4:5]
	v_lshrrev_b32_e32 v4, 3, v0
	v_and_b32_e32 v4, 0x78, v4
	ds_write_b64 v4, v[2:3]
.LBB570_8:
	s_or_b64 exec, exec, s[4:5]
	v_cmp_gt_u32_e64 s[0:1], 16, v0
	v_pk_mov_b32 v[2:3], 0, 0
	s_waitcnt lgkmcnt(0)
	s_barrier
	s_and_saveexec_b64 s[4:5], s[0:1]
	s_cbranch_execnz .LBB570_12
; %bb.9:
	s_or_b64 exec, exec, s[4:5]
	s_and_saveexec_b64 s[0:1], vcc
	s_cbranch_execnz .LBB570_13
.LBB570_10:
	s_or_b64 exec, exec, s[0:1]
	v_cmp_eq_u32_e32 vcc, 0, v0
	s_and_saveexec_b64 s[0:1], vcc
	s_cbranch_execnz .LBB570_14
.LBB570_11:
	s_endpgm
.LBB570_12:
	ds_read_b64 v[2:3], v1
	s_or_b64 exec, exec, s[4:5]
	s_and_saveexec_b64 s[0:1], vcc
	s_cbranch_execz .LBB570_10
.LBB570_13:
	s_waitcnt lgkmcnt(0)
	ds_bpermute_b32 v4, v7, v2
	ds_bpermute_b32 v5, v7, v3
	s_waitcnt lgkmcnt(0)
	v_add_f64 v[2:3], v[2:3], v[4:5]
	ds_bpermute_b32 v4, v8, v2
	ds_bpermute_b32 v5, v8, v3
	s_waitcnt lgkmcnt(0)
	v_add_f64 v[2:3], v[2:3], v[4:5]
	;; [unrolled: 4-line block ×4, first 2 shown]
	s_or_b64 exec, exec, s[0:1]
	v_cmp_eq_u32_e32 vcc, 0, v0
	s_and_saveexec_b64 s[0:1], vcc
	s_cbranch_execz .LBB570_11
.LBB570_14:
	s_lshl_b64 s[0:1], s[2:3], 3
	s_add_u32 s0, s6, s0
	s_addc_u32 s1, s7, s1
	v_mov_b32_e32 v0, 0
	s_waitcnt lgkmcnt(0)
	global_store_dwordx2 v0, v[2:3], s[0:1]
	s_endpgm
	.section	.rodata,"a",@progbits
	.p2align	6, 0x0
	.amdhsa_kernel _ZL24rocblas_dot_kernel_magsqIiLb1ELi1024ELi32ELb1EdPKfdEviT5_lT_liPT6_PT4_
		.amdhsa_group_segment_fixed_size 512
		.amdhsa_private_segment_fixed_size 0
		.amdhsa_kernarg_size 320
		.amdhsa_user_sgpr_count 6
		.amdhsa_user_sgpr_private_segment_buffer 1
		.amdhsa_user_sgpr_dispatch_ptr 0
		.amdhsa_user_sgpr_queue_ptr 0
		.amdhsa_user_sgpr_kernarg_segment_ptr 1
		.amdhsa_user_sgpr_dispatch_id 0
		.amdhsa_user_sgpr_flat_scratch_init 0
		.amdhsa_user_sgpr_kernarg_preload_length 0
		.amdhsa_user_sgpr_kernarg_preload_offset 0
		.amdhsa_user_sgpr_private_segment_size 0
		.amdhsa_uses_dynamic_stack 0
		.amdhsa_system_sgpr_private_segment_wavefront_offset 0
		.amdhsa_system_sgpr_workgroup_id_x 1
		.amdhsa_system_sgpr_workgroup_id_y 0
		.amdhsa_system_sgpr_workgroup_id_z 1
		.amdhsa_system_sgpr_workgroup_info 0
		.amdhsa_system_vgpr_workitem_id 0
		.amdhsa_next_free_vgpr 12
		.amdhsa_next_free_sgpr 20
		.amdhsa_accum_offset 12
		.amdhsa_reserve_vcc 1
		.amdhsa_reserve_flat_scratch 0
		.amdhsa_float_round_mode_32 0
		.amdhsa_float_round_mode_16_64 0
		.amdhsa_float_denorm_mode_32 3
		.amdhsa_float_denorm_mode_16_64 3
		.amdhsa_dx10_clamp 1
		.amdhsa_ieee_mode 1
		.amdhsa_fp16_overflow 0
		.amdhsa_tg_split 0
		.amdhsa_exception_fp_ieee_invalid_op 0
		.amdhsa_exception_fp_denorm_src 0
		.amdhsa_exception_fp_ieee_div_zero 0
		.amdhsa_exception_fp_ieee_overflow 0
		.amdhsa_exception_fp_ieee_underflow 0
		.amdhsa_exception_fp_ieee_inexact 0
		.amdhsa_exception_int_div_zero 0
	.end_amdhsa_kernel
	.section	.text._ZL24rocblas_dot_kernel_magsqIiLb1ELi1024ELi32ELb1EdPKfdEviT5_lT_liPT6_PT4_,"axG",@progbits,_ZL24rocblas_dot_kernel_magsqIiLb1ELi1024ELi32ELb1EdPKfdEviT5_lT_liPT6_PT4_,comdat
.Lfunc_end570:
	.size	_ZL24rocblas_dot_kernel_magsqIiLb1ELi1024ELi32ELb1EdPKfdEviT5_lT_liPT6_PT4_, .Lfunc_end570-_ZL24rocblas_dot_kernel_magsqIiLb1ELi1024ELi32ELb1EdPKfdEviT5_lT_liPT6_PT4_
                                        ; -- End function
	.section	.AMDGPU.csdata,"",@progbits
; Kernel info:
; codeLenInByte = 960
; NumSgprs: 24
; NumVgprs: 12
; NumAgprs: 0
; TotalNumVgprs: 12
; ScratchSize: 0
; MemoryBound: 0
; FloatMode: 240
; IeeeMode: 1
; LDSByteSize: 512 bytes/workgroup (compile time only)
; SGPRBlocks: 2
; VGPRBlocks: 1
; NumSGPRsForWavesPerEU: 24
; NumVGPRsForWavesPerEU: 12
; AccumOffset: 12
; Occupancy: 8
; WaveLimiterHint : 0
; COMPUTE_PGM_RSRC2:SCRATCH_EN: 0
; COMPUTE_PGM_RSRC2:USER_SGPR: 6
; COMPUTE_PGM_RSRC2:TRAP_HANDLER: 0
; COMPUTE_PGM_RSRC2:TGID_X_EN: 1
; COMPUTE_PGM_RSRC2:TGID_Y_EN: 0
; COMPUTE_PGM_RSRC2:TGID_Z_EN: 1
; COMPUTE_PGM_RSRC2:TIDIG_COMP_CNT: 0
; COMPUTE_PGM_RSRC3_GFX90A:ACCUM_OFFSET: 2
; COMPUTE_PGM_RSRC3_GFX90A:TG_SPLIT: 0
	.section	.text._ZL23rocblas_dot_kernel_inc1ILb0ELi512ELi2ELb1EdPKfdEviT4_llS2_lliPT5_PT3_,"axG",@progbits,_ZL23rocblas_dot_kernel_inc1ILb0ELi512ELi2ELb1EdPKfdEviT4_llS2_lliPT5_PT3_,comdat
	.globl	_ZL23rocblas_dot_kernel_inc1ILb0ELi512ELi2ELb1EdPKfdEviT4_llS2_lliPT5_PT3_ ; -- Begin function _ZL23rocblas_dot_kernel_inc1ILb0ELi512ELi2ELb1EdPKfdEviT4_llS2_lliPT5_PT3_
	.p2align	8
	.type	_ZL23rocblas_dot_kernel_inc1ILb0ELi512ELi2ELb1EdPKfdEviT4_llS2_lliPT5_PT3_,@function
_ZL23rocblas_dot_kernel_inc1ILb0ELi512ELi2ELb1EdPKfdEviT4_llS2_lliPT5_PT3_: ; @_ZL23rocblas_dot_kernel_inc1ILb0ELi512ELi2ELb1EdPKfdEviT4_llS2_lliPT5_PT3_
; %bb.0:
	s_mov_b32 s2, s7
	s_load_dword s7, s[4:5], 0x0
	s_load_dword s10, s[4:5], 0x50
	v_lshl_or_b32 v4, s6, 9, v0
	s_mov_b32 s3, 0
	v_pk_mov_b32 v[2:3], 0, 0
	s_waitcnt lgkmcnt(0)
	v_cmp_gt_i32_e32 vcc, s7, v4
	s_and_saveexec_b64 s[0:1], vcc
	s_cbranch_execz .LBB571_4
; %bb.1:
	s_load_dwordx4 s[12:15], s[4:5], 0x10
	s_load_dwordx2 s[8:9], s[4:5], 0x8
	s_load_dwordx2 s[20:21], s[4:5], 0x20
	s_load_dwordx4 s[16:19], s[4:5], 0x28
	v_ashrrev_i32_e32 v5, 31, v4
	s_waitcnt lgkmcnt(0)
	s_mul_i32 s11, s2, s15
	s_mul_hi_u32 s15, s2, s14
	s_add_i32 s15, s15, s11
	s_mul_i32 s14, s2, s14
	s_lshl_b64 s[14:15], s[14:15], 2
	s_add_u32 s11, s8, s14
	s_addc_u32 s14, s9, s15
	s_lshl_b64 s[8:9], s[12:13], 2
	s_add_u32 s11, s11, s8
	s_addc_u32 s12, s14, s9
	s_mul_i32 s8, s2, s19
	s_mul_hi_u32 s9, s2, s18
	s_add_i32 s9, s9, s8
	s_mul_i32 s8, s2, s18
	s_lshl_b64 s[8:9], s[8:9], 2
	s_add_u32 s13, s20, s8
	s_addc_u32 s14, s21, s9
	s_lshl_b64 s[8:9], s[16:17], 2
	s_add_u32 s13, s13, s8
	s_addc_u32 s14, s14, s9
	v_lshlrev_b64 v[2:3], 2, v[4:5]
	v_mov_b32_e32 v1, s14
	v_add_co_u32_e32 v4, vcc, s13, v2
	v_addc_co_u32_e32 v5, vcc, v1, v3, vcc
	v_mov_b32_e32 v1, s12
	v_add_co_u32_e32 v2, vcc, s11, v2
	v_addc_co_u32_e32 v3, vcc, v1, v3, vcc
	global_load_dword v1, v[2:3], off
	global_load_dword v6, v[4:5], off
	s_add_i32 s8, s6, s10
	v_lshl_or_b32 v4, s8, 9, v0
	v_cmp_gt_i32_e32 vcc, s7, v4
	s_waitcnt vmcnt(1)
	v_cvt_f64_f32_e32 v[2:3], v1
	s_waitcnt vmcnt(0)
	v_cvt_f64_f32_e32 v[6:7], v6
	v_fma_f64 v[2:3], v[6:7], v[2:3], 0
	s_and_saveexec_b64 s[8:9], vcc
	s_cbranch_execz .LBB571_3
; %bb.2:
	v_ashrrev_i32_e32 v5, 31, v4
	v_lshlrev_b64 v[4:5], 2, v[4:5]
	v_mov_b32_e32 v1, s14
	v_add_co_u32_e32 v6, vcc, s13, v4
	v_addc_co_u32_e32 v7, vcc, v1, v5, vcc
	global_load_dword v1, v[6:7], off
	v_mov_b32_e32 v6, s12
	v_add_co_u32_e32 v4, vcc, s11, v4
	v_addc_co_u32_e32 v5, vcc, v6, v5, vcc
	global_load_dword v6, v[4:5], off
	s_waitcnt vmcnt(1)
	v_cvt_f64_f32_e32 v[4:5], v1
	s_waitcnt vmcnt(0)
	v_cvt_f64_f32_e32 v[6:7], v6
	v_fmac_f64_e32 v[2:3], v[4:5], v[6:7]
.LBB571_3:
	s_or_b64 exec, exec, s[8:9]
.LBB571_4:
	s_or_b64 exec, exec, s[0:1]
	v_and_b32_e32 v6, 63, v0
	v_cmp_gt_u32_e32 vcc, 64, v0
	v_lshlrev_b32_e32 v1, 3, v6
	s_and_saveexec_b64 s[0:1], vcc
	s_cbranch_execz .LBB571_6
; %bb.5:
	v_mov_b32_e32 v4, 0
	v_mov_b32_e32 v5, v4
	ds_write_b64 v1, v[4:5]
.LBB571_6:
	s_or_b64 exec, exec, s[0:1]
	v_mbcnt_lo_u32_b32 v4, -1, 0
	v_mbcnt_hi_u32_b32 v9, -1, v4
	v_and_b32_e32 v10, 63, v9
	v_cmp_gt_u32_e64 s[0:1], 32, v10
	v_cndmask_b32_e64 v4, 0, 1, s[0:1]
	v_lshlrev_b32_e32 v4, 5, v4
	v_add_lshl_u32 v5, v4, v9, 2
	ds_bpermute_b32 v4, v5, v2
	ds_bpermute_b32 v5, v5, v3
	v_cmp_gt_u32_e64 s[0:1], 48, v10
	v_cndmask_b32_e64 v7, 0, 1, s[0:1]
	v_cmp_gt_u32_e64 s[0:1], 56, v10
	s_waitcnt lgkmcnt(0)
	v_add_f64 v[2:3], v[2:3], v[4:5]
	v_lshlrev_b32_e32 v4, 4, v7
	v_add_lshl_u32 v5, v4, v9, 2
	ds_bpermute_b32 v4, v5, v2
	ds_bpermute_b32 v5, v5, v3
	s_barrier
	s_waitcnt lgkmcnt(0)
	v_add_f64 v[2:3], v[2:3], v[4:5]
	v_cndmask_b32_e64 v4, 0, 1, s[0:1]
	v_lshlrev_b32_e32 v4, 3, v4
	v_add_lshl_u32 v5, v4, v9, 2
	ds_bpermute_b32 v4, v5, v2
	ds_bpermute_b32 v5, v5, v3
	v_cmp_gt_u32_e64 s[0:1], 60, v10
	s_waitcnt lgkmcnt(0)
	v_add_f64 v[2:3], v[2:3], v[4:5]
	v_cndmask_b32_e64 v4, 0, 1, s[0:1]
	v_lshlrev_b32_e32 v4, 2, v4
	v_add_lshl_u32 v7, v4, v9, 2
	ds_bpermute_b32 v4, v7, v2
	ds_bpermute_b32 v5, v7, v3
	v_cmp_gt_u32_e64 s[0:1], 62, v10
	s_waitcnt lgkmcnt(0)
	v_add_f64 v[2:3], v[2:3], v[4:5]
	v_cndmask_b32_e64 v4, 0, 1, s[0:1]
	v_lshlrev_b32_e32 v4, 1, v4
	v_add_lshl_u32 v8, v4, v9, 2
	ds_bpermute_b32 v4, v8, v2
	ds_bpermute_b32 v5, v8, v3
	v_cmp_ne_u32_e64 s[0:1], 63, v10
	s_waitcnt lgkmcnt(0)
	v_add_f64 v[2:3], v[2:3], v[4:5]
	v_addc_co_u32_e64 v4, s[0:1], 0, v9, s[0:1]
	v_lshlrev_b32_e32 v9, 2, v4
	ds_bpermute_b32 v4, v9, v2
	ds_bpermute_b32 v5, v9, v3
	v_cmp_eq_u32_e64 s[0:1], 0, v6
	s_and_saveexec_b64 s[8:9], s[0:1]
	s_cbranch_execz .LBB571_8
; %bb.7:
	s_waitcnt lgkmcnt(0)
	v_add_f64 v[2:3], v[2:3], v[4:5]
	v_lshrrev_b32_e32 v4, 3, v0
	v_and_b32_e32 v4, 56, v4
	ds_write_b64 v4, v[2:3]
.LBB571_8:
	s_or_b64 exec, exec, s[8:9]
	v_cmp_gt_u32_e64 s[0:1], 8, v0
	v_pk_mov_b32 v[2:3], 0, 0
	s_waitcnt lgkmcnt(0)
	s_barrier
	s_and_saveexec_b64 s[8:9], s[0:1]
	s_cbranch_execnz .LBB571_12
; %bb.9:
	s_or_b64 exec, exec, s[8:9]
	s_and_saveexec_b64 s[0:1], vcc
	s_cbranch_execnz .LBB571_13
.LBB571_10:
	s_or_b64 exec, exec, s[0:1]
	v_cmp_eq_u32_e32 vcc, 0, v0
	s_and_saveexec_b64 s[0:1], vcc
	s_cbranch_execnz .LBB571_14
.LBB571_11:
	s_endpgm
.LBB571_12:
	ds_read_b64 v[2:3], v1
	s_or_b64 exec, exec, s[8:9]
	s_and_saveexec_b64 s[0:1], vcc
	s_cbranch_execz .LBB571_10
.LBB571_13:
	s_waitcnt lgkmcnt(0)
	ds_bpermute_b32 v4, v7, v2
	ds_bpermute_b32 v5, v7, v3
	s_waitcnt lgkmcnt(0)
	v_add_f64 v[2:3], v[2:3], v[4:5]
	ds_bpermute_b32 v4, v8, v2
	ds_bpermute_b32 v5, v8, v3
	s_waitcnt lgkmcnt(0)
	v_add_f64 v[2:3], v[2:3], v[4:5]
	;; [unrolled: 4-line block ×3, first 2 shown]
	s_or_b64 exec, exec, s[0:1]
	v_cmp_eq_u32_e32 vcc, 0, v0
	s_and_saveexec_b64 s[0:1], vcc
	s_cbranch_execz .LBB571_11
.LBB571_14:
	s_cmp_lg_u32 s10, 1
	s_cbranch_scc0 .LBB571_16
; %bb.15:
	s_load_dwordx2 s[0:1], s[4:5], 0x40
	s_mul_hi_u32 s9, s10, s2
	s_mul_i32 s8, s10, s2
	s_lshl_b64 s[8:9], s[8:9], 3
	s_mov_b32 s7, 0
	s_waitcnt lgkmcnt(0)
	s_add_u32 s8, s0, s8
	s_addc_u32 s9, s1, s9
	s_lshl_b64 s[0:1], s[6:7], 3
	s_add_u32 s0, s8, s0
	s_addc_u32 s1, s9, s1
	s_cbranch_execz .LBB571_17
	s_branch .LBB571_18
.LBB571_16:
                                        ; implicit-def: $sgpr0_sgpr1
.LBB571_17:
	s_load_dwordx2 s[0:1], s[4:5], 0x48
	s_lshl_b64 s[2:3], s[2:3], 3
	s_waitcnt lgkmcnt(0)
	s_add_u32 s0, s0, s2
	s_addc_u32 s1, s1, s3
.LBB571_18:
	v_mov_b32_e32 v0, 0
	s_waitcnt lgkmcnt(0)
	global_store_dwordx2 v0, v[2:3], s[0:1]
	s_endpgm
	.section	.rodata,"a",@progbits
	.p2align	6, 0x0
	.amdhsa_kernel _ZL23rocblas_dot_kernel_inc1ILb0ELi512ELi2ELb1EdPKfdEviT4_llS2_lliPT5_PT3_
		.amdhsa_group_segment_fixed_size 512
		.amdhsa_private_segment_fixed_size 0
		.amdhsa_kernarg_size 336
		.amdhsa_user_sgpr_count 6
		.amdhsa_user_sgpr_private_segment_buffer 1
		.amdhsa_user_sgpr_dispatch_ptr 0
		.amdhsa_user_sgpr_queue_ptr 0
		.amdhsa_user_sgpr_kernarg_segment_ptr 1
		.amdhsa_user_sgpr_dispatch_id 0
		.amdhsa_user_sgpr_flat_scratch_init 0
		.amdhsa_user_sgpr_kernarg_preload_length 0
		.amdhsa_user_sgpr_kernarg_preload_offset 0
		.amdhsa_user_sgpr_private_segment_size 0
		.amdhsa_uses_dynamic_stack 0
		.amdhsa_system_sgpr_private_segment_wavefront_offset 0
		.amdhsa_system_sgpr_workgroup_id_x 1
		.amdhsa_system_sgpr_workgroup_id_y 0
		.amdhsa_system_sgpr_workgroup_id_z 1
		.amdhsa_system_sgpr_workgroup_info 0
		.amdhsa_system_vgpr_workitem_id 0
		.amdhsa_next_free_vgpr 11
		.amdhsa_next_free_sgpr 22
		.amdhsa_accum_offset 12
		.amdhsa_reserve_vcc 1
		.amdhsa_reserve_flat_scratch 0
		.amdhsa_float_round_mode_32 0
		.amdhsa_float_round_mode_16_64 0
		.amdhsa_float_denorm_mode_32 3
		.amdhsa_float_denorm_mode_16_64 3
		.amdhsa_dx10_clamp 1
		.amdhsa_ieee_mode 1
		.amdhsa_fp16_overflow 0
		.amdhsa_tg_split 0
		.amdhsa_exception_fp_ieee_invalid_op 0
		.amdhsa_exception_fp_denorm_src 0
		.amdhsa_exception_fp_ieee_div_zero 0
		.amdhsa_exception_fp_ieee_overflow 0
		.amdhsa_exception_fp_ieee_underflow 0
		.amdhsa_exception_fp_ieee_inexact 0
		.amdhsa_exception_int_div_zero 0
	.end_amdhsa_kernel
	.section	.text._ZL23rocblas_dot_kernel_inc1ILb0ELi512ELi2ELb1EdPKfdEviT4_llS2_lliPT5_PT3_,"axG",@progbits,_ZL23rocblas_dot_kernel_inc1ILb0ELi512ELi2ELb1EdPKfdEviT4_llS2_lliPT5_PT3_,comdat
.Lfunc_end571:
	.size	_ZL23rocblas_dot_kernel_inc1ILb0ELi512ELi2ELb1EdPKfdEviT4_llS2_lliPT5_PT3_, .Lfunc_end571-_ZL23rocblas_dot_kernel_inc1ILb0ELi512ELi2ELb1EdPKfdEviT4_llS2_lliPT5_PT3_
                                        ; -- End function
	.section	.AMDGPU.csdata,"",@progbits
; Kernel info:
; codeLenInByte = 1076
; NumSgprs: 26
; NumVgprs: 11
; NumAgprs: 0
; TotalNumVgprs: 11
; ScratchSize: 0
; MemoryBound: 0
; FloatMode: 240
; IeeeMode: 1
; LDSByteSize: 512 bytes/workgroup (compile time only)
; SGPRBlocks: 3
; VGPRBlocks: 1
; NumSGPRsForWavesPerEU: 26
; NumVGPRsForWavesPerEU: 11
; AccumOffset: 12
; Occupancy: 8
; WaveLimiterHint : 0
; COMPUTE_PGM_RSRC2:SCRATCH_EN: 0
; COMPUTE_PGM_RSRC2:USER_SGPR: 6
; COMPUTE_PGM_RSRC2:TRAP_HANDLER: 0
; COMPUTE_PGM_RSRC2:TGID_X_EN: 1
; COMPUTE_PGM_RSRC2:TGID_Y_EN: 0
; COMPUTE_PGM_RSRC2:TGID_Z_EN: 1
; COMPUTE_PGM_RSRC2:TIDIG_COMP_CNT: 0
; COMPUTE_PGM_RSRC3_GFX90A:ACCUM_OFFSET: 2
; COMPUTE_PGM_RSRC3_GFX90A:TG_SPLIT: 0
	.section	.text._ZL18rocblas_dot_kernelIiLb0ELi512ELi2ELb1EdPKfdEviT5_lT_lS2_lS3_liPT6_PT4_,"axG",@progbits,_ZL18rocblas_dot_kernelIiLb0ELi512ELi2ELb1EdPKfdEviT5_lT_lS2_lS3_liPT6_PT4_,comdat
	.globl	_ZL18rocblas_dot_kernelIiLb0ELi512ELi2ELb1EdPKfdEviT5_lT_lS2_lS3_liPT6_PT4_ ; -- Begin function _ZL18rocblas_dot_kernelIiLb0ELi512ELi2ELb1EdPKfdEviT5_lT_lS2_lS3_liPT6_PT4_
	.p2align	8
	.type	_ZL18rocblas_dot_kernelIiLb0ELi512ELi2ELb1EdPKfdEviT5_lT_lS2_lS3_liPT6_PT4_,@function
_ZL18rocblas_dot_kernelIiLb0ELi512ELi2ELb1EdPKfdEviT5_lT_lS2_lS3_liPT6_PT4_: ; @_ZL18rocblas_dot_kernelIiLb0ELi512ELi2ELb1EdPKfdEviT5_lT_lS2_lS3_liPT6_PT4_
; %bb.0:
	s_mov_b32 s2, s7
	s_load_dword s7, s[4:5], 0x0
	s_load_dword s10, s[4:5], 0x60
	v_lshl_or_b32 v1, s6, 9, v0
	s_mov_b32 s3, 0
	v_pk_mov_b32 v[2:3], 0, 0
	s_waitcnt lgkmcnt(0)
	v_cmp_gt_i32_e32 vcc, s7, v1
	s_and_saveexec_b64 s[0:1], vcc
	s_cbranch_execz .LBB572_4
; %bb.1:
	s_load_dwordx4 s[16:19], s[4:5], 0x20
	s_load_dwordx4 s[20:23], s[4:5], 0x8
	s_load_dword s11, s[4:5], 0x18
	s_load_dwordx2 s[8:9], s[4:5], 0x30
	s_load_dword s14, s[4:5], 0x38
	s_load_dwordx2 s[24:25], s[4:5], 0x40
	s_waitcnt lgkmcnt(0)
	s_mul_i32 s12, s2, s17
	s_mul_hi_u32 s13, s2, s16
	s_add_i32 s13, s13, s12
	s_mul_i32 s12, s2, s16
	s_lshl_b64 s[12:13], s[12:13], 2
	s_add_u32 s15, s20, s12
	s_addc_u32 s16, s21, s13
	s_lshl_b64 s[12:13], s[22:23], 2
	s_add_u32 s12, s15, s12
	s_addc_u32 s13, s16, s13
	s_mul_i32 s15, s2, s25
	s_mul_hi_u32 s16, s2, s24
	s_add_i32 s17, s16, s15
	s_mul_i32 s16, s2, s24
	s_lshl_b64 s[16:17], s[16:17], 2
	s_add_u32 s15, s18, s16
	s_addc_u32 s16, s19, s17
	s_lshl_b64 s[8:9], s[8:9], 2
	s_add_u32 s15, s15, s8
	s_addc_u32 s16, s16, s9
	v_mad_i64_i32 v[2:3], s[8:9], v1, s14, 0
	v_lshlrev_b64 v[2:3], 2, v[2:3]
	v_mov_b32_e32 v4, s16
	v_add_co_u32_e32 v2, vcc, s15, v2
	v_addc_co_u32_e32 v3, vcc, v4, v3, vcc
	v_mad_i64_i32 v[4:5], s[8:9], v1, s11, 0
	v_lshlrev_b64 v[4:5], 2, v[4:5]
	v_mov_b32_e32 v1, s13
	v_add_co_u32_e32 v4, vcc, s12, v4
	v_addc_co_u32_e32 v5, vcc, v1, v5, vcc
	global_load_dword v6, v[4:5], off
	global_load_dword v7, v[2:3], off
	s_add_i32 s8, s6, s10
	v_lshl_or_b32 v1, s8, 9, v0
	v_cmp_gt_i32_e32 vcc, s7, v1
	s_waitcnt vmcnt(1)
	v_cvt_f64_f32_e32 v[2:3], v6
	s_waitcnt vmcnt(0)
	v_cvt_f64_f32_e32 v[4:5], v7
	v_fma_f64 v[2:3], v[4:5], v[2:3], 0
	s_and_saveexec_b64 s[8:9], vcc
	s_cbranch_execz .LBB572_3
; %bb.2:
	v_mad_i64_i32 v[4:5], s[18:19], v1, s14, 0
	v_lshlrev_b64 v[4:5], 2, v[4:5]
	v_mov_b32_e32 v6, s16
	v_add_co_u32_e32 v4, vcc, s15, v4
	v_addc_co_u32_e32 v5, vcc, v6, v5, vcc
	global_load_dword v6, v[4:5], off
	v_mad_i64_i32 v[4:5], s[14:15], v1, s11, 0
	v_lshlrev_b64 v[4:5], 2, v[4:5]
	v_mov_b32_e32 v1, s13
	v_add_co_u32_e32 v4, vcc, s12, v4
	v_addc_co_u32_e32 v5, vcc, v1, v5, vcc
	global_load_dword v1, v[4:5], off
	s_waitcnt vmcnt(1)
	v_cvt_f64_f32_e32 v[4:5], v6
	s_waitcnt vmcnt(0)
	v_cvt_f64_f32_e32 v[6:7], v1
	v_fmac_f64_e32 v[2:3], v[4:5], v[6:7]
.LBB572_3:
	s_or_b64 exec, exec, s[8:9]
.LBB572_4:
	s_or_b64 exec, exec, s[0:1]
	v_and_b32_e32 v6, 63, v0
	v_cmp_gt_u32_e32 vcc, 64, v0
	v_lshlrev_b32_e32 v1, 3, v6
	s_and_saveexec_b64 s[0:1], vcc
	s_cbranch_execz .LBB572_6
; %bb.5:
	v_mov_b32_e32 v4, 0
	v_mov_b32_e32 v5, v4
	ds_write_b64 v1, v[4:5]
.LBB572_6:
	s_or_b64 exec, exec, s[0:1]
	v_mbcnt_lo_u32_b32 v4, -1, 0
	v_mbcnt_hi_u32_b32 v9, -1, v4
	v_and_b32_e32 v10, 63, v9
	v_cmp_gt_u32_e64 s[0:1], 32, v10
	v_cndmask_b32_e64 v4, 0, 1, s[0:1]
	v_lshlrev_b32_e32 v4, 5, v4
	v_add_lshl_u32 v5, v4, v9, 2
	ds_bpermute_b32 v4, v5, v2
	ds_bpermute_b32 v5, v5, v3
	v_cmp_gt_u32_e64 s[0:1], 48, v10
	v_cndmask_b32_e64 v7, 0, 1, s[0:1]
	v_cmp_gt_u32_e64 s[0:1], 56, v10
	s_waitcnt lgkmcnt(0)
	v_add_f64 v[2:3], v[2:3], v[4:5]
	v_lshlrev_b32_e32 v4, 4, v7
	v_add_lshl_u32 v5, v4, v9, 2
	ds_bpermute_b32 v4, v5, v2
	ds_bpermute_b32 v5, v5, v3
	s_barrier
	s_waitcnt lgkmcnt(0)
	v_add_f64 v[2:3], v[2:3], v[4:5]
	v_cndmask_b32_e64 v4, 0, 1, s[0:1]
	v_lshlrev_b32_e32 v4, 3, v4
	v_add_lshl_u32 v5, v4, v9, 2
	ds_bpermute_b32 v4, v5, v2
	ds_bpermute_b32 v5, v5, v3
	v_cmp_gt_u32_e64 s[0:1], 60, v10
	s_waitcnt lgkmcnt(0)
	v_add_f64 v[2:3], v[2:3], v[4:5]
	v_cndmask_b32_e64 v4, 0, 1, s[0:1]
	v_lshlrev_b32_e32 v4, 2, v4
	v_add_lshl_u32 v7, v4, v9, 2
	ds_bpermute_b32 v4, v7, v2
	ds_bpermute_b32 v5, v7, v3
	v_cmp_gt_u32_e64 s[0:1], 62, v10
	s_waitcnt lgkmcnt(0)
	v_add_f64 v[2:3], v[2:3], v[4:5]
	v_cndmask_b32_e64 v4, 0, 1, s[0:1]
	v_lshlrev_b32_e32 v4, 1, v4
	v_add_lshl_u32 v8, v4, v9, 2
	ds_bpermute_b32 v4, v8, v2
	ds_bpermute_b32 v5, v8, v3
	v_cmp_ne_u32_e64 s[0:1], 63, v10
	s_waitcnt lgkmcnt(0)
	v_add_f64 v[2:3], v[2:3], v[4:5]
	v_addc_co_u32_e64 v4, s[0:1], 0, v9, s[0:1]
	v_lshlrev_b32_e32 v9, 2, v4
	ds_bpermute_b32 v4, v9, v2
	ds_bpermute_b32 v5, v9, v3
	v_cmp_eq_u32_e64 s[0:1], 0, v6
	s_and_saveexec_b64 s[8:9], s[0:1]
	s_cbranch_execz .LBB572_8
; %bb.7:
	s_waitcnt lgkmcnt(0)
	v_add_f64 v[2:3], v[2:3], v[4:5]
	v_lshrrev_b32_e32 v4, 3, v0
	v_and_b32_e32 v4, 56, v4
	ds_write_b64 v4, v[2:3]
.LBB572_8:
	s_or_b64 exec, exec, s[8:9]
	v_cmp_gt_u32_e64 s[0:1], 8, v0
	v_pk_mov_b32 v[2:3], 0, 0
	s_waitcnt lgkmcnt(0)
	s_barrier
	s_and_saveexec_b64 s[8:9], s[0:1]
	s_cbranch_execnz .LBB572_12
; %bb.9:
	s_or_b64 exec, exec, s[8:9]
	s_and_saveexec_b64 s[0:1], vcc
	s_cbranch_execnz .LBB572_13
.LBB572_10:
	s_or_b64 exec, exec, s[0:1]
	v_cmp_eq_u32_e32 vcc, 0, v0
	s_and_saveexec_b64 s[0:1], vcc
	s_cbranch_execnz .LBB572_14
.LBB572_11:
	s_endpgm
.LBB572_12:
	ds_read_b64 v[2:3], v1
	s_or_b64 exec, exec, s[8:9]
	s_and_saveexec_b64 s[0:1], vcc
	s_cbranch_execz .LBB572_10
.LBB572_13:
	s_waitcnt lgkmcnt(0)
	ds_bpermute_b32 v4, v7, v2
	ds_bpermute_b32 v5, v7, v3
	s_waitcnt lgkmcnt(0)
	v_add_f64 v[2:3], v[2:3], v[4:5]
	ds_bpermute_b32 v4, v8, v2
	ds_bpermute_b32 v5, v8, v3
	s_waitcnt lgkmcnt(0)
	v_add_f64 v[2:3], v[2:3], v[4:5]
	ds_bpermute_b32 v4, v9, v2
	ds_bpermute_b32 v5, v9, v3
	s_waitcnt lgkmcnt(0)
	v_add_f64 v[2:3], v[2:3], v[4:5]
	s_or_b64 exec, exec, s[0:1]
	v_cmp_eq_u32_e32 vcc, 0, v0
	s_and_saveexec_b64 s[0:1], vcc
	s_cbranch_execz .LBB572_11
.LBB572_14:
	s_cmp_lg_u32 s10, 1
	s_cbranch_scc0 .LBB572_16
; %bb.15:
	s_load_dwordx2 s[0:1], s[4:5], 0x50
	s_mul_hi_u32 s9, s10, s2
	s_mul_i32 s8, s10, s2
	s_lshl_b64 s[8:9], s[8:9], 3
	s_mov_b32 s7, 0
	s_waitcnt lgkmcnt(0)
	s_add_u32 s8, s0, s8
	s_addc_u32 s9, s1, s9
	s_lshl_b64 s[0:1], s[6:7], 3
	s_add_u32 s0, s8, s0
	s_addc_u32 s1, s9, s1
	s_cbranch_execz .LBB572_17
	s_branch .LBB572_18
.LBB572_16:
                                        ; implicit-def: $sgpr0_sgpr1
.LBB572_17:
	s_load_dwordx2 s[0:1], s[4:5], 0x58
	s_lshl_b64 s[2:3], s[2:3], 3
	s_waitcnt lgkmcnt(0)
	s_add_u32 s0, s0, s2
	s_addc_u32 s1, s1, s3
.LBB572_18:
	v_mov_b32_e32 v0, 0
	s_waitcnt lgkmcnt(0)
	global_store_dwordx2 v0, v[2:3], s[0:1]
	s_endpgm
	.section	.rodata,"a",@progbits
	.p2align	6, 0x0
	.amdhsa_kernel _ZL18rocblas_dot_kernelIiLb0ELi512ELi2ELb1EdPKfdEviT5_lT_lS2_lS3_liPT6_PT4_
		.amdhsa_group_segment_fixed_size 512
		.amdhsa_private_segment_fixed_size 0
		.amdhsa_kernarg_size 352
		.amdhsa_user_sgpr_count 6
		.amdhsa_user_sgpr_private_segment_buffer 1
		.amdhsa_user_sgpr_dispatch_ptr 0
		.amdhsa_user_sgpr_queue_ptr 0
		.amdhsa_user_sgpr_kernarg_segment_ptr 1
		.amdhsa_user_sgpr_dispatch_id 0
		.amdhsa_user_sgpr_flat_scratch_init 0
		.amdhsa_user_sgpr_kernarg_preload_length 0
		.amdhsa_user_sgpr_kernarg_preload_offset 0
		.amdhsa_user_sgpr_private_segment_size 0
		.amdhsa_uses_dynamic_stack 0
		.amdhsa_system_sgpr_private_segment_wavefront_offset 0
		.amdhsa_system_sgpr_workgroup_id_x 1
		.amdhsa_system_sgpr_workgroup_id_y 0
		.amdhsa_system_sgpr_workgroup_id_z 1
		.amdhsa_system_sgpr_workgroup_info 0
		.amdhsa_system_vgpr_workitem_id 0
		.amdhsa_next_free_vgpr 11
		.amdhsa_next_free_sgpr 26
		.amdhsa_accum_offset 12
		.amdhsa_reserve_vcc 1
		.amdhsa_reserve_flat_scratch 0
		.amdhsa_float_round_mode_32 0
		.amdhsa_float_round_mode_16_64 0
		.amdhsa_float_denorm_mode_32 3
		.amdhsa_float_denorm_mode_16_64 3
		.amdhsa_dx10_clamp 1
		.amdhsa_ieee_mode 1
		.amdhsa_fp16_overflow 0
		.amdhsa_tg_split 0
		.amdhsa_exception_fp_ieee_invalid_op 0
		.amdhsa_exception_fp_denorm_src 0
		.amdhsa_exception_fp_ieee_div_zero 0
		.amdhsa_exception_fp_ieee_overflow 0
		.amdhsa_exception_fp_ieee_underflow 0
		.amdhsa_exception_fp_ieee_inexact 0
		.amdhsa_exception_int_div_zero 0
	.end_amdhsa_kernel
	.section	.text._ZL18rocblas_dot_kernelIiLb0ELi512ELi2ELb1EdPKfdEviT5_lT_lS2_lS3_liPT6_PT4_,"axG",@progbits,_ZL18rocblas_dot_kernelIiLb0ELi512ELi2ELb1EdPKfdEviT5_lT_lS2_lS3_liPT6_PT4_,comdat
.Lfunc_end572:
	.size	_ZL18rocblas_dot_kernelIiLb0ELi512ELi2ELb1EdPKfdEviT5_lT_lS2_lS3_liPT6_PT4_, .Lfunc_end572-_ZL18rocblas_dot_kernelIiLb0ELi512ELi2ELb1EdPKfdEviT5_lT_lS2_lS3_liPT6_PT4_
                                        ; -- End function
	.section	.AMDGPU.csdata,"",@progbits
; Kernel info:
; codeLenInByte = 1132
; NumSgprs: 30
; NumVgprs: 11
; NumAgprs: 0
; TotalNumVgprs: 11
; ScratchSize: 0
; MemoryBound: 0
; FloatMode: 240
; IeeeMode: 1
; LDSByteSize: 512 bytes/workgroup (compile time only)
; SGPRBlocks: 3
; VGPRBlocks: 1
; NumSGPRsForWavesPerEU: 30
; NumVGPRsForWavesPerEU: 11
; AccumOffset: 12
; Occupancy: 8
; WaveLimiterHint : 0
; COMPUTE_PGM_RSRC2:SCRATCH_EN: 0
; COMPUTE_PGM_RSRC2:USER_SGPR: 6
; COMPUTE_PGM_RSRC2:TRAP_HANDLER: 0
; COMPUTE_PGM_RSRC2:TGID_X_EN: 1
; COMPUTE_PGM_RSRC2:TGID_Y_EN: 0
; COMPUTE_PGM_RSRC2:TGID_Z_EN: 1
; COMPUTE_PGM_RSRC2:TIDIG_COMP_CNT: 0
; COMPUTE_PGM_RSRC3_GFX90A:ACCUM_OFFSET: 2
; COMPUTE_PGM_RSRC3_GFX90A:TG_SPLIT: 0
	.section	.text._ZL24rocblas_dot_kernel_magsqIiLb0ELi512ELi2ELb1EdPKfdEviT5_lT_liPT6_PT4_,"axG",@progbits,_ZL24rocblas_dot_kernel_magsqIiLb0ELi512ELi2ELb1EdPKfdEviT5_lT_liPT6_PT4_,comdat
	.globl	_ZL24rocblas_dot_kernel_magsqIiLb0ELi512ELi2ELb1EdPKfdEviT5_lT_liPT6_PT4_ ; -- Begin function _ZL24rocblas_dot_kernel_magsqIiLb0ELi512ELi2ELb1EdPKfdEviT5_lT_liPT6_PT4_
	.p2align	8
	.type	_ZL24rocblas_dot_kernel_magsqIiLb0ELi512ELi2ELb1EdPKfdEviT5_lT_liPT6_PT4_,@function
_ZL24rocblas_dot_kernel_magsqIiLb0ELi512ELi2ELb1EdPKfdEviT5_lT_liPT6_PT4_: ; @_ZL24rocblas_dot_kernel_magsqIiLb0ELi512ELi2ELb1EdPKfdEviT5_lT_liPT6_PT4_
; %bb.0:
	s_mov_b32 s2, s7
	s_load_dword s7, s[4:5], 0x0
	s_load_dword s10, s[4:5], 0x40
	v_lshl_or_b32 v1, s6, 9, v0
	s_mov_b32 s3, 0
	v_pk_mov_b32 v[2:3], 0, 0
	s_waitcnt lgkmcnt(0)
	v_cmp_gt_i32_e32 vcc, s7, v1
	s_and_saveexec_b64 s[0:1], vcc
	s_cbranch_execz .LBB573_4
; %bb.1:
	s_load_dwordx2 s[8:9], s[4:5], 0x20
	s_load_dwordx4 s[12:15], s[4:5], 0x8
	s_load_dword s11, s[4:5], 0x18
	s_waitcnt lgkmcnt(0)
	s_mul_i32 s9, s2, s9
	s_mul_hi_u32 s16, s2, s8
	s_mul_i32 s8, s2, s8
	s_add_i32 s9, s16, s9
	s_lshl_b64 s[8:9], s[8:9], 2
	s_add_u32 s12, s12, s8
	s_addc_u32 s13, s13, s9
	s_lshl_b64 s[8:9], s[14:15], 2
	s_add_u32 s12, s12, s8
	s_addc_u32 s13, s13, s9
	v_mad_i64_i32 v[2:3], s[8:9], v1, s11, 0
	v_lshlrev_b64 v[2:3], 2, v[2:3]
	v_mov_b32_e32 v1, s13
	v_add_co_u32_e32 v2, vcc, s12, v2
	v_addc_co_u32_e32 v3, vcc, v1, v3, vcc
	global_load_dword v2, v[2:3], off
	s_add_i32 s8, s6, s10
	v_lshl_or_b32 v1, s8, 9, v0
	v_cmp_gt_i32_e32 vcc, s7, v1
	s_waitcnt vmcnt(0)
	v_cvt_f64_f32_e32 v[2:3], v2
	v_mul_f64 v[2:3], v[2:3], v[2:3]
	s_and_saveexec_b64 s[8:9], vcc
	s_cbranch_execz .LBB573_3
; %bb.2:
	v_mad_i64_i32 v[4:5], s[14:15], v1, s11, 0
	v_lshlrev_b64 v[4:5], 2, v[4:5]
	v_mov_b32_e32 v1, s13
	v_add_co_u32_e32 v4, vcc, s12, v4
	v_addc_co_u32_e32 v5, vcc, v1, v5, vcc
	global_load_dword v1, v[4:5], off
	s_waitcnt vmcnt(0)
	v_cvt_f64_f32_e32 v[4:5], v1
	v_fmac_f64_e32 v[2:3], v[4:5], v[4:5]
.LBB573_3:
	s_or_b64 exec, exec, s[8:9]
.LBB573_4:
	s_or_b64 exec, exec, s[0:1]
	v_and_b32_e32 v6, 63, v0
	v_cmp_gt_u32_e32 vcc, 64, v0
	v_lshlrev_b32_e32 v1, 3, v6
	s_and_saveexec_b64 s[0:1], vcc
	s_cbranch_execz .LBB573_6
; %bb.5:
	v_mov_b32_e32 v4, 0
	v_mov_b32_e32 v5, v4
	ds_write_b64 v1, v[4:5]
.LBB573_6:
	s_or_b64 exec, exec, s[0:1]
	v_mbcnt_lo_u32_b32 v4, -1, 0
	v_mbcnt_hi_u32_b32 v9, -1, v4
	v_and_b32_e32 v10, 63, v9
	v_cmp_gt_u32_e64 s[0:1], 32, v10
	v_cndmask_b32_e64 v4, 0, 1, s[0:1]
	v_lshlrev_b32_e32 v4, 5, v4
	v_add_lshl_u32 v5, v4, v9, 2
	ds_bpermute_b32 v4, v5, v2
	ds_bpermute_b32 v5, v5, v3
	v_cmp_gt_u32_e64 s[0:1], 48, v10
	v_cndmask_b32_e64 v7, 0, 1, s[0:1]
	v_cmp_gt_u32_e64 s[0:1], 56, v10
	s_waitcnt lgkmcnt(0)
	v_add_f64 v[2:3], v[2:3], v[4:5]
	v_lshlrev_b32_e32 v4, 4, v7
	v_add_lshl_u32 v5, v4, v9, 2
	ds_bpermute_b32 v4, v5, v2
	ds_bpermute_b32 v5, v5, v3
	s_barrier
	s_waitcnt lgkmcnt(0)
	v_add_f64 v[2:3], v[2:3], v[4:5]
	v_cndmask_b32_e64 v4, 0, 1, s[0:1]
	v_lshlrev_b32_e32 v4, 3, v4
	v_add_lshl_u32 v5, v4, v9, 2
	ds_bpermute_b32 v4, v5, v2
	ds_bpermute_b32 v5, v5, v3
	v_cmp_gt_u32_e64 s[0:1], 60, v10
	s_waitcnt lgkmcnt(0)
	v_add_f64 v[2:3], v[2:3], v[4:5]
	v_cndmask_b32_e64 v4, 0, 1, s[0:1]
	v_lshlrev_b32_e32 v4, 2, v4
	v_add_lshl_u32 v7, v4, v9, 2
	ds_bpermute_b32 v4, v7, v2
	ds_bpermute_b32 v5, v7, v3
	v_cmp_gt_u32_e64 s[0:1], 62, v10
	s_waitcnt lgkmcnt(0)
	v_add_f64 v[2:3], v[2:3], v[4:5]
	v_cndmask_b32_e64 v4, 0, 1, s[0:1]
	v_lshlrev_b32_e32 v4, 1, v4
	v_add_lshl_u32 v8, v4, v9, 2
	ds_bpermute_b32 v4, v8, v2
	ds_bpermute_b32 v5, v8, v3
	v_cmp_ne_u32_e64 s[0:1], 63, v10
	s_waitcnt lgkmcnt(0)
	v_add_f64 v[2:3], v[2:3], v[4:5]
	v_addc_co_u32_e64 v4, s[0:1], 0, v9, s[0:1]
	v_lshlrev_b32_e32 v9, 2, v4
	ds_bpermute_b32 v4, v9, v2
	ds_bpermute_b32 v5, v9, v3
	v_cmp_eq_u32_e64 s[0:1], 0, v6
	s_and_saveexec_b64 s[8:9], s[0:1]
	s_cbranch_execz .LBB573_8
; %bb.7:
	s_waitcnt lgkmcnt(0)
	v_add_f64 v[2:3], v[2:3], v[4:5]
	v_lshrrev_b32_e32 v4, 3, v0
	v_and_b32_e32 v4, 56, v4
	ds_write_b64 v4, v[2:3]
.LBB573_8:
	s_or_b64 exec, exec, s[8:9]
	v_cmp_gt_u32_e64 s[0:1], 8, v0
	v_pk_mov_b32 v[2:3], 0, 0
	s_waitcnt lgkmcnt(0)
	s_barrier
	s_and_saveexec_b64 s[8:9], s[0:1]
	s_cbranch_execnz .LBB573_12
; %bb.9:
	s_or_b64 exec, exec, s[8:9]
	s_and_saveexec_b64 s[0:1], vcc
	s_cbranch_execnz .LBB573_13
.LBB573_10:
	s_or_b64 exec, exec, s[0:1]
	v_cmp_eq_u32_e32 vcc, 0, v0
	s_and_saveexec_b64 s[0:1], vcc
	s_cbranch_execnz .LBB573_14
.LBB573_11:
	s_endpgm
.LBB573_12:
	ds_read_b64 v[2:3], v1
	s_or_b64 exec, exec, s[8:9]
	s_and_saveexec_b64 s[0:1], vcc
	s_cbranch_execz .LBB573_10
.LBB573_13:
	s_waitcnt lgkmcnt(0)
	ds_bpermute_b32 v4, v7, v2
	ds_bpermute_b32 v5, v7, v3
	s_waitcnt lgkmcnt(0)
	v_add_f64 v[2:3], v[2:3], v[4:5]
	ds_bpermute_b32 v4, v8, v2
	ds_bpermute_b32 v5, v8, v3
	s_waitcnt lgkmcnt(0)
	v_add_f64 v[2:3], v[2:3], v[4:5]
	ds_bpermute_b32 v4, v9, v2
	ds_bpermute_b32 v5, v9, v3
	s_waitcnt lgkmcnt(0)
	v_add_f64 v[2:3], v[2:3], v[4:5]
	s_or_b64 exec, exec, s[0:1]
	v_cmp_eq_u32_e32 vcc, 0, v0
	s_and_saveexec_b64 s[0:1], vcc
	s_cbranch_execz .LBB573_11
.LBB573_14:
	s_cmp_lg_u32 s10, 1
	s_cbranch_scc0 .LBB573_16
; %bb.15:
	s_load_dwordx2 s[0:1], s[4:5], 0x30
	s_mul_hi_u32 s9, s10, s2
	s_mul_i32 s8, s10, s2
	s_lshl_b64 s[8:9], s[8:9], 3
	s_mov_b32 s7, 0
	s_waitcnt lgkmcnt(0)
	s_add_u32 s8, s0, s8
	s_addc_u32 s9, s1, s9
	s_lshl_b64 s[0:1], s[6:7], 3
	s_add_u32 s0, s8, s0
	s_addc_u32 s1, s9, s1
	s_cbranch_execz .LBB573_17
	s_branch .LBB573_18
.LBB573_16:
                                        ; implicit-def: $sgpr0_sgpr1
.LBB573_17:
	s_load_dwordx2 s[0:1], s[4:5], 0x38
	s_lshl_b64 s[2:3], s[2:3], 3
	s_waitcnt lgkmcnt(0)
	s_add_u32 s0, s0, s2
	s_addc_u32 s1, s1, s3
.LBB573_18:
	v_mov_b32_e32 v0, 0
	s_waitcnt lgkmcnt(0)
	global_store_dwordx2 v0, v[2:3], s[0:1]
	s_endpgm
	.section	.rodata,"a",@progbits
	.p2align	6, 0x0
	.amdhsa_kernel _ZL24rocblas_dot_kernel_magsqIiLb0ELi512ELi2ELb1EdPKfdEviT5_lT_liPT6_PT4_
		.amdhsa_group_segment_fixed_size 512
		.amdhsa_private_segment_fixed_size 0
		.amdhsa_kernarg_size 320
		.amdhsa_user_sgpr_count 6
		.amdhsa_user_sgpr_private_segment_buffer 1
		.amdhsa_user_sgpr_dispatch_ptr 0
		.amdhsa_user_sgpr_queue_ptr 0
		.amdhsa_user_sgpr_kernarg_segment_ptr 1
		.amdhsa_user_sgpr_dispatch_id 0
		.amdhsa_user_sgpr_flat_scratch_init 0
		.amdhsa_user_sgpr_kernarg_preload_length 0
		.amdhsa_user_sgpr_kernarg_preload_offset 0
		.amdhsa_user_sgpr_private_segment_size 0
		.amdhsa_uses_dynamic_stack 0
		.amdhsa_system_sgpr_private_segment_wavefront_offset 0
		.amdhsa_system_sgpr_workgroup_id_x 1
		.amdhsa_system_sgpr_workgroup_id_y 0
		.amdhsa_system_sgpr_workgroup_id_z 1
		.amdhsa_system_sgpr_workgroup_info 0
		.amdhsa_system_vgpr_workitem_id 0
		.amdhsa_next_free_vgpr 11
		.amdhsa_next_free_sgpr 17
		.amdhsa_accum_offset 12
		.amdhsa_reserve_vcc 1
		.amdhsa_reserve_flat_scratch 0
		.amdhsa_float_round_mode_32 0
		.amdhsa_float_round_mode_16_64 0
		.amdhsa_float_denorm_mode_32 3
		.amdhsa_float_denorm_mode_16_64 3
		.amdhsa_dx10_clamp 1
		.amdhsa_ieee_mode 1
		.amdhsa_fp16_overflow 0
		.amdhsa_tg_split 0
		.amdhsa_exception_fp_ieee_invalid_op 0
		.amdhsa_exception_fp_denorm_src 0
		.amdhsa_exception_fp_ieee_div_zero 0
		.amdhsa_exception_fp_ieee_overflow 0
		.amdhsa_exception_fp_ieee_underflow 0
		.amdhsa_exception_fp_ieee_inexact 0
		.amdhsa_exception_int_div_zero 0
	.end_amdhsa_kernel
	.section	.text._ZL24rocblas_dot_kernel_magsqIiLb0ELi512ELi2ELb1EdPKfdEviT5_lT_liPT6_PT4_,"axG",@progbits,_ZL24rocblas_dot_kernel_magsqIiLb0ELi512ELi2ELb1EdPKfdEviT5_lT_liPT6_PT4_,comdat
.Lfunc_end573:
	.size	_ZL24rocblas_dot_kernel_magsqIiLb0ELi512ELi2ELb1EdPKfdEviT5_lT_liPT6_PT4_, .Lfunc_end573-_ZL24rocblas_dot_kernel_magsqIiLb0ELi512ELi2ELb1EdPKfdEviT5_lT_liPT6_PT4_
                                        ; -- End function
	.section	.AMDGPU.csdata,"",@progbits
; Kernel info:
; codeLenInByte = 980
; NumSgprs: 21
; NumVgprs: 11
; NumAgprs: 0
; TotalNumVgprs: 11
; ScratchSize: 0
; MemoryBound: 0
; FloatMode: 240
; IeeeMode: 1
; LDSByteSize: 512 bytes/workgroup (compile time only)
; SGPRBlocks: 2
; VGPRBlocks: 1
; NumSGPRsForWavesPerEU: 21
; NumVGPRsForWavesPerEU: 11
; AccumOffset: 12
; Occupancy: 8
; WaveLimiterHint : 0
; COMPUTE_PGM_RSRC2:SCRATCH_EN: 0
; COMPUTE_PGM_RSRC2:USER_SGPR: 6
; COMPUTE_PGM_RSRC2:TRAP_HANDLER: 0
; COMPUTE_PGM_RSRC2:TGID_X_EN: 1
; COMPUTE_PGM_RSRC2:TGID_Y_EN: 0
; COMPUTE_PGM_RSRC2:TGID_Z_EN: 1
; COMPUTE_PGM_RSRC2:TIDIG_COMP_CNT: 0
; COMPUTE_PGM_RSRC3_GFX90A:ACCUM_OFFSET: 2
; COMPUTE_PGM_RSRC3_GFX90A:TG_SPLIT: 0
	.section	.text._ZL28rocblas_dot_batched_4_kernelIlLi32ELi4ELb1EddPKfEviT5_lT_lS2_lS3_liPT4_,"axG",@progbits,_ZL28rocblas_dot_batched_4_kernelIlLi32ELi4ELb1EddPKfEviT5_lT_lS2_lS3_liPT4_,comdat
	.globl	_ZL28rocblas_dot_batched_4_kernelIlLi32ELi4ELb1EddPKfEviT5_lT_lS2_lS3_liPT4_ ; -- Begin function _ZL28rocblas_dot_batched_4_kernelIlLi32ELi4ELb1EddPKfEviT5_lT_lS2_lS3_liPT4_
	.p2align	8
	.type	_ZL28rocblas_dot_batched_4_kernelIlLi32ELi4ELb1EddPKfEviT5_lT_lS2_lS3_liPT4_,@function
_ZL28rocblas_dot_batched_4_kernelIlLi32ELi4ELb1EddPKfEviT5_lT_lS2_lS3_liPT4_: ; @_ZL28rocblas_dot_batched_4_kernelIlLi32ELi4ELb1EddPKfEviT5_lT_lS2_lS3_liPT4_
; %bb.0:
	s_load_dword s0, s[4:5], 0x48
	v_bfe_u32 v1, v0, 10, 10
	v_lshl_add_u32 v2, s6, 2, v1
	s_waitcnt lgkmcnt(0)
	v_cmp_gt_u32_e32 vcc, s0, v2
	s_and_saveexec_b64 s[0:1], vcc
	s_cbranch_execz .LBB574_7
; %bb.1:
	s_load_dword s16, s[4:5], 0x0
	s_load_dwordx2 s[0:1], s[4:5], 0x50
	v_and_b32_e32 v8, 0x3ff, v0
	v_mov_b32_e32 v3, 0
	v_pk_mov_b32 v[0:1], 0, 0
	s_waitcnt lgkmcnt(0)
	v_cmp_gt_i32_e32 vcc, s16, v8
	s_and_saveexec_b64 s[2:3], vcc
	s_cbranch_execz .LBB574_5
; %bb.2:
	s_load_dwordx4 s[20:23], s[4:5], 0x10
	s_load_dwordx2 s[6:7], s[4:5], 0x8
	s_load_dwordx8 s[8:15], s[4:5], 0x20
	s_load_dwordx2 s[18:19], s[4:5], 0x40
	s_waitcnt lgkmcnt(0)
	v_mad_u64_u32 v[0:1], s[4:5], s22, v8, 0
	v_mov_b32_e32 v4, v1
	v_mad_u64_u32 v[4:5], s[4:5], s23, v8, v[4:5]
	v_mov_b32_e32 v1, v4
	;; [unrolled: 2-line block ×4, first 2 shown]
	v_lshlrev_b64 v[0:1], 2, v[0:1]
	v_lshlrev_b64 v[4:5], 2, v[4:5]
	s_lshl_b64 s[4:5], s[20:21], 2
	v_add_co_u32_e32 v0, vcc, v0, v4
	s_add_u32 s4, s6, s4
	v_addc_co_u32_e32 v1, vcc, v1, v5, vcc
	s_addc_u32 s5, s7, s5
	v_mov_b32_e32 v5, s5
	v_add_co_u32_e32 v4, vcc, s4, v0
	v_addc_co_u32_e32 v5, vcc, v5, v1, vcc
	v_mad_u64_u32 v[0:1], s[6:7], s14, v8, 0
	v_mov_b32_e32 v6, v1
	v_mad_u64_u32 v[6:7], s[6:7], s15, v8, v[6:7]
	v_mov_b32_e32 v1, v6
	;; [unrolled: 2-line block ×4, first 2 shown]
	s_lshl_b64 s[4:5], s[22:23], 7
	v_lshlrev_b64 v[0:1], 2, v[0:1]
	v_lshlrev_b64 v[6:7], 2, v[6:7]
	s_lshl_b64 s[6:7], s[12:13], 2
	v_add_co_u32_e32 v0, vcc, v0, v6
	s_add_u32 s6, s10, s6
	v_addc_co_u32_e32 v1, vcc, v1, v7, vcc
	s_addc_u32 s7, s11, s7
	v_mov_b32_e32 v7, s7
	v_add_co_u32_e32 v6, vcc, s6, v0
	s_lshl_b64 s[8:9], s[14:15], 7
	v_addc_co_u32_e32 v7, vcc, v7, v1, vcc
	s_mov_b64 s[6:7], 0
	v_pk_mov_b32 v[0:1], 0, 0
	v_mov_b32_e32 v9, s5
	v_mov_b32_e32 v10, s9
	;; [unrolled: 1-line block ×3, first 2 shown]
.LBB574_3:                              ; =>This Inner Loop Header: Depth=1
	global_load_dword v12, v[4:5], off
	global_load_dword v14, v[6:7], off
	v_add_co_u32_e32 v4, vcc, s4, v4
	v_addc_co_u32_e32 v5, vcc, v5, v9, vcc
	v_add_co_u32_e32 v6, vcc, s8, v6
	v_add_u32_e32 v11, 32, v11
	v_addc_co_u32_e32 v7, vcc, v7, v10, vcc
	v_cmp_le_i32_e32 vcc, s16, v11
	s_or_b64 s[6:7], vcc, s[6:7]
	s_waitcnt vmcnt(1)
	v_cvt_f64_f32_e32 v[12:13], v12
	s_waitcnt vmcnt(0)
	v_cvt_f64_f32_e32 v[14:15], v14
	v_fmac_f64_e32 v[0:1], v[12:13], v[14:15]
	s_andn2_b64 exec, exec, s[6:7]
	s_cbranch_execnz .LBB574_3
; %bb.4:
	s_or_b64 exec, exec, s[6:7]
.LBB574_5:
	s_or_b64 exec, exec, s[2:3]
	v_mbcnt_lo_u32_b32 v4, -1, 0
	v_mbcnt_hi_u32_b32 v6, -1, v4
	v_and_b32_e32 v7, 63, v6
	v_cmp_gt_u32_e32 vcc, 48, v7
	v_cndmask_b32_e64 v4, 0, 1, vcc
	v_lshlrev_b32_e32 v4, 4, v4
	v_add_lshl_u32 v5, v4, v6, 2
	ds_bpermute_b32 v4, v5, v0
	ds_bpermute_b32 v5, v5, v1
	v_cmp_gt_u32_e32 vcc, 56, v7
	v_cndmask_b32_e64 v9, 0, 1, vcc
	v_cmp_gt_u32_e32 vcc, 60, v7
	s_waitcnt lgkmcnt(0)
	v_add_f64 v[0:1], v[0:1], v[4:5]
	v_lshlrev_b32_e32 v4, 3, v9
	v_add_lshl_u32 v5, v4, v6, 2
	ds_bpermute_b32 v4, v5, v0
	ds_bpermute_b32 v5, v5, v1
	s_barrier
	s_waitcnt lgkmcnt(0)
	v_add_f64 v[0:1], v[0:1], v[4:5]
	v_cndmask_b32_e64 v4, 0, 1, vcc
	v_lshlrev_b32_e32 v4, 2, v4
	v_add_lshl_u32 v5, v4, v6, 2
	ds_bpermute_b32 v4, v5, v0
	ds_bpermute_b32 v5, v5, v1
	v_cmp_gt_u32_e32 vcc, 62, v7
	s_waitcnt lgkmcnt(0)
	v_add_f64 v[0:1], v[0:1], v[4:5]
	v_cndmask_b32_e64 v4, 0, 1, vcc
	v_lshlrev_b32_e32 v4, 1, v4
	v_add_lshl_u32 v5, v4, v6, 2
	ds_bpermute_b32 v4, v5, v0
	ds_bpermute_b32 v5, v5, v1
	v_cmp_ne_u32_e32 vcc, 63, v7
	s_waitcnt lgkmcnt(0)
	v_add_f64 v[0:1], v[0:1], v[4:5]
	v_addc_co_u32_e32 v4, vcc, 0, v6, vcc
	v_lshlrev_b32_e32 v5, 2, v4
	ds_bpermute_b32 v4, v5, v0
	ds_bpermute_b32 v5, v5, v1
	v_cmp_eq_u32_e32 vcc, 0, v8
	s_and_b64 exec, exec, vcc
	s_cbranch_execz .LBB574_7
; %bb.6:
	v_lshlrev_b64 v[2:3], 3, v[2:3]
	v_mov_b32_e32 v6, s1
	v_add_co_u32_e32 v2, vcc, s0, v2
	v_addc_co_u32_e32 v3, vcc, v6, v3, vcc
	s_waitcnt lgkmcnt(0)
	v_add_f64 v[0:1], v[0:1], v[4:5]
	global_store_dwordx2 v[2:3], v[0:1], off
.LBB574_7:
	s_endpgm
	.section	.rodata,"a",@progbits
	.p2align	6, 0x0
	.amdhsa_kernel _ZL28rocblas_dot_batched_4_kernelIlLi32ELi4ELb1EddPKfEviT5_lT_lS2_lS3_liPT4_
		.amdhsa_group_segment_fixed_size 0
		.amdhsa_private_segment_fixed_size 0
		.amdhsa_kernarg_size 88
		.amdhsa_user_sgpr_count 6
		.amdhsa_user_sgpr_private_segment_buffer 1
		.amdhsa_user_sgpr_dispatch_ptr 0
		.amdhsa_user_sgpr_queue_ptr 0
		.amdhsa_user_sgpr_kernarg_segment_ptr 1
		.amdhsa_user_sgpr_dispatch_id 0
		.amdhsa_user_sgpr_flat_scratch_init 0
		.amdhsa_user_sgpr_kernarg_preload_length 0
		.amdhsa_user_sgpr_kernarg_preload_offset 0
		.amdhsa_user_sgpr_private_segment_size 0
		.amdhsa_uses_dynamic_stack 0
		.amdhsa_system_sgpr_private_segment_wavefront_offset 0
		.amdhsa_system_sgpr_workgroup_id_x 1
		.amdhsa_system_sgpr_workgroup_id_y 0
		.amdhsa_system_sgpr_workgroup_id_z 0
		.amdhsa_system_sgpr_workgroup_info 0
		.amdhsa_system_vgpr_workitem_id 1
		.amdhsa_next_free_vgpr 16
		.amdhsa_next_free_sgpr 24
		.amdhsa_accum_offset 16
		.amdhsa_reserve_vcc 1
		.amdhsa_reserve_flat_scratch 0
		.amdhsa_float_round_mode_32 0
		.amdhsa_float_round_mode_16_64 0
		.amdhsa_float_denorm_mode_32 3
		.amdhsa_float_denorm_mode_16_64 3
		.amdhsa_dx10_clamp 1
		.amdhsa_ieee_mode 1
		.amdhsa_fp16_overflow 0
		.amdhsa_tg_split 0
		.amdhsa_exception_fp_ieee_invalid_op 0
		.amdhsa_exception_fp_denorm_src 0
		.amdhsa_exception_fp_ieee_div_zero 0
		.amdhsa_exception_fp_ieee_overflow 0
		.amdhsa_exception_fp_ieee_underflow 0
		.amdhsa_exception_fp_ieee_inexact 0
		.amdhsa_exception_int_div_zero 0
	.end_amdhsa_kernel
	.section	.text._ZL28rocblas_dot_batched_4_kernelIlLi32ELi4ELb1EddPKfEviT5_lT_lS2_lS3_liPT4_,"axG",@progbits,_ZL28rocblas_dot_batched_4_kernelIlLi32ELi4ELb1EddPKfEviT5_lT_lS2_lS3_liPT4_,comdat
.Lfunc_end574:
	.size	_ZL28rocblas_dot_batched_4_kernelIlLi32ELi4ELb1EddPKfEviT5_lT_lS2_lS3_liPT4_, .Lfunc_end574-_ZL28rocblas_dot_batched_4_kernelIlLi32ELi4ELb1EddPKfEviT5_lT_lS2_lS3_liPT4_
                                        ; -- End function
	.section	.AMDGPU.csdata,"",@progbits
; Kernel info:
; codeLenInByte = 748
; NumSgprs: 28
; NumVgprs: 16
; NumAgprs: 0
; TotalNumVgprs: 16
; ScratchSize: 0
; MemoryBound: 0
; FloatMode: 240
; IeeeMode: 1
; LDSByteSize: 0 bytes/workgroup (compile time only)
; SGPRBlocks: 3
; VGPRBlocks: 1
; NumSGPRsForWavesPerEU: 28
; NumVGPRsForWavesPerEU: 16
; AccumOffset: 16
; Occupancy: 8
; WaveLimiterHint : 0
; COMPUTE_PGM_RSRC2:SCRATCH_EN: 0
; COMPUTE_PGM_RSRC2:USER_SGPR: 6
; COMPUTE_PGM_RSRC2:TRAP_HANDLER: 0
; COMPUTE_PGM_RSRC2:TGID_X_EN: 1
; COMPUTE_PGM_RSRC2:TGID_Y_EN: 0
; COMPUTE_PGM_RSRC2:TGID_Z_EN: 0
; COMPUTE_PGM_RSRC2:TIDIG_COMP_CNT: 1
; COMPUTE_PGM_RSRC3_GFX90A:ACCUM_OFFSET: 3
; COMPUTE_PGM_RSRC3_GFX90A:TG_SPLIT: 0
	.section	.text._ZL28rocblas_dot_batched_4_kernelIlLi64ELi4ELb1EddPKfEviT5_lT_lS2_lS3_liPT4_,"axG",@progbits,_ZL28rocblas_dot_batched_4_kernelIlLi64ELi4ELb1EddPKfEviT5_lT_lS2_lS3_liPT4_,comdat
	.globl	_ZL28rocblas_dot_batched_4_kernelIlLi64ELi4ELb1EddPKfEviT5_lT_lS2_lS3_liPT4_ ; -- Begin function _ZL28rocblas_dot_batched_4_kernelIlLi64ELi4ELb1EddPKfEviT5_lT_lS2_lS3_liPT4_
	.p2align	8
	.type	_ZL28rocblas_dot_batched_4_kernelIlLi64ELi4ELb1EddPKfEviT5_lT_lS2_lS3_liPT4_,@function
_ZL28rocblas_dot_batched_4_kernelIlLi64ELi4ELb1EddPKfEviT5_lT_lS2_lS3_liPT4_: ; @_ZL28rocblas_dot_batched_4_kernelIlLi64ELi4ELb1EddPKfEviT5_lT_lS2_lS3_liPT4_
; %bb.0:
	s_load_dword s0, s[4:5], 0x48
	v_bfe_u32 v1, v0, 10, 10
	v_lshl_add_u32 v2, s6, 2, v1
	s_waitcnt lgkmcnt(0)
	v_cmp_gt_u32_e32 vcc, s0, v2
	s_and_saveexec_b64 s[0:1], vcc
	s_cbranch_execz .LBB575_7
; %bb.1:
	s_load_dword s16, s[4:5], 0x0
	s_load_dwordx2 s[0:1], s[4:5], 0x50
	v_and_b32_e32 v8, 0x3ff, v0
	v_mov_b32_e32 v3, 0
	v_pk_mov_b32 v[0:1], 0, 0
	s_waitcnt lgkmcnt(0)
	v_cmp_gt_i32_e32 vcc, s16, v8
	s_and_saveexec_b64 s[2:3], vcc
	s_cbranch_execz .LBB575_5
; %bb.2:
	s_load_dwordx4 s[20:23], s[4:5], 0x10
	s_load_dwordx2 s[6:7], s[4:5], 0x8
	s_load_dwordx8 s[8:15], s[4:5], 0x20
	s_load_dwordx2 s[18:19], s[4:5], 0x40
	s_waitcnt lgkmcnt(0)
	v_mad_u64_u32 v[0:1], s[4:5], s22, v8, 0
	v_mov_b32_e32 v4, v1
	v_mad_u64_u32 v[4:5], s[4:5], s23, v8, v[4:5]
	v_mov_b32_e32 v1, v4
	;; [unrolled: 2-line block ×4, first 2 shown]
	v_lshlrev_b64 v[0:1], 2, v[0:1]
	v_lshlrev_b64 v[4:5], 2, v[4:5]
	s_lshl_b64 s[4:5], s[20:21], 2
	v_add_co_u32_e32 v0, vcc, v0, v4
	s_add_u32 s4, s6, s4
	v_addc_co_u32_e32 v1, vcc, v1, v5, vcc
	s_addc_u32 s5, s7, s5
	v_mov_b32_e32 v5, s5
	v_add_co_u32_e32 v4, vcc, s4, v0
	v_addc_co_u32_e32 v5, vcc, v5, v1, vcc
	v_mad_u64_u32 v[0:1], s[6:7], s14, v8, 0
	v_mov_b32_e32 v6, v1
	v_mad_u64_u32 v[6:7], s[6:7], s15, v8, v[6:7]
	v_mov_b32_e32 v1, v6
	;; [unrolled: 2-line block ×4, first 2 shown]
	s_lshl_b64 s[4:5], s[22:23], 8
	v_lshlrev_b64 v[0:1], 2, v[0:1]
	v_lshlrev_b64 v[6:7], 2, v[6:7]
	s_lshl_b64 s[6:7], s[12:13], 2
	v_add_co_u32_e32 v0, vcc, v0, v6
	s_add_u32 s6, s10, s6
	v_addc_co_u32_e32 v1, vcc, v1, v7, vcc
	s_addc_u32 s7, s11, s7
	v_mov_b32_e32 v7, s7
	v_add_co_u32_e32 v6, vcc, s6, v0
	s_lshl_b64 s[8:9], s[14:15], 8
	v_addc_co_u32_e32 v7, vcc, v7, v1, vcc
	s_mov_b64 s[6:7], 0
	v_pk_mov_b32 v[0:1], 0, 0
	v_mov_b32_e32 v9, s5
	v_mov_b32_e32 v10, s9
	v_mov_b32_e32 v11, v8
.LBB575_3:                              ; =>This Inner Loop Header: Depth=1
	global_load_dword v12, v[4:5], off
	global_load_dword v14, v[6:7], off
	v_add_co_u32_e32 v4, vcc, s4, v4
	v_addc_co_u32_e32 v5, vcc, v5, v9, vcc
	v_add_co_u32_e32 v6, vcc, s8, v6
	v_add_u32_e32 v11, 64, v11
	v_addc_co_u32_e32 v7, vcc, v7, v10, vcc
	v_cmp_le_i32_e32 vcc, s16, v11
	s_or_b64 s[6:7], vcc, s[6:7]
	s_waitcnt vmcnt(1)
	v_cvt_f64_f32_e32 v[12:13], v12
	s_waitcnt vmcnt(0)
	v_cvt_f64_f32_e32 v[14:15], v14
	v_fmac_f64_e32 v[0:1], v[12:13], v[14:15]
	s_andn2_b64 exec, exec, s[6:7]
	s_cbranch_execnz .LBB575_3
; %bb.4:
	s_or_b64 exec, exec, s[6:7]
.LBB575_5:
	s_or_b64 exec, exec, s[2:3]
	v_mbcnt_lo_u32_b32 v4, -1, 0
	v_mbcnt_hi_u32_b32 v6, -1, v4
	v_and_b32_e32 v7, 63, v6
	v_cmp_gt_u32_e32 vcc, 32, v7
	v_cndmask_b32_e64 v4, 0, 1, vcc
	v_lshlrev_b32_e32 v4, 5, v4
	v_add_lshl_u32 v5, v4, v6, 2
	ds_bpermute_b32 v4, v5, v0
	ds_bpermute_b32 v5, v5, v1
	v_cmp_gt_u32_e32 vcc, 48, v7
	v_cndmask_b32_e64 v9, 0, 1, vcc
	v_cmp_gt_u32_e32 vcc, 56, v7
	s_waitcnt lgkmcnt(0)
	v_add_f64 v[0:1], v[0:1], v[4:5]
	v_lshlrev_b32_e32 v4, 4, v9
	v_add_lshl_u32 v5, v4, v6, 2
	ds_bpermute_b32 v4, v5, v0
	ds_bpermute_b32 v5, v5, v1
	s_barrier
	s_waitcnt lgkmcnt(0)
	v_add_f64 v[0:1], v[0:1], v[4:5]
	v_cndmask_b32_e64 v4, 0, 1, vcc
	v_lshlrev_b32_e32 v4, 3, v4
	v_add_lshl_u32 v5, v4, v6, 2
	ds_bpermute_b32 v4, v5, v0
	ds_bpermute_b32 v5, v5, v1
	v_cmp_gt_u32_e32 vcc, 60, v7
	s_waitcnt lgkmcnt(0)
	v_add_f64 v[0:1], v[0:1], v[4:5]
	v_cndmask_b32_e64 v4, 0, 1, vcc
	v_lshlrev_b32_e32 v4, 2, v4
	v_add_lshl_u32 v5, v4, v6, 2
	ds_bpermute_b32 v4, v5, v0
	ds_bpermute_b32 v5, v5, v1
	v_cmp_gt_u32_e32 vcc, 62, v7
	s_waitcnt lgkmcnt(0)
	v_add_f64 v[0:1], v[0:1], v[4:5]
	v_cndmask_b32_e64 v4, 0, 1, vcc
	v_lshlrev_b32_e32 v4, 1, v4
	v_add_lshl_u32 v5, v4, v6, 2
	ds_bpermute_b32 v4, v5, v0
	ds_bpermute_b32 v5, v5, v1
	v_cmp_ne_u32_e32 vcc, 63, v7
	s_waitcnt lgkmcnt(0)
	v_add_f64 v[0:1], v[0:1], v[4:5]
	v_addc_co_u32_e32 v4, vcc, 0, v6, vcc
	v_lshlrev_b32_e32 v5, 2, v4
	ds_bpermute_b32 v4, v5, v0
	ds_bpermute_b32 v5, v5, v1
	v_cmp_eq_u32_e32 vcc, 0, v8
	s_and_b64 exec, exec, vcc
	s_cbranch_execz .LBB575_7
; %bb.6:
	v_lshlrev_b64 v[2:3], 3, v[2:3]
	v_mov_b32_e32 v6, s1
	v_add_co_u32_e32 v2, vcc, s0, v2
	v_addc_co_u32_e32 v3, vcc, v6, v3, vcc
	s_waitcnt lgkmcnt(0)
	v_add_f64 v[0:1], v[0:1], v[4:5]
	global_store_dwordx2 v[2:3], v[0:1], off
.LBB575_7:
	s_endpgm
	.section	.rodata,"a",@progbits
	.p2align	6, 0x0
	.amdhsa_kernel _ZL28rocblas_dot_batched_4_kernelIlLi64ELi4ELb1EddPKfEviT5_lT_lS2_lS3_liPT4_
		.amdhsa_group_segment_fixed_size 0
		.amdhsa_private_segment_fixed_size 0
		.amdhsa_kernarg_size 88
		.amdhsa_user_sgpr_count 6
		.amdhsa_user_sgpr_private_segment_buffer 1
		.amdhsa_user_sgpr_dispatch_ptr 0
		.amdhsa_user_sgpr_queue_ptr 0
		.amdhsa_user_sgpr_kernarg_segment_ptr 1
		.amdhsa_user_sgpr_dispatch_id 0
		.amdhsa_user_sgpr_flat_scratch_init 0
		.amdhsa_user_sgpr_kernarg_preload_length 0
		.amdhsa_user_sgpr_kernarg_preload_offset 0
		.amdhsa_user_sgpr_private_segment_size 0
		.amdhsa_uses_dynamic_stack 0
		.amdhsa_system_sgpr_private_segment_wavefront_offset 0
		.amdhsa_system_sgpr_workgroup_id_x 1
		.amdhsa_system_sgpr_workgroup_id_y 0
		.amdhsa_system_sgpr_workgroup_id_z 0
		.amdhsa_system_sgpr_workgroup_info 0
		.amdhsa_system_vgpr_workitem_id 1
		.amdhsa_next_free_vgpr 16
		.amdhsa_next_free_sgpr 24
		.amdhsa_accum_offset 16
		.amdhsa_reserve_vcc 1
		.amdhsa_reserve_flat_scratch 0
		.amdhsa_float_round_mode_32 0
		.amdhsa_float_round_mode_16_64 0
		.amdhsa_float_denorm_mode_32 3
		.amdhsa_float_denorm_mode_16_64 3
		.amdhsa_dx10_clamp 1
		.amdhsa_ieee_mode 1
		.amdhsa_fp16_overflow 0
		.amdhsa_tg_split 0
		.amdhsa_exception_fp_ieee_invalid_op 0
		.amdhsa_exception_fp_denorm_src 0
		.amdhsa_exception_fp_ieee_div_zero 0
		.amdhsa_exception_fp_ieee_overflow 0
		.amdhsa_exception_fp_ieee_underflow 0
		.amdhsa_exception_fp_ieee_inexact 0
		.amdhsa_exception_int_div_zero 0
	.end_amdhsa_kernel
	.section	.text._ZL28rocblas_dot_batched_4_kernelIlLi64ELi4ELb1EddPKfEviT5_lT_lS2_lS3_liPT4_,"axG",@progbits,_ZL28rocblas_dot_batched_4_kernelIlLi64ELi4ELb1EddPKfEviT5_lT_lS2_lS3_liPT4_,comdat
.Lfunc_end575:
	.size	_ZL28rocblas_dot_batched_4_kernelIlLi64ELi4ELb1EddPKfEviT5_lT_lS2_lS3_liPT4_, .Lfunc_end575-_ZL28rocblas_dot_batched_4_kernelIlLi64ELi4ELb1EddPKfEviT5_lT_lS2_lS3_liPT4_
                                        ; -- End function
	.section	.AMDGPU.csdata,"",@progbits
; Kernel info:
; codeLenInByte = 800
; NumSgprs: 28
; NumVgprs: 16
; NumAgprs: 0
; TotalNumVgprs: 16
; ScratchSize: 0
; MemoryBound: 0
; FloatMode: 240
; IeeeMode: 1
; LDSByteSize: 0 bytes/workgroup (compile time only)
; SGPRBlocks: 3
; VGPRBlocks: 1
; NumSGPRsForWavesPerEU: 28
; NumVGPRsForWavesPerEU: 16
; AccumOffset: 16
; Occupancy: 8
; WaveLimiterHint : 0
; COMPUTE_PGM_RSRC2:SCRATCH_EN: 0
; COMPUTE_PGM_RSRC2:USER_SGPR: 6
; COMPUTE_PGM_RSRC2:TRAP_HANDLER: 0
; COMPUTE_PGM_RSRC2:TGID_X_EN: 1
; COMPUTE_PGM_RSRC2:TGID_Y_EN: 0
; COMPUTE_PGM_RSRC2:TGID_Z_EN: 0
; COMPUTE_PGM_RSRC2:TIDIG_COMP_CNT: 1
; COMPUTE_PGM_RSRC3_GFX90A:ACCUM_OFFSET: 3
; COMPUTE_PGM_RSRC3_GFX90A:TG_SPLIT: 0
	.section	.text._ZL18rocblas_dot_kernelIlLb1ELi1024ELi32ELb1EdPKfdEviT5_lT_lS2_lS3_liPT6_PT4_,"axG",@progbits,_ZL18rocblas_dot_kernelIlLb1ELi1024ELi32ELb1EdPKfdEviT5_lT_lS2_lS3_liPT6_PT4_,comdat
	.globl	_ZL18rocblas_dot_kernelIlLb1ELi1024ELi32ELb1EdPKfdEviT5_lT_lS2_lS3_liPT6_PT4_ ; -- Begin function _ZL18rocblas_dot_kernelIlLb1ELi1024ELi32ELb1EdPKfdEviT5_lT_lS2_lS3_liPT6_PT4_
	.p2align	8
	.type	_ZL18rocblas_dot_kernelIlLb1ELi1024ELi32ELb1EdPKfdEviT5_lT_lS2_lS3_liPT6_PT4_,@function
_ZL18rocblas_dot_kernelIlLb1ELi1024ELi32ELb1EdPKfdEviT5_lT_lS2_lS3_liPT6_PT4_: ; @_ZL18rocblas_dot_kernelIlLb1ELi1024ELi32ELb1EdPKfdEviT5_lT_lS2_lS3_liPT6_PT4_
; %bb.0:
	s_mov_b32 s2, s7
	s_load_dword s18, s[4:5], 0x0
	s_load_dwordx2 s[6:7], s[4:5], 0x58
	s_mov_b32 s3, 0
	v_pk_mov_b32 v[2:3], 0, 0
	s_waitcnt lgkmcnt(0)
	v_cmp_gt_i32_e32 vcc, s18, v0
	s_and_saveexec_b64 s[16:17], vcc
	s_cbranch_execz .LBB576_4
; %bb.1:
	s_load_dword s19, s[4:5], 0x60
	s_load_dwordx2 s[0:1], s[4:5], 0x40
	s_load_dwordx8 s[8:15], s[4:5], 0x20
	s_load_dwordx2 s[24:25], s[4:5], 0x8
	s_load_dwordx4 s[20:23], s[4:5], 0x10
	s_waitcnt lgkmcnt(0)
	s_lshl_b32 s19, s19, 10
	s_mul_i32 s1, s1, s2
	s_mul_i32 s4, s9, s2
	s_mul_hi_u32 s5, s8, s2
	s_add_i32 s5, s5, s4
	s_mul_i32 s4, s8, s2
	v_mad_u64_u32 v[2:3], s[8:9], s22, v0, 0
	v_mov_b32_e32 v4, v3
	v_mad_u64_u32 v[4:5], s[8:9], s23, v0, v[4:5]
	s_lshl_b64 s[4:5], s[4:5], 2
	s_lshl_b64 s[8:9], s[20:21], 2
	s_add_u32 s8, s24, s8
	s_addc_u32 s9, s25, s9
	v_mov_b32_e32 v3, v4
	s_add_u32 s4, s8, s4
	v_lshlrev_b64 v[2:3], 2, v[2:3]
	s_addc_u32 s5, s9, s5
	v_mov_b32_e32 v5, s5
	v_add_co_u32_e32 v4, vcc, s4, v2
	s_ashr_i32 s20, s19, 31
	s_mul_hi_u32 s8, s0, s2
	v_addc_co_u32_e32 v5, vcc, v5, v3, vcc
	s_mul_i32 s4, s22, s20
	s_mul_hi_u32 s5, s22, s19
	s_add_i32 s1, s8, s1
	v_mad_u64_u32 v[2:3], s[8:9], s14, v0, 0
	s_add_i32 s4, s5, s4
	s_mul_i32 s5, s23, s19
	v_mov_b32_e32 v6, v3
	s_add_i32 s5, s4, s5
	s_mul_i32 s4, s22, s19
	s_mul_i32 s0, s0, s2
	v_mad_u64_u32 v[6:7], s[8:9], s15, v0, v[6:7]
	s_lshl_b64 s[4:5], s[4:5], 2
	s_lshl_b64 s[0:1], s[0:1], 2
	;; [unrolled: 1-line block ×3, first 2 shown]
	s_add_u32 s8, s10, s8
	s_addc_u32 s9, s11, s9
	v_mov_b32_e32 v3, v6
	s_add_u32 s0, s8, s0
	v_lshlrev_b64 v[2:3], 2, v[2:3]
	s_addc_u32 s1, s9, s1
	v_mov_b32_e32 v7, s1
	v_add_co_u32_e32 v6, vcc, s0, v2
	s_mul_i32 s0, s14, s20
	s_mul_hi_u32 s1, s14, s19
	s_add_i32 s0, s1, s0
	s_mul_i32 s1, s15, s19
	s_add_i32 s1, s0, s1
	s_mul_i32 s0, s14, s19
	s_lshl_b64 s[10:11], s[0:1], 2
	v_or_b32_e32 v1, s19, v0
	v_addc_co_u32_e32 v7, vcc, v7, v3, vcc
	s_mov_b64 s[8:9], 0
	v_pk_mov_b32 v[2:3], 0, 0
	v_mov_b32_e32 v8, s5
	v_mov_b32_e32 v9, s11
	s_mov_b32 s5, s3
.LBB576_2:                              ; =>This Inner Loop Header: Depth=1
	global_load_dword v10, v[6:7], off
	global_load_dword v12, v[4:5], off
	v_add_co_u32_e64 v4, s[0:1], s4, v4
	v_addc_co_u32_e64 v5, s[0:1], v5, v8, s[0:1]
	s_add_i32 s11, s5, 1
	v_add_co_u32_e64 v6, s[0:1], s10, v6
	v_addc_co_u32_e64 v7, s[0:1], v7, v9, s[0:1]
	s_cmp_gt_u32 s5, 30
	v_cmp_le_i32_e32 vcc, s18, v1
	s_cselect_b64 s[0:1], -1, 0
	s_or_b64 s[0:1], s[0:1], vcc
	s_and_b64 s[0:1], exec, s[0:1]
	v_add_u32_e32 v1, s19, v1
	s_mov_b32 s5, s11
	s_or_b64 s[8:9], s[0:1], s[8:9]
	s_waitcnt vmcnt(1)
	v_cvt_f64_f32_e32 v[10:11], v10
	s_waitcnt vmcnt(0)
	v_cvt_f64_f32_e32 v[12:13], v12
	v_fmac_f64_e32 v[2:3], v[10:11], v[12:13]
	s_andn2_b64 exec, exec, s[8:9]
	s_cbranch_execnz .LBB576_2
; %bb.3:
	s_or_b64 exec, exec, s[8:9]
.LBB576_4:
	s_or_b64 exec, exec, s[16:17]
	v_and_b32_e32 v6, 63, v0
	v_cmp_gt_u32_e32 vcc, 64, v0
	v_lshlrev_b32_e32 v1, 3, v6
	s_and_saveexec_b64 s[0:1], vcc
	s_cbranch_execz .LBB576_6
; %bb.5:
	v_mov_b32_e32 v4, 0
	v_mov_b32_e32 v5, v4
	ds_write_b64 v1, v[4:5]
.LBB576_6:
	s_or_b64 exec, exec, s[0:1]
	v_mbcnt_lo_u32_b32 v4, -1, 0
	v_mbcnt_hi_u32_b32 v10, -1, v4
	v_and_b32_e32 v11, 63, v10
	v_cmp_gt_u32_e64 s[0:1], 32, v11
	v_cndmask_b32_e64 v4, 0, 1, s[0:1]
	v_lshlrev_b32_e32 v4, 5, v4
	v_add_lshl_u32 v5, v4, v10, 2
	ds_bpermute_b32 v4, v5, v2
	ds_bpermute_b32 v5, v5, v3
	v_cmp_gt_u32_e64 s[0:1], 48, v11
	v_cndmask_b32_e64 v7, 0, 1, s[0:1]
	v_cmp_gt_u32_e64 s[0:1], 56, v11
	s_waitcnt lgkmcnt(0)
	v_add_f64 v[2:3], v[2:3], v[4:5]
	v_lshlrev_b32_e32 v4, 4, v7
	v_add_lshl_u32 v5, v4, v10, 2
	ds_bpermute_b32 v4, v5, v2
	ds_bpermute_b32 v5, v5, v3
	s_barrier
	s_waitcnt lgkmcnt(0)
	v_add_f64 v[2:3], v[2:3], v[4:5]
	v_cndmask_b32_e64 v4, 0, 1, s[0:1]
	v_lshlrev_b32_e32 v4, 3, v4
	v_add_lshl_u32 v7, v4, v10, 2
	ds_bpermute_b32 v4, v7, v2
	ds_bpermute_b32 v5, v7, v3
	v_cmp_gt_u32_e64 s[0:1], 60, v11
	s_waitcnt lgkmcnt(0)
	v_add_f64 v[2:3], v[2:3], v[4:5]
	v_cndmask_b32_e64 v4, 0, 1, s[0:1]
	v_lshlrev_b32_e32 v4, 2, v4
	v_add_lshl_u32 v8, v4, v10, 2
	ds_bpermute_b32 v4, v8, v2
	ds_bpermute_b32 v5, v8, v3
	v_cmp_gt_u32_e64 s[0:1], 62, v11
	s_waitcnt lgkmcnt(0)
	v_add_f64 v[2:3], v[2:3], v[4:5]
	v_cndmask_b32_e64 v4, 0, 1, s[0:1]
	v_lshlrev_b32_e32 v4, 1, v4
	v_add_lshl_u32 v9, v4, v10, 2
	ds_bpermute_b32 v4, v9, v2
	ds_bpermute_b32 v5, v9, v3
	v_cmp_ne_u32_e64 s[0:1], 63, v11
	s_waitcnt lgkmcnt(0)
	v_add_f64 v[2:3], v[2:3], v[4:5]
	v_addc_co_u32_e64 v4, s[0:1], 0, v10, s[0:1]
	v_lshlrev_b32_e32 v10, 2, v4
	ds_bpermute_b32 v4, v10, v2
	ds_bpermute_b32 v5, v10, v3
	v_cmp_eq_u32_e64 s[0:1], 0, v6
	s_and_saveexec_b64 s[4:5], s[0:1]
	s_cbranch_execz .LBB576_8
; %bb.7:
	s_waitcnt lgkmcnt(0)
	v_add_f64 v[2:3], v[2:3], v[4:5]
	v_lshrrev_b32_e32 v4, 3, v0
	v_and_b32_e32 v4, 0x78, v4
	ds_write_b64 v4, v[2:3]
.LBB576_8:
	s_or_b64 exec, exec, s[4:5]
	v_cmp_gt_u32_e64 s[0:1], 16, v0
	v_pk_mov_b32 v[2:3], 0, 0
	s_waitcnt lgkmcnt(0)
	s_barrier
	s_and_saveexec_b64 s[4:5], s[0:1]
	s_cbranch_execnz .LBB576_12
; %bb.9:
	s_or_b64 exec, exec, s[4:5]
	s_and_saveexec_b64 s[0:1], vcc
	s_cbranch_execnz .LBB576_13
.LBB576_10:
	s_or_b64 exec, exec, s[0:1]
	v_cmp_eq_u32_e32 vcc, 0, v0
	s_and_saveexec_b64 s[0:1], vcc
	s_cbranch_execnz .LBB576_14
.LBB576_11:
	s_endpgm
.LBB576_12:
	ds_read_b64 v[2:3], v1
	s_or_b64 exec, exec, s[4:5]
	s_and_saveexec_b64 s[0:1], vcc
	s_cbranch_execz .LBB576_10
.LBB576_13:
	s_waitcnt lgkmcnt(0)
	ds_bpermute_b32 v4, v7, v2
	ds_bpermute_b32 v5, v7, v3
	s_waitcnt lgkmcnt(0)
	v_add_f64 v[2:3], v[2:3], v[4:5]
	ds_bpermute_b32 v4, v8, v2
	ds_bpermute_b32 v5, v8, v3
	s_waitcnt lgkmcnt(0)
	v_add_f64 v[2:3], v[2:3], v[4:5]
	ds_bpermute_b32 v4, v9, v2
	ds_bpermute_b32 v5, v9, v3
	s_waitcnt lgkmcnt(0)
	v_add_f64 v[2:3], v[2:3], v[4:5]
	ds_bpermute_b32 v4, v10, v2
	ds_bpermute_b32 v5, v10, v3
	s_waitcnt lgkmcnt(0)
	v_add_f64 v[2:3], v[2:3], v[4:5]
	s_or_b64 exec, exec, s[0:1]
	v_cmp_eq_u32_e32 vcc, 0, v0
	s_and_saveexec_b64 s[0:1], vcc
	s_cbranch_execz .LBB576_11
.LBB576_14:
	s_lshl_b64 s[0:1], s[2:3], 3
	s_add_u32 s0, s6, s0
	s_addc_u32 s1, s7, s1
	v_mov_b32_e32 v0, 0
	s_waitcnt lgkmcnt(0)
	global_store_dwordx2 v0, v[2:3], s[0:1]
	s_endpgm
	.section	.rodata,"a",@progbits
	.p2align	6, 0x0
	.amdhsa_kernel _ZL18rocblas_dot_kernelIlLb1ELi1024ELi32ELb1EdPKfdEviT5_lT_lS2_lS3_liPT6_PT4_
		.amdhsa_group_segment_fixed_size 512
		.amdhsa_private_segment_fixed_size 0
		.amdhsa_kernarg_size 352
		.amdhsa_user_sgpr_count 6
		.amdhsa_user_sgpr_private_segment_buffer 1
		.amdhsa_user_sgpr_dispatch_ptr 0
		.amdhsa_user_sgpr_queue_ptr 0
		.amdhsa_user_sgpr_kernarg_segment_ptr 1
		.amdhsa_user_sgpr_dispatch_id 0
		.amdhsa_user_sgpr_flat_scratch_init 0
		.amdhsa_user_sgpr_kernarg_preload_length 0
		.amdhsa_user_sgpr_kernarg_preload_offset 0
		.amdhsa_user_sgpr_private_segment_size 0
		.amdhsa_uses_dynamic_stack 0
		.amdhsa_system_sgpr_private_segment_wavefront_offset 0
		.amdhsa_system_sgpr_workgroup_id_x 1
		.amdhsa_system_sgpr_workgroup_id_y 0
		.amdhsa_system_sgpr_workgroup_id_z 1
		.amdhsa_system_sgpr_workgroup_info 0
		.amdhsa_system_vgpr_workitem_id 0
		.amdhsa_next_free_vgpr 14
		.amdhsa_next_free_sgpr 26
		.amdhsa_accum_offset 16
		.amdhsa_reserve_vcc 1
		.amdhsa_reserve_flat_scratch 0
		.amdhsa_float_round_mode_32 0
		.amdhsa_float_round_mode_16_64 0
		.amdhsa_float_denorm_mode_32 3
		.amdhsa_float_denorm_mode_16_64 3
		.amdhsa_dx10_clamp 1
		.amdhsa_ieee_mode 1
		.amdhsa_fp16_overflow 0
		.amdhsa_tg_split 0
		.amdhsa_exception_fp_ieee_invalid_op 0
		.amdhsa_exception_fp_denorm_src 0
		.amdhsa_exception_fp_ieee_div_zero 0
		.amdhsa_exception_fp_ieee_overflow 0
		.amdhsa_exception_fp_ieee_underflow 0
		.amdhsa_exception_fp_ieee_inexact 0
		.amdhsa_exception_int_div_zero 0
	.end_amdhsa_kernel
	.section	.text._ZL18rocblas_dot_kernelIlLb1ELi1024ELi32ELb1EdPKfdEviT5_lT_lS2_lS3_liPT6_PT4_,"axG",@progbits,_ZL18rocblas_dot_kernelIlLb1ELi1024ELi32ELb1EdPKfdEviT5_lT_lS2_lS3_liPT6_PT4_,comdat
.Lfunc_end576:
	.size	_ZL18rocblas_dot_kernelIlLb1ELi1024ELi32ELb1EdPKfdEviT5_lT_lS2_lS3_liPT6_PT4_, .Lfunc_end576-_ZL18rocblas_dot_kernelIlLb1ELi1024ELi32ELb1EdPKfdEviT5_lT_lS2_lS3_liPT6_PT4_
                                        ; -- End function
	.section	.AMDGPU.csdata,"",@progbits
; Kernel info:
; codeLenInByte = 1152
; NumSgprs: 30
; NumVgprs: 14
; NumAgprs: 0
; TotalNumVgprs: 14
; ScratchSize: 0
; MemoryBound: 0
; FloatMode: 240
; IeeeMode: 1
; LDSByteSize: 512 bytes/workgroup (compile time only)
; SGPRBlocks: 3
; VGPRBlocks: 1
; NumSGPRsForWavesPerEU: 30
; NumVGPRsForWavesPerEU: 14
; AccumOffset: 16
; Occupancy: 8
; WaveLimiterHint : 0
; COMPUTE_PGM_RSRC2:SCRATCH_EN: 0
; COMPUTE_PGM_RSRC2:USER_SGPR: 6
; COMPUTE_PGM_RSRC2:TRAP_HANDLER: 0
; COMPUTE_PGM_RSRC2:TGID_X_EN: 1
; COMPUTE_PGM_RSRC2:TGID_Y_EN: 0
; COMPUTE_PGM_RSRC2:TGID_Z_EN: 1
; COMPUTE_PGM_RSRC2:TIDIG_COMP_CNT: 0
; COMPUTE_PGM_RSRC3_GFX90A:ACCUM_OFFSET: 3
; COMPUTE_PGM_RSRC3_GFX90A:TG_SPLIT: 0
	.section	.text._ZL24rocblas_dot_kernel_magsqIlLb1ELi1024ELi32ELb1EdPKfdEviT5_lT_liPT6_PT4_,"axG",@progbits,_ZL24rocblas_dot_kernel_magsqIlLb1ELi1024ELi32ELb1EdPKfdEviT5_lT_liPT6_PT4_,comdat
	.globl	_ZL24rocblas_dot_kernel_magsqIlLb1ELi1024ELi32ELb1EdPKfdEviT5_lT_liPT6_PT4_ ; -- Begin function _ZL24rocblas_dot_kernel_magsqIlLb1ELi1024ELi32ELb1EdPKfdEviT5_lT_liPT6_PT4_
	.p2align	8
	.type	_ZL24rocblas_dot_kernel_magsqIlLb1ELi1024ELi32ELb1EdPKfdEviT5_lT_liPT6_PT4_,@function
_ZL24rocblas_dot_kernel_magsqIlLb1ELi1024ELi32ELb1EdPKfdEviT5_lT_liPT6_PT4_: ; @_ZL24rocblas_dot_kernel_magsqIlLb1ELi1024ELi32ELb1EdPKfdEviT5_lT_liPT6_PT4_
; %bb.0:
	s_mov_b32 s2, s7
	s_load_dword s12, s[4:5], 0x0
	s_load_dwordx2 s[6:7], s[4:5], 0x38
	s_mov_b32 s3, 0
	v_pk_mov_b32 v[2:3], 0, 0
	s_waitcnt lgkmcnt(0)
	v_cmp_gt_i32_e32 vcc, s12, v0
	s_and_saveexec_b64 s[8:9], vcc
	s_cbranch_execz .LBB577_4
; %bb.1:
	s_load_dword s13, s[4:5], 0x40
	s_load_dwordx2 s[0:1], s[4:5], 0x20
	s_load_dwordx2 s[10:11], s[4:5], 0x8
	s_load_dwordx4 s[16:19], s[4:5], 0x10
	s_waitcnt lgkmcnt(0)
	s_lshl_b32 s13, s13, 10
	s_mul_i32 s1, s1, s2
	s_mul_hi_u32 s4, s0, s2
	s_add_i32 s1, s4, s1
	v_mad_u64_u32 v[2:3], s[4:5], s18, v0, 0
	v_mov_b32_e32 v4, v3
	s_mul_i32 s0, s0, s2
	v_mad_u64_u32 v[4:5], s[4:5], s19, v0, v[4:5]
	s_lshl_b64 s[0:1], s[0:1], 2
	s_lshl_b64 s[4:5], s[16:17], 2
	s_add_u32 s4, s10, s4
	v_mov_b32_e32 v3, v4
	s_addc_u32 s5, s11, s5
	v_lshlrev_b64 v[2:3], 2, v[2:3]
	s_add_u32 s0, s4, s0
	s_addc_u32 s1, s5, s1
	v_add_co_u32_e32 v4, vcc, s0, v2
	s_ashr_i32 s0, s13, 31
	v_mov_b32_e32 v5, s1
	s_mul_i32 s0, s18, s0
	s_mul_hi_u32 s1, s18, s13
	s_add_i32 s0, s1, s0
	s_mul_i32 s1, s19, s13
	s_add_i32 s1, s0, s1
	s_mul_i32 s0, s18, s13
	s_lshl_b64 s[10:11], s[0:1], 2
	v_or_b32_e32 v1, s13, v0
	v_addc_co_u32_e32 v5, vcc, v5, v3, vcc
	s_mov_b64 s[4:5], 0
	v_pk_mov_b32 v[2:3], 0, 0
	v_mov_b32_e32 v6, s11
	s_mov_b32 s11, s3
.LBB577_2:                              ; =>This Inner Loop Header: Depth=1
	global_load_dword v7, v[4:5], off
	s_add_i32 s14, s11, 1
	v_add_co_u32_e64 v4, s[0:1], s10, v4
	v_addc_co_u32_e64 v5, s[0:1], v5, v6, s[0:1]
	s_cmp_gt_u32 s11, 30
	v_cmp_le_i32_e32 vcc, s12, v1
	s_cselect_b64 s[0:1], -1, 0
	s_or_b64 s[0:1], s[0:1], vcc
	s_and_b64 s[0:1], exec, s[0:1]
	v_add_u32_e32 v1, s13, v1
	s_mov_b32 s11, s14
	s_or_b64 s[4:5], s[0:1], s[4:5]
	s_waitcnt vmcnt(0)
	v_cvt_f64_f32_e32 v[8:9], v7
	v_fmac_f64_e32 v[2:3], v[8:9], v[8:9]
	s_andn2_b64 exec, exec, s[4:5]
	s_cbranch_execnz .LBB577_2
; %bb.3:
	s_or_b64 exec, exec, s[4:5]
.LBB577_4:
	s_or_b64 exec, exec, s[8:9]
	v_and_b32_e32 v6, 63, v0
	v_cmp_gt_u32_e32 vcc, 64, v0
	v_lshlrev_b32_e32 v1, 3, v6
	s_and_saveexec_b64 s[0:1], vcc
	s_cbranch_execz .LBB577_6
; %bb.5:
	v_mov_b32_e32 v4, 0
	v_mov_b32_e32 v5, v4
	ds_write_b64 v1, v[4:5]
.LBB577_6:
	s_or_b64 exec, exec, s[0:1]
	v_mbcnt_lo_u32_b32 v4, -1, 0
	v_mbcnt_hi_u32_b32 v10, -1, v4
	v_and_b32_e32 v11, 63, v10
	v_cmp_gt_u32_e64 s[0:1], 32, v11
	v_cndmask_b32_e64 v4, 0, 1, s[0:1]
	v_lshlrev_b32_e32 v4, 5, v4
	v_add_lshl_u32 v5, v4, v10, 2
	ds_bpermute_b32 v4, v5, v2
	ds_bpermute_b32 v5, v5, v3
	v_cmp_gt_u32_e64 s[0:1], 48, v11
	v_cndmask_b32_e64 v7, 0, 1, s[0:1]
	v_cmp_gt_u32_e64 s[0:1], 56, v11
	s_waitcnt lgkmcnt(0)
	v_add_f64 v[2:3], v[2:3], v[4:5]
	v_lshlrev_b32_e32 v4, 4, v7
	v_add_lshl_u32 v5, v4, v10, 2
	ds_bpermute_b32 v4, v5, v2
	ds_bpermute_b32 v5, v5, v3
	s_barrier
	s_waitcnt lgkmcnt(0)
	v_add_f64 v[2:3], v[2:3], v[4:5]
	v_cndmask_b32_e64 v4, 0, 1, s[0:1]
	v_lshlrev_b32_e32 v4, 3, v4
	v_add_lshl_u32 v7, v4, v10, 2
	ds_bpermute_b32 v4, v7, v2
	ds_bpermute_b32 v5, v7, v3
	v_cmp_gt_u32_e64 s[0:1], 60, v11
	s_waitcnt lgkmcnt(0)
	v_add_f64 v[2:3], v[2:3], v[4:5]
	v_cndmask_b32_e64 v4, 0, 1, s[0:1]
	v_lshlrev_b32_e32 v4, 2, v4
	v_add_lshl_u32 v8, v4, v10, 2
	ds_bpermute_b32 v4, v8, v2
	ds_bpermute_b32 v5, v8, v3
	v_cmp_gt_u32_e64 s[0:1], 62, v11
	s_waitcnt lgkmcnt(0)
	v_add_f64 v[2:3], v[2:3], v[4:5]
	v_cndmask_b32_e64 v4, 0, 1, s[0:1]
	v_lshlrev_b32_e32 v4, 1, v4
	v_add_lshl_u32 v9, v4, v10, 2
	ds_bpermute_b32 v4, v9, v2
	ds_bpermute_b32 v5, v9, v3
	v_cmp_ne_u32_e64 s[0:1], 63, v11
	s_waitcnt lgkmcnt(0)
	v_add_f64 v[2:3], v[2:3], v[4:5]
	v_addc_co_u32_e64 v4, s[0:1], 0, v10, s[0:1]
	v_lshlrev_b32_e32 v10, 2, v4
	ds_bpermute_b32 v4, v10, v2
	ds_bpermute_b32 v5, v10, v3
	v_cmp_eq_u32_e64 s[0:1], 0, v6
	s_and_saveexec_b64 s[4:5], s[0:1]
	s_cbranch_execz .LBB577_8
; %bb.7:
	s_waitcnt lgkmcnt(0)
	v_add_f64 v[2:3], v[2:3], v[4:5]
	v_lshrrev_b32_e32 v4, 3, v0
	v_and_b32_e32 v4, 0x78, v4
	ds_write_b64 v4, v[2:3]
.LBB577_8:
	s_or_b64 exec, exec, s[4:5]
	v_cmp_gt_u32_e64 s[0:1], 16, v0
	v_pk_mov_b32 v[2:3], 0, 0
	s_waitcnt lgkmcnt(0)
	s_barrier
	s_and_saveexec_b64 s[4:5], s[0:1]
	s_cbranch_execnz .LBB577_12
; %bb.9:
	s_or_b64 exec, exec, s[4:5]
	s_and_saveexec_b64 s[0:1], vcc
	s_cbranch_execnz .LBB577_13
.LBB577_10:
	s_or_b64 exec, exec, s[0:1]
	v_cmp_eq_u32_e32 vcc, 0, v0
	s_and_saveexec_b64 s[0:1], vcc
	s_cbranch_execnz .LBB577_14
.LBB577_11:
	s_endpgm
.LBB577_12:
	ds_read_b64 v[2:3], v1
	s_or_b64 exec, exec, s[4:5]
	s_and_saveexec_b64 s[0:1], vcc
	s_cbranch_execz .LBB577_10
.LBB577_13:
	s_waitcnt lgkmcnt(0)
	ds_bpermute_b32 v4, v7, v2
	ds_bpermute_b32 v5, v7, v3
	s_waitcnt lgkmcnt(0)
	v_add_f64 v[2:3], v[2:3], v[4:5]
	ds_bpermute_b32 v4, v8, v2
	ds_bpermute_b32 v5, v8, v3
	s_waitcnt lgkmcnt(0)
	v_add_f64 v[2:3], v[2:3], v[4:5]
	;; [unrolled: 4-line block ×4, first 2 shown]
	s_or_b64 exec, exec, s[0:1]
	v_cmp_eq_u32_e32 vcc, 0, v0
	s_and_saveexec_b64 s[0:1], vcc
	s_cbranch_execz .LBB577_11
.LBB577_14:
	s_lshl_b64 s[0:1], s[2:3], 3
	s_add_u32 s0, s6, s0
	s_addc_u32 s1, s7, s1
	v_mov_b32_e32 v0, 0
	s_waitcnt lgkmcnt(0)
	global_store_dwordx2 v0, v[2:3], s[0:1]
	s_endpgm
	.section	.rodata,"a",@progbits
	.p2align	6, 0x0
	.amdhsa_kernel _ZL24rocblas_dot_kernel_magsqIlLb1ELi1024ELi32ELb1EdPKfdEviT5_lT_liPT6_PT4_
		.amdhsa_group_segment_fixed_size 512
		.amdhsa_private_segment_fixed_size 0
		.amdhsa_kernarg_size 320
		.amdhsa_user_sgpr_count 6
		.amdhsa_user_sgpr_private_segment_buffer 1
		.amdhsa_user_sgpr_dispatch_ptr 0
		.amdhsa_user_sgpr_queue_ptr 0
		.amdhsa_user_sgpr_kernarg_segment_ptr 1
		.amdhsa_user_sgpr_dispatch_id 0
		.amdhsa_user_sgpr_flat_scratch_init 0
		.amdhsa_user_sgpr_kernarg_preload_length 0
		.amdhsa_user_sgpr_kernarg_preload_offset 0
		.amdhsa_user_sgpr_private_segment_size 0
		.amdhsa_uses_dynamic_stack 0
		.amdhsa_system_sgpr_private_segment_wavefront_offset 0
		.amdhsa_system_sgpr_workgroup_id_x 1
		.amdhsa_system_sgpr_workgroup_id_y 0
		.amdhsa_system_sgpr_workgroup_id_z 1
		.amdhsa_system_sgpr_workgroup_info 0
		.amdhsa_system_vgpr_workitem_id 0
		.amdhsa_next_free_vgpr 12
		.amdhsa_next_free_sgpr 20
		.amdhsa_accum_offset 12
		.amdhsa_reserve_vcc 1
		.amdhsa_reserve_flat_scratch 0
		.amdhsa_float_round_mode_32 0
		.amdhsa_float_round_mode_16_64 0
		.amdhsa_float_denorm_mode_32 3
		.amdhsa_float_denorm_mode_16_64 3
		.amdhsa_dx10_clamp 1
		.amdhsa_ieee_mode 1
		.amdhsa_fp16_overflow 0
		.amdhsa_tg_split 0
		.amdhsa_exception_fp_ieee_invalid_op 0
		.amdhsa_exception_fp_denorm_src 0
		.amdhsa_exception_fp_ieee_div_zero 0
		.amdhsa_exception_fp_ieee_overflow 0
		.amdhsa_exception_fp_ieee_underflow 0
		.amdhsa_exception_fp_ieee_inexact 0
		.amdhsa_exception_int_div_zero 0
	.end_amdhsa_kernel
	.section	.text._ZL24rocblas_dot_kernel_magsqIlLb1ELi1024ELi32ELb1EdPKfdEviT5_lT_liPT6_PT4_,"axG",@progbits,_ZL24rocblas_dot_kernel_magsqIlLb1ELi1024ELi32ELb1EdPKfdEviT5_lT_liPT6_PT4_,comdat
.Lfunc_end577:
	.size	_ZL24rocblas_dot_kernel_magsqIlLb1ELi1024ELi32ELb1EdPKfdEviT5_lT_liPT6_PT4_, .Lfunc_end577-_ZL24rocblas_dot_kernel_magsqIlLb1ELi1024ELi32ELb1EdPKfdEviT5_lT_liPT6_PT4_
                                        ; -- End function
	.section	.AMDGPU.csdata,"",@progbits
; Kernel info:
; codeLenInByte = 996
; NumSgprs: 24
; NumVgprs: 12
; NumAgprs: 0
; TotalNumVgprs: 12
; ScratchSize: 0
; MemoryBound: 0
; FloatMode: 240
; IeeeMode: 1
; LDSByteSize: 512 bytes/workgroup (compile time only)
; SGPRBlocks: 2
; VGPRBlocks: 1
; NumSGPRsForWavesPerEU: 24
; NumVGPRsForWavesPerEU: 12
; AccumOffset: 12
; Occupancy: 8
; WaveLimiterHint : 0
; COMPUTE_PGM_RSRC2:SCRATCH_EN: 0
; COMPUTE_PGM_RSRC2:USER_SGPR: 6
; COMPUTE_PGM_RSRC2:TRAP_HANDLER: 0
; COMPUTE_PGM_RSRC2:TGID_X_EN: 1
; COMPUTE_PGM_RSRC2:TGID_Y_EN: 0
; COMPUTE_PGM_RSRC2:TGID_Z_EN: 1
; COMPUTE_PGM_RSRC2:TIDIG_COMP_CNT: 0
; COMPUTE_PGM_RSRC3_GFX90A:ACCUM_OFFSET: 2
; COMPUTE_PGM_RSRC3_GFX90A:TG_SPLIT: 0
	.section	.text._ZL18rocblas_dot_kernelIlLb0ELi512ELi2ELb1EdPKfdEviT5_lT_lS2_lS3_liPT6_PT4_,"axG",@progbits,_ZL18rocblas_dot_kernelIlLb0ELi512ELi2ELb1EdPKfdEviT5_lT_lS2_lS3_liPT6_PT4_,comdat
	.globl	_ZL18rocblas_dot_kernelIlLb0ELi512ELi2ELb1EdPKfdEviT5_lT_lS2_lS3_liPT6_PT4_ ; -- Begin function _ZL18rocblas_dot_kernelIlLb0ELi512ELi2ELb1EdPKfdEviT5_lT_lS2_lS3_liPT6_PT4_
	.p2align	8
	.type	_ZL18rocblas_dot_kernelIlLb0ELi512ELi2ELb1EdPKfdEviT5_lT_lS2_lS3_liPT6_PT4_,@function
_ZL18rocblas_dot_kernelIlLb0ELi512ELi2ELb1EdPKfdEviT5_lT_lS2_lS3_liPT6_PT4_: ; @_ZL18rocblas_dot_kernelIlLb0ELi512ELi2ELb1EdPKfdEviT5_lT_lS2_lS3_liPT6_PT4_
; %bb.0:
	s_mov_b32 s16, s7
	s_load_dword s7, s[4:5], 0x0
	s_load_dword s20, s[4:5], 0x60
	v_lshl_or_b32 v1, s6, 9, v0
	s_mov_b32 s17, 0
	v_pk_mov_b32 v[2:3], 0, 0
	s_waitcnt lgkmcnt(0)
	v_cmp_gt_i32_e32 vcc, s7, v1
	s_and_saveexec_b64 s[18:19], vcc
	s_cbranch_execz .LBB578_4
; %bb.1:
	s_load_dwordx8 s[8:15], s[4:5], 0x20
	s_load_dwordx2 s[22:23], s[4:5], 0x8
	s_load_dwordx4 s[0:3], s[4:5], 0x10
	s_load_dwordx2 s[24:25], s[4:5], 0x40
	v_ashrrev_i32_e32 v4, 31, v1
	s_waitcnt lgkmcnt(0)
	s_mul_i32 s9, s16, s9
	s_mul_hi_u32 s21, s16, s8
	s_add_i32 s9, s21, s9
	s_mul_i32 s8, s16, s8
	s_lshl_b64 s[8:9], s[8:9], 2
	s_add_u32 s8, s22, s8
	s_addc_u32 s9, s23, s9
	s_lshl_b64 s[0:1], s[0:1], 2
	s_add_u32 s8, s8, s0
	s_addc_u32 s9, s9, s1
	s_mul_i32 s0, s16, s25
	s_mul_hi_u32 s1, s16, s24
	s_add_i32 s1, s1, s0
	s_mul_i32 s0, s16, s24
	s_lshl_b64 s[0:1], s[0:1], 2
	s_add_u32 s10, s10, s0
	s_addc_u32 s11, s11, s1
	s_lshl_b64 s[0:1], s[12:13], 2
	s_add_u32 s10, s10, s0
	s_addc_u32 s11, s11, s1
	v_mul_lo_u32 v5, v1, s15
	v_mul_lo_u32 v6, v4, s14
	v_mad_u64_u32 v[2:3], s[0:1], v1, s14, 0
	v_add3_u32 v3, v3, v5, v6
	v_lshlrev_b64 v[2:3], 2, v[2:3]
	v_mov_b32_e32 v5, s11
	v_add_co_u32_e32 v2, vcc, s10, v2
	v_addc_co_u32_e32 v3, vcc, v5, v3, vcc
	v_mul_lo_u32 v6, v1, s3
	v_mul_lo_u32 v7, v4, s2
	v_mad_u64_u32 v[4:5], s[0:1], v1, s2, 0
	v_add3_u32 v5, v5, v6, v7
	v_lshlrev_b64 v[4:5], 2, v[4:5]
	v_mov_b32_e32 v1, s9
	v_add_co_u32_e32 v4, vcc, s8, v4
	v_addc_co_u32_e32 v5, vcc, v1, v5, vcc
	global_load_dword v6, v[4:5], off
	global_load_dword v7, v[2:3], off
	s_add_i32 s0, s6, s20
	v_lshl_or_b32 v1, s0, 9, v0
	v_cmp_gt_i32_e32 vcc, s7, v1
	s_waitcnt vmcnt(1)
	v_cvt_f64_f32_e32 v[2:3], v6
	s_waitcnt vmcnt(0)
	v_cvt_f64_f32_e32 v[4:5], v7
	v_fma_f64 v[2:3], v[4:5], v[2:3], 0
	s_and_saveexec_b64 s[0:1], vcc
	s_cbranch_execz .LBB578_3
; %bb.2:
	v_ashrrev_i32_e32 v6, 31, v1
	v_mul_lo_u32 v7, v1, s15
	v_mul_lo_u32 v8, v6, s14
	v_mad_u64_u32 v[4:5], s[12:13], v1, s14, 0
	v_add3_u32 v5, v5, v7, v8
	v_lshlrev_b64 v[4:5], 2, v[4:5]
	v_mov_b32_e32 v7, s11
	v_add_co_u32_e32 v4, vcc, s10, v4
	v_addc_co_u32_e32 v5, vcc, v7, v5, vcc
	global_load_dword v7, v[4:5], off
	v_mul_lo_u32 v8, v1, s3
	v_mul_lo_u32 v6, v6, s2
	v_mad_u64_u32 v[4:5], s[2:3], v1, s2, 0
	v_add3_u32 v5, v5, v8, v6
	v_lshlrev_b64 v[4:5], 2, v[4:5]
	v_mov_b32_e32 v1, s9
	v_add_co_u32_e32 v4, vcc, s8, v4
	v_addc_co_u32_e32 v5, vcc, v1, v5, vcc
	global_load_dword v1, v[4:5], off
	s_waitcnt vmcnt(1)
	v_cvt_f64_f32_e32 v[4:5], v7
	s_waitcnt vmcnt(0)
	v_cvt_f64_f32_e32 v[6:7], v1
	v_fmac_f64_e32 v[2:3], v[4:5], v[6:7]
.LBB578_3:
	s_or_b64 exec, exec, s[0:1]
.LBB578_4:
	s_or_b64 exec, exec, s[18:19]
	v_and_b32_e32 v6, 63, v0
	v_cmp_gt_u32_e32 vcc, 64, v0
	v_lshlrev_b32_e32 v1, 3, v6
	s_and_saveexec_b64 s[0:1], vcc
	s_cbranch_execz .LBB578_6
; %bb.5:
	v_mov_b32_e32 v4, 0
	v_mov_b32_e32 v5, v4
	ds_write_b64 v1, v[4:5]
.LBB578_6:
	s_or_b64 exec, exec, s[0:1]
	v_mbcnt_lo_u32_b32 v4, -1, 0
	v_mbcnt_hi_u32_b32 v9, -1, v4
	v_and_b32_e32 v10, 63, v9
	v_cmp_gt_u32_e64 s[0:1], 32, v10
	v_cndmask_b32_e64 v4, 0, 1, s[0:1]
	v_lshlrev_b32_e32 v4, 5, v4
	v_add_lshl_u32 v5, v4, v9, 2
	ds_bpermute_b32 v4, v5, v2
	ds_bpermute_b32 v5, v5, v3
	v_cmp_gt_u32_e64 s[0:1], 48, v10
	v_cndmask_b32_e64 v7, 0, 1, s[0:1]
	v_cmp_gt_u32_e64 s[0:1], 56, v10
	s_waitcnt lgkmcnt(0)
	v_add_f64 v[2:3], v[2:3], v[4:5]
	v_lshlrev_b32_e32 v4, 4, v7
	v_add_lshl_u32 v5, v4, v9, 2
	ds_bpermute_b32 v4, v5, v2
	ds_bpermute_b32 v5, v5, v3
	s_barrier
	s_waitcnt lgkmcnt(0)
	v_add_f64 v[2:3], v[2:3], v[4:5]
	v_cndmask_b32_e64 v4, 0, 1, s[0:1]
	v_lshlrev_b32_e32 v4, 3, v4
	v_add_lshl_u32 v5, v4, v9, 2
	ds_bpermute_b32 v4, v5, v2
	ds_bpermute_b32 v5, v5, v3
	v_cmp_gt_u32_e64 s[0:1], 60, v10
	s_waitcnt lgkmcnt(0)
	v_add_f64 v[2:3], v[2:3], v[4:5]
	v_cndmask_b32_e64 v4, 0, 1, s[0:1]
	v_lshlrev_b32_e32 v4, 2, v4
	v_add_lshl_u32 v7, v4, v9, 2
	ds_bpermute_b32 v4, v7, v2
	ds_bpermute_b32 v5, v7, v3
	v_cmp_gt_u32_e64 s[0:1], 62, v10
	s_waitcnt lgkmcnt(0)
	v_add_f64 v[2:3], v[2:3], v[4:5]
	v_cndmask_b32_e64 v4, 0, 1, s[0:1]
	v_lshlrev_b32_e32 v4, 1, v4
	v_add_lshl_u32 v8, v4, v9, 2
	ds_bpermute_b32 v4, v8, v2
	ds_bpermute_b32 v5, v8, v3
	v_cmp_ne_u32_e64 s[0:1], 63, v10
	s_waitcnt lgkmcnt(0)
	v_add_f64 v[2:3], v[2:3], v[4:5]
	v_addc_co_u32_e64 v4, s[0:1], 0, v9, s[0:1]
	v_lshlrev_b32_e32 v9, 2, v4
	ds_bpermute_b32 v4, v9, v2
	ds_bpermute_b32 v5, v9, v3
	v_cmp_eq_u32_e64 s[0:1], 0, v6
	s_and_saveexec_b64 s[2:3], s[0:1]
	s_cbranch_execz .LBB578_8
; %bb.7:
	s_waitcnt lgkmcnt(0)
	v_add_f64 v[2:3], v[2:3], v[4:5]
	v_lshrrev_b32_e32 v4, 3, v0
	v_and_b32_e32 v4, 56, v4
	ds_write_b64 v4, v[2:3]
.LBB578_8:
	s_or_b64 exec, exec, s[2:3]
	v_cmp_gt_u32_e64 s[0:1], 8, v0
	v_pk_mov_b32 v[2:3], 0, 0
	s_waitcnt lgkmcnt(0)
	s_barrier
	s_and_saveexec_b64 s[2:3], s[0:1]
	s_cbranch_execnz .LBB578_12
; %bb.9:
	s_or_b64 exec, exec, s[2:3]
	s_and_saveexec_b64 s[0:1], vcc
	s_cbranch_execnz .LBB578_13
.LBB578_10:
	s_or_b64 exec, exec, s[0:1]
	v_cmp_eq_u32_e32 vcc, 0, v0
	s_and_saveexec_b64 s[0:1], vcc
	s_cbranch_execnz .LBB578_14
.LBB578_11:
	s_endpgm
.LBB578_12:
	ds_read_b64 v[2:3], v1
	s_or_b64 exec, exec, s[2:3]
	s_and_saveexec_b64 s[0:1], vcc
	s_cbranch_execz .LBB578_10
.LBB578_13:
	s_waitcnt lgkmcnt(0)
	ds_bpermute_b32 v4, v7, v2
	ds_bpermute_b32 v5, v7, v3
	s_waitcnt lgkmcnt(0)
	v_add_f64 v[2:3], v[2:3], v[4:5]
	ds_bpermute_b32 v4, v8, v2
	ds_bpermute_b32 v5, v8, v3
	s_waitcnt lgkmcnt(0)
	v_add_f64 v[2:3], v[2:3], v[4:5]
	;; [unrolled: 4-line block ×3, first 2 shown]
	s_or_b64 exec, exec, s[0:1]
	v_cmp_eq_u32_e32 vcc, 0, v0
	s_and_saveexec_b64 s[0:1], vcc
	s_cbranch_execz .LBB578_11
.LBB578_14:
	s_cmp_lg_u32 s20, 1
	s_cbranch_scc0 .LBB578_16
; %bb.15:
	s_load_dwordx2 s[0:1], s[4:5], 0x50
	s_mul_hi_u32 s3, s20, s16
	s_mul_i32 s2, s20, s16
	s_lshl_b64 s[2:3], s[2:3], 3
	s_mov_b32 s7, 0
	s_waitcnt lgkmcnt(0)
	s_add_u32 s2, s0, s2
	s_addc_u32 s3, s1, s3
	s_lshl_b64 s[0:1], s[6:7], 3
	s_add_u32 s0, s2, s0
	s_addc_u32 s1, s3, s1
	s_cbranch_execz .LBB578_17
	s_branch .LBB578_18
.LBB578_16:
                                        ; implicit-def: $sgpr0_sgpr1
.LBB578_17:
	s_load_dwordx2 s[0:1], s[4:5], 0x58
	s_lshl_b64 s[2:3], s[16:17], 3
	s_waitcnt lgkmcnt(0)
	s_add_u32 s0, s0, s2
	s_addc_u32 s1, s1, s3
.LBB578_18:
	v_mov_b32_e32 v0, 0
	s_waitcnt lgkmcnt(0)
	global_store_dwordx2 v0, v[2:3], s[0:1]
	s_endpgm
	.section	.rodata,"a",@progbits
	.p2align	6, 0x0
	.amdhsa_kernel _ZL18rocblas_dot_kernelIlLb0ELi512ELi2ELb1EdPKfdEviT5_lT_lS2_lS3_liPT6_PT4_
		.amdhsa_group_segment_fixed_size 512
		.amdhsa_private_segment_fixed_size 0
		.amdhsa_kernarg_size 352
		.amdhsa_user_sgpr_count 6
		.amdhsa_user_sgpr_private_segment_buffer 1
		.amdhsa_user_sgpr_dispatch_ptr 0
		.amdhsa_user_sgpr_queue_ptr 0
		.amdhsa_user_sgpr_kernarg_segment_ptr 1
		.amdhsa_user_sgpr_dispatch_id 0
		.amdhsa_user_sgpr_flat_scratch_init 0
		.amdhsa_user_sgpr_kernarg_preload_length 0
		.amdhsa_user_sgpr_kernarg_preload_offset 0
		.amdhsa_user_sgpr_private_segment_size 0
		.amdhsa_uses_dynamic_stack 0
		.amdhsa_system_sgpr_private_segment_wavefront_offset 0
		.amdhsa_system_sgpr_workgroup_id_x 1
		.amdhsa_system_sgpr_workgroup_id_y 0
		.amdhsa_system_sgpr_workgroup_id_z 1
		.amdhsa_system_sgpr_workgroup_info 0
		.amdhsa_system_vgpr_workitem_id 0
		.amdhsa_next_free_vgpr 11
		.amdhsa_next_free_sgpr 26
		.amdhsa_accum_offset 12
		.amdhsa_reserve_vcc 1
		.amdhsa_reserve_flat_scratch 0
		.amdhsa_float_round_mode_32 0
		.amdhsa_float_round_mode_16_64 0
		.amdhsa_float_denorm_mode_32 3
		.amdhsa_float_denorm_mode_16_64 3
		.amdhsa_dx10_clamp 1
		.amdhsa_ieee_mode 1
		.amdhsa_fp16_overflow 0
		.amdhsa_tg_split 0
		.amdhsa_exception_fp_ieee_invalid_op 0
		.amdhsa_exception_fp_denorm_src 0
		.amdhsa_exception_fp_ieee_div_zero 0
		.amdhsa_exception_fp_ieee_overflow 0
		.amdhsa_exception_fp_ieee_underflow 0
		.amdhsa_exception_fp_ieee_inexact 0
		.amdhsa_exception_int_div_zero 0
	.end_amdhsa_kernel
	.section	.text._ZL18rocblas_dot_kernelIlLb0ELi512ELi2ELb1EdPKfdEviT5_lT_lS2_lS3_liPT6_PT4_,"axG",@progbits,_ZL18rocblas_dot_kernelIlLb0ELi512ELi2ELb1EdPKfdEviT5_lT_lS2_lS3_liPT6_PT4_,comdat
.Lfunc_end578:
	.size	_ZL18rocblas_dot_kernelIlLb0ELi512ELi2ELb1EdPKfdEviT5_lT_lS2_lS3_liPT6_PT4_, .Lfunc_end578-_ZL18rocblas_dot_kernelIlLb0ELi512ELi2ELb1EdPKfdEviT5_lT_lS2_lS3_liPT6_PT4_
                                        ; -- End function
	.section	.AMDGPU.csdata,"",@progbits
; Kernel info:
; codeLenInByte = 1220
; NumSgprs: 30
; NumVgprs: 11
; NumAgprs: 0
; TotalNumVgprs: 11
; ScratchSize: 0
; MemoryBound: 0
; FloatMode: 240
; IeeeMode: 1
; LDSByteSize: 512 bytes/workgroup (compile time only)
; SGPRBlocks: 3
; VGPRBlocks: 1
; NumSGPRsForWavesPerEU: 30
; NumVGPRsForWavesPerEU: 11
; AccumOffset: 12
; Occupancy: 8
; WaveLimiterHint : 0
; COMPUTE_PGM_RSRC2:SCRATCH_EN: 0
; COMPUTE_PGM_RSRC2:USER_SGPR: 6
; COMPUTE_PGM_RSRC2:TRAP_HANDLER: 0
; COMPUTE_PGM_RSRC2:TGID_X_EN: 1
; COMPUTE_PGM_RSRC2:TGID_Y_EN: 0
; COMPUTE_PGM_RSRC2:TGID_Z_EN: 1
; COMPUTE_PGM_RSRC2:TIDIG_COMP_CNT: 0
; COMPUTE_PGM_RSRC3_GFX90A:ACCUM_OFFSET: 2
; COMPUTE_PGM_RSRC3_GFX90A:TG_SPLIT: 0
	.section	.text._ZL24rocblas_dot_kernel_magsqIlLb0ELi512ELi2ELb1EdPKfdEviT5_lT_liPT6_PT4_,"axG",@progbits,_ZL24rocblas_dot_kernel_magsqIlLb0ELi512ELi2ELb1EdPKfdEviT5_lT_liPT6_PT4_,comdat
	.globl	_ZL24rocblas_dot_kernel_magsqIlLb0ELi512ELi2ELb1EdPKfdEviT5_lT_liPT6_PT4_ ; -- Begin function _ZL24rocblas_dot_kernel_magsqIlLb0ELi512ELi2ELb1EdPKfdEviT5_lT_liPT6_PT4_
	.p2align	8
	.type	_ZL24rocblas_dot_kernel_magsqIlLb0ELi512ELi2ELb1EdPKfdEviT5_lT_liPT6_PT4_,@function
_ZL24rocblas_dot_kernel_magsqIlLb0ELi512ELi2ELb1EdPKfdEviT5_lT_liPT6_PT4_: ; @_ZL24rocblas_dot_kernel_magsqIlLb0ELi512ELi2ELb1EdPKfdEviT5_lT_liPT6_PT4_
; %bb.0:
	s_mov_b32 s8, s7
	s_load_dword s7, s[4:5], 0x0
	s_load_dword s12, s[4:5], 0x40
	v_lshl_or_b32 v1, s6, 9, v0
	s_mov_b32 s9, 0
	v_pk_mov_b32 v[2:3], 0, 0
	s_waitcnt lgkmcnt(0)
	v_cmp_gt_i32_e32 vcc, s7, v1
	s_and_saveexec_b64 s[10:11], vcc
	s_cbranch_execz .LBB579_4
; %bb.1:
	s_load_dwordx2 s[14:15], s[4:5], 0x20
	s_load_dwordx2 s[16:17], s[4:5], 0x8
	s_load_dwordx4 s[0:3], s[4:5], 0x10
	v_ashrrev_i32_e32 v2, 31, v1
	s_waitcnt lgkmcnt(0)
	s_mul_i32 s13, s8, s15
	s_mul_hi_u32 s15, s8, s14
	s_mul_i32 s14, s8, s14
	s_add_i32 s15, s15, s13
	s_lshl_b64 s[14:15], s[14:15], 2
	s_add_u32 s13, s16, s14
	s_addc_u32 s14, s17, s15
	s_lshl_b64 s[0:1], s[0:1], 2
	s_add_u32 s13, s13, s0
	s_addc_u32 s14, s14, s1
	v_mul_lo_u32 v4, v1, s3
	v_mul_lo_u32 v5, v2, s2
	v_mad_u64_u32 v[2:3], s[0:1], v1, s2, 0
	v_add3_u32 v3, v3, v4, v5
	v_lshlrev_b64 v[2:3], 2, v[2:3]
	v_mov_b32_e32 v1, s14
	v_add_co_u32_e32 v2, vcc, s13, v2
	v_addc_co_u32_e32 v3, vcc, v1, v3, vcc
	global_load_dword v2, v[2:3], off
	s_add_i32 s0, s6, s12
	v_lshl_or_b32 v1, s0, 9, v0
	v_cmp_gt_i32_e32 vcc, s7, v1
	s_waitcnt vmcnt(0)
	v_cvt_f64_f32_e32 v[2:3], v2
	v_mul_f64 v[2:3], v[2:3], v[2:3]
	s_and_saveexec_b64 s[0:1], vcc
	s_cbranch_execz .LBB579_3
; %bb.2:
	v_ashrrev_i32_e32 v4, 31, v1
	v_mul_lo_u32 v6, v1, s3
	v_mul_lo_u32 v7, v4, s2
	v_mad_u64_u32 v[4:5], s[2:3], v1, s2, 0
	v_add3_u32 v5, v5, v6, v7
	v_lshlrev_b64 v[4:5], 2, v[4:5]
	v_mov_b32_e32 v1, s14
	v_add_co_u32_e32 v4, vcc, s13, v4
	v_addc_co_u32_e32 v5, vcc, v1, v5, vcc
	global_load_dword v1, v[4:5], off
	s_waitcnt vmcnt(0)
	v_cvt_f64_f32_e32 v[4:5], v1
	v_fmac_f64_e32 v[2:3], v[4:5], v[4:5]
.LBB579_3:
	s_or_b64 exec, exec, s[0:1]
.LBB579_4:
	s_or_b64 exec, exec, s[10:11]
	v_and_b32_e32 v6, 63, v0
	v_cmp_gt_u32_e32 vcc, 64, v0
	v_lshlrev_b32_e32 v1, 3, v6
	s_and_saveexec_b64 s[0:1], vcc
	s_cbranch_execz .LBB579_6
; %bb.5:
	v_mov_b32_e32 v4, 0
	v_mov_b32_e32 v5, v4
	ds_write_b64 v1, v[4:5]
.LBB579_6:
	s_or_b64 exec, exec, s[0:1]
	v_mbcnt_lo_u32_b32 v4, -1, 0
	v_mbcnt_hi_u32_b32 v9, -1, v4
	v_and_b32_e32 v10, 63, v9
	v_cmp_gt_u32_e64 s[0:1], 32, v10
	v_cndmask_b32_e64 v4, 0, 1, s[0:1]
	v_lshlrev_b32_e32 v4, 5, v4
	v_add_lshl_u32 v5, v4, v9, 2
	ds_bpermute_b32 v4, v5, v2
	ds_bpermute_b32 v5, v5, v3
	v_cmp_gt_u32_e64 s[0:1], 48, v10
	v_cndmask_b32_e64 v7, 0, 1, s[0:1]
	v_cmp_gt_u32_e64 s[0:1], 56, v10
	s_waitcnt lgkmcnt(0)
	v_add_f64 v[2:3], v[2:3], v[4:5]
	v_lshlrev_b32_e32 v4, 4, v7
	v_add_lshl_u32 v5, v4, v9, 2
	ds_bpermute_b32 v4, v5, v2
	ds_bpermute_b32 v5, v5, v3
	s_barrier
	s_waitcnt lgkmcnt(0)
	v_add_f64 v[2:3], v[2:3], v[4:5]
	v_cndmask_b32_e64 v4, 0, 1, s[0:1]
	v_lshlrev_b32_e32 v4, 3, v4
	v_add_lshl_u32 v5, v4, v9, 2
	ds_bpermute_b32 v4, v5, v2
	ds_bpermute_b32 v5, v5, v3
	v_cmp_gt_u32_e64 s[0:1], 60, v10
	s_waitcnt lgkmcnt(0)
	v_add_f64 v[2:3], v[2:3], v[4:5]
	v_cndmask_b32_e64 v4, 0, 1, s[0:1]
	v_lshlrev_b32_e32 v4, 2, v4
	v_add_lshl_u32 v7, v4, v9, 2
	ds_bpermute_b32 v4, v7, v2
	ds_bpermute_b32 v5, v7, v3
	v_cmp_gt_u32_e64 s[0:1], 62, v10
	s_waitcnt lgkmcnt(0)
	v_add_f64 v[2:3], v[2:3], v[4:5]
	v_cndmask_b32_e64 v4, 0, 1, s[0:1]
	v_lshlrev_b32_e32 v4, 1, v4
	v_add_lshl_u32 v8, v4, v9, 2
	ds_bpermute_b32 v4, v8, v2
	ds_bpermute_b32 v5, v8, v3
	v_cmp_ne_u32_e64 s[0:1], 63, v10
	s_waitcnt lgkmcnt(0)
	v_add_f64 v[2:3], v[2:3], v[4:5]
	v_addc_co_u32_e64 v4, s[0:1], 0, v9, s[0:1]
	v_lshlrev_b32_e32 v9, 2, v4
	ds_bpermute_b32 v4, v9, v2
	ds_bpermute_b32 v5, v9, v3
	v_cmp_eq_u32_e64 s[0:1], 0, v6
	s_and_saveexec_b64 s[2:3], s[0:1]
	s_cbranch_execz .LBB579_8
; %bb.7:
	s_waitcnt lgkmcnt(0)
	v_add_f64 v[2:3], v[2:3], v[4:5]
	v_lshrrev_b32_e32 v4, 3, v0
	v_and_b32_e32 v4, 56, v4
	ds_write_b64 v4, v[2:3]
.LBB579_8:
	s_or_b64 exec, exec, s[2:3]
	v_cmp_gt_u32_e64 s[0:1], 8, v0
	v_pk_mov_b32 v[2:3], 0, 0
	s_waitcnt lgkmcnt(0)
	s_barrier
	s_and_saveexec_b64 s[2:3], s[0:1]
	s_cbranch_execnz .LBB579_12
; %bb.9:
	s_or_b64 exec, exec, s[2:3]
	s_and_saveexec_b64 s[0:1], vcc
	s_cbranch_execnz .LBB579_13
.LBB579_10:
	s_or_b64 exec, exec, s[0:1]
	v_cmp_eq_u32_e32 vcc, 0, v0
	s_and_saveexec_b64 s[0:1], vcc
	s_cbranch_execnz .LBB579_14
.LBB579_11:
	s_endpgm
.LBB579_12:
	ds_read_b64 v[2:3], v1
	s_or_b64 exec, exec, s[2:3]
	s_and_saveexec_b64 s[0:1], vcc
	s_cbranch_execz .LBB579_10
.LBB579_13:
	s_waitcnt lgkmcnt(0)
	ds_bpermute_b32 v4, v7, v2
	ds_bpermute_b32 v5, v7, v3
	s_waitcnt lgkmcnt(0)
	v_add_f64 v[2:3], v[2:3], v[4:5]
	ds_bpermute_b32 v4, v8, v2
	ds_bpermute_b32 v5, v8, v3
	s_waitcnt lgkmcnt(0)
	v_add_f64 v[2:3], v[2:3], v[4:5]
	;; [unrolled: 4-line block ×3, first 2 shown]
	s_or_b64 exec, exec, s[0:1]
	v_cmp_eq_u32_e32 vcc, 0, v0
	s_and_saveexec_b64 s[0:1], vcc
	s_cbranch_execz .LBB579_11
.LBB579_14:
	s_cmp_lg_u32 s12, 1
	s_cbranch_scc0 .LBB579_16
; %bb.15:
	s_load_dwordx2 s[0:1], s[4:5], 0x30
	s_mul_hi_u32 s3, s12, s8
	s_mul_i32 s2, s12, s8
	s_lshl_b64 s[2:3], s[2:3], 3
	s_mov_b32 s7, 0
	s_waitcnt lgkmcnt(0)
	s_add_u32 s2, s0, s2
	s_addc_u32 s3, s1, s3
	s_lshl_b64 s[0:1], s[6:7], 3
	s_add_u32 s0, s2, s0
	s_addc_u32 s1, s3, s1
	s_cbranch_execz .LBB579_17
	s_branch .LBB579_18
.LBB579_16:
                                        ; implicit-def: $sgpr0_sgpr1
.LBB579_17:
	s_load_dwordx2 s[0:1], s[4:5], 0x38
	s_lshl_b64 s[2:3], s[8:9], 3
	s_waitcnt lgkmcnt(0)
	s_add_u32 s0, s0, s2
	s_addc_u32 s1, s1, s3
.LBB579_18:
	v_mov_b32_e32 v0, 0
	s_waitcnt lgkmcnt(0)
	global_store_dwordx2 v0, v[2:3], s[0:1]
	s_endpgm
	.section	.rodata,"a",@progbits
	.p2align	6, 0x0
	.amdhsa_kernel _ZL24rocblas_dot_kernel_magsqIlLb0ELi512ELi2ELb1EdPKfdEviT5_lT_liPT6_PT4_
		.amdhsa_group_segment_fixed_size 512
		.amdhsa_private_segment_fixed_size 0
		.amdhsa_kernarg_size 320
		.amdhsa_user_sgpr_count 6
		.amdhsa_user_sgpr_private_segment_buffer 1
		.amdhsa_user_sgpr_dispatch_ptr 0
		.amdhsa_user_sgpr_queue_ptr 0
		.amdhsa_user_sgpr_kernarg_segment_ptr 1
		.amdhsa_user_sgpr_dispatch_id 0
		.amdhsa_user_sgpr_flat_scratch_init 0
		.amdhsa_user_sgpr_kernarg_preload_length 0
		.amdhsa_user_sgpr_kernarg_preload_offset 0
		.amdhsa_user_sgpr_private_segment_size 0
		.amdhsa_uses_dynamic_stack 0
		.amdhsa_system_sgpr_private_segment_wavefront_offset 0
		.amdhsa_system_sgpr_workgroup_id_x 1
		.amdhsa_system_sgpr_workgroup_id_y 0
		.amdhsa_system_sgpr_workgroup_id_z 1
		.amdhsa_system_sgpr_workgroup_info 0
		.amdhsa_system_vgpr_workitem_id 0
		.amdhsa_next_free_vgpr 11
		.amdhsa_next_free_sgpr 18
		.amdhsa_accum_offset 12
		.amdhsa_reserve_vcc 1
		.amdhsa_reserve_flat_scratch 0
		.amdhsa_float_round_mode_32 0
		.amdhsa_float_round_mode_16_64 0
		.amdhsa_float_denorm_mode_32 3
		.amdhsa_float_denorm_mode_16_64 3
		.amdhsa_dx10_clamp 1
		.amdhsa_ieee_mode 1
		.amdhsa_fp16_overflow 0
		.amdhsa_tg_split 0
		.amdhsa_exception_fp_ieee_invalid_op 0
		.amdhsa_exception_fp_denorm_src 0
		.amdhsa_exception_fp_ieee_div_zero 0
		.amdhsa_exception_fp_ieee_overflow 0
		.amdhsa_exception_fp_ieee_underflow 0
		.amdhsa_exception_fp_ieee_inexact 0
		.amdhsa_exception_int_div_zero 0
	.end_amdhsa_kernel
	.section	.text._ZL24rocblas_dot_kernel_magsqIlLb0ELi512ELi2ELb1EdPKfdEviT5_lT_liPT6_PT4_,"axG",@progbits,_ZL24rocblas_dot_kernel_magsqIlLb0ELi512ELi2ELb1EdPKfdEviT5_lT_liPT6_PT4_,comdat
.Lfunc_end579:
	.size	_ZL24rocblas_dot_kernel_magsqIlLb0ELi512ELi2ELb1EdPKfdEviT5_lT_liPT6_PT4_, .Lfunc_end579-_ZL24rocblas_dot_kernel_magsqIlLb0ELi512ELi2ELb1EdPKfdEviT5_lT_liPT6_PT4_
                                        ; -- End function
	.section	.AMDGPU.csdata,"",@progbits
; Kernel info:
; codeLenInByte = 1036
; NumSgprs: 22
; NumVgprs: 11
; NumAgprs: 0
; TotalNumVgprs: 11
; ScratchSize: 0
; MemoryBound: 0
; FloatMode: 240
; IeeeMode: 1
; LDSByteSize: 512 bytes/workgroup (compile time only)
; SGPRBlocks: 2
; VGPRBlocks: 1
; NumSGPRsForWavesPerEU: 22
; NumVGPRsForWavesPerEU: 11
; AccumOffset: 12
; Occupancy: 8
; WaveLimiterHint : 0
; COMPUTE_PGM_RSRC2:SCRATCH_EN: 0
; COMPUTE_PGM_RSRC2:USER_SGPR: 6
; COMPUTE_PGM_RSRC2:TRAP_HANDLER: 0
; COMPUTE_PGM_RSRC2:TGID_X_EN: 1
; COMPUTE_PGM_RSRC2:TGID_Y_EN: 0
; COMPUTE_PGM_RSRC2:TGID_Z_EN: 1
; COMPUTE_PGM_RSRC2:TIDIG_COMP_CNT: 0
; COMPUTE_PGM_RSRC3_GFX90A:ACCUM_OFFSET: 2
; COMPUTE_PGM_RSRC3_GFX90A:TG_SPLIT: 0
	.section	.text._ZL28rocblas_dot_batched_4_kernelIiLi32ELi4ELb1EddPKPKfEviT5_lT_lS4_lS5_liPT4_,"axG",@progbits,_ZL28rocblas_dot_batched_4_kernelIiLi32ELi4ELb1EddPKPKfEviT5_lT_lS4_lS5_liPT4_,comdat
	.globl	_ZL28rocblas_dot_batched_4_kernelIiLi32ELi4ELb1EddPKPKfEviT5_lT_lS4_lS5_liPT4_ ; -- Begin function _ZL28rocblas_dot_batched_4_kernelIiLi32ELi4ELb1EddPKPKfEviT5_lT_lS4_lS5_liPT4_
	.p2align	8
	.type	_ZL28rocblas_dot_batched_4_kernelIiLi32ELi4ELb1EddPKPKfEviT5_lT_lS4_lS5_liPT4_,@function
_ZL28rocblas_dot_batched_4_kernelIiLi32ELi4ELb1EddPKPKfEviT5_lT_lS4_lS5_liPT4_: ; @_ZL28rocblas_dot_batched_4_kernelIiLi32ELi4ELb1EddPKPKfEviT5_lT_lS4_lS5_liPT4_
; %bb.0:
	s_load_dword s0, s[4:5], 0x48
	v_bfe_u32 v1, v0, 10, 10
	v_lshl_add_u32 v4, s6, 2, v1
	s_waitcnt lgkmcnt(0)
	v_cmp_gt_u32_e32 vcc, s0, v4
	s_and_saveexec_b64 s[0:1], vcc
	s_cbranch_execz .LBB580_7
; %bb.1:
	s_load_dword s14, s[4:5], 0x0
	s_load_dwordx2 s[6:7], s[4:5], 0x50
	v_mov_b32_e32 v5, 0
	v_and_b32_e32 v8, 0x3ff, v0
	v_pk_mov_b32 v[2:3], 0, 0
	s_waitcnt lgkmcnt(0)
	v_cmp_gt_i32_e32 vcc, s14, v8
	v_lshlrev_b64 v[0:1], 3, v[4:5]
	s_and_saveexec_b64 s[12:13], vcc
	s_cbranch_execz .LBB580_5
; %bb.2:
	s_load_dwordx4 s[0:3], s[4:5], 0x8
	s_load_dwordx4 s[8:11], s[4:5], 0x28
	s_load_dword s16, s[4:5], 0x18
	s_waitcnt lgkmcnt(0)
	v_mov_b32_e32 v3, s1
	v_add_co_u32_e32 v2, vcc, s0, v0
	v_addc_co_u32_e32 v3, vcc, v3, v1, vcc
	global_load_dwordx2 v[4:5], v[2:3], off
	v_mov_b32_e32 v3, s9
	v_add_co_u32_e32 v2, vcc, s8, v0
	v_addc_co_u32_e32 v3, vcc, v3, v1, vcc
	global_load_dwordx2 v[6:7], v[2:3], off
	s_load_dword s4, s[4:5], 0x38
	v_mad_i64_i32 v[10:11], s[8:9], s16, v8, 0
	s_lshl_b64 s[8:9], s[2:3], 2
	v_lshlrev_b64 v[10:11], 2, v[10:11]
	s_waitcnt lgkmcnt(0)
	v_mad_i64_i32 v[12:13], s[2:3], s4, v8, 0
	v_mov_b32_e32 v9, s9
	v_add_co_u32_e32 v15, vcc, s8, v10
	s_lshl_b64 s[10:11], s[10:11], 2
	v_lshlrev_b64 v[12:13], 2, v[12:13]
	v_addc_co_u32_e32 v11, vcc, v11, v9, vcc
	v_mov_b32_e32 v14, s11
	v_add_co_u32_e32 v12, vcc, s10, v12
	v_addc_co_u32_e32 v13, vcc, v13, v14, vcc
	s_ashr_i32 s17, s16, 31
	s_ashr_i32 s5, s4, 31
	s_lshl_b64 s[2:3], s[16:17], 7
	s_lshl_b64 s[4:5], s[4:5], 7
	s_mov_b64 s[0:1], 0
	v_pk_mov_b32 v[2:3], 0, 0
	v_mov_b32_e32 v9, s3
	v_mov_b32_e32 v10, s5
	s_waitcnt vmcnt(1)
	v_add_co_u32_e32 v4, vcc, v4, v15
	v_addc_co_u32_e32 v5, vcc, v5, v11, vcc
	v_mov_b32_e32 v11, v8
	s_waitcnt vmcnt(0)
	v_add_co_u32_e32 v6, vcc, v6, v12
	v_addc_co_u32_e32 v7, vcc, v7, v13, vcc
.LBB580_3:                              ; =>This Inner Loop Header: Depth=1
	global_load_dword v12, v[4:5], off
	global_load_dword v14, v[6:7], off
	v_add_co_u32_e32 v4, vcc, s2, v4
	v_addc_co_u32_e32 v5, vcc, v5, v9, vcc
	v_add_co_u32_e32 v6, vcc, s4, v6
	v_add_u32_e32 v11, 32, v11
	v_addc_co_u32_e32 v7, vcc, v7, v10, vcc
	v_cmp_le_i32_e32 vcc, s14, v11
	s_or_b64 s[0:1], vcc, s[0:1]
	s_waitcnt vmcnt(1)
	v_cvt_f64_f32_e32 v[12:13], v12
	s_waitcnt vmcnt(0)
	v_cvt_f64_f32_e32 v[14:15], v14
	v_fmac_f64_e32 v[2:3], v[12:13], v[14:15]
	s_andn2_b64 exec, exec, s[0:1]
	s_cbranch_execnz .LBB580_3
; %bb.4:
	s_or_b64 exec, exec, s[0:1]
.LBB580_5:
	s_or_b64 exec, exec, s[12:13]
	v_mbcnt_lo_u32_b32 v4, -1, 0
	v_mbcnt_hi_u32_b32 v6, -1, v4
	v_and_b32_e32 v7, 63, v6
	v_cmp_gt_u32_e32 vcc, 48, v7
	v_cndmask_b32_e64 v4, 0, 1, vcc
	v_lshlrev_b32_e32 v4, 4, v4
	v_add_lshl_u32 v5, v4, v6, 2
	ds_bpermute_b32 v4, v5, v2
	ds_bpermute_b32 v5, v5, v3
	v_cmp_gt_u32_e32 vcc, 56, v7
	v_cndmask_b32_e64 v9, 0, 1, vcc
	v_cmp_gt_u32_e32 vcc, 60, v7
	s_waitcnt lgkmcnt(0)
	v_add_f64 v[2:3], v[2:3], v[4:5]
	v_lshlrev_b32_e32 v4, 3, v9
	v_add_lshl_u32 v5, v4, v6, 2
	ds_bpermute_b32 v4, v5, v2
	ds_bpermute_b32 v5, v5, v3
	s_barrier
	s_waitcnt lgkmcnt(0)
	v_add_f64 v[2:3], v[2:3], v[4:5]
	v_cndmask_b32_e64 v4, 0, 1, vcc
	v_lshlrev_b32_e32 v4, 2, v4
	v_add_lshl_u32 v5, v4, v6, 2
	ds_bpermute_b32 v4, v5, v2
	ds_bpermute_b32 v5, v5, v3
	v_cmp_gt_u32_e32 vcc, 62, v7
	s_waitcnt lgkmcnt(0)
	v_add_f64 v[2:3], v[2:3], v[4:5]
	v_cndmask_b32_e64 v4, 0, 1, vcc
	v_lshlrev_b32_e32 v4, 1, v4
	v_add_lshl_u32 v5, v4, v6, 2
	ds_bpermute_b32 v4, v5, v2
	ds_bpermute_b32 v5, v5, v3
	v_cmp_ne_u32_e32 vcc, 63, v7
	s_waitcnt lgkmcnt(0)
	v_add_f64 v[2:3], v[2:3], v[4:5]
	v_addc_co_u32_e32 v4, vcc, 0, v6, vcc
	v_lshlrev_b32_e32 v5, 2, v4
	ds_bpermute_b32 v4, v5, v2
	ds_bpermute_b32 v5, v5, v3
	v_cmp_eq_u32_e32 vcc, 0, v8
	s_and_b64 exec, exec, vcc
	s_cbranch_execz .LBB580_7
; %bb.6:
	v_mov_b32_e32 v6, s7
	v_add_co_u32_e32 v0, vcc, s6, v0
	v_addc_co_u32_e32 v1, vcc, v6, v1, vcc
	s_waitcnt lgkmcnt(0)
	v_add_f64 v[2:3], v[2:3], v[4:5]
	global_store_dwordx2 v[0:1], v[2:3], off
.LBB580_7:
	s_endpgm
	.section	.rodata,"a",@progbits
	.p2align	6, 0x0
	.amdhsa_kernel _ZL28rocblas_dot_batched_4_kernelIiLi32ELi4ELb1EddPKPKfEviT5_lT_lS4_lS5_liPT4_
		.amdhsa_group_segment_fixed_size 0
		.amdhsa_private_segment_fixed_size 0
		.amdhsa_kernarg_size 88
		.amdhsa_user_sgpr_count 6
		.amdhsa_user_sgpr_private_segment_buffer 1
		.amdhsa_user_sgpr_dispatch_ptr 0
		.amdhsa_user_sgpr_queue_ptr 0
		.amdhsa_user_sgpr_kernarg_segment_ptr 1
		.amdhsa_user_sgpr_dispatch_id 0
		.amdhsa_user_sgpr_flat_scratch_init 0
		.amdhsa_user_sgpr_kernarg_preload_length 0
		.amdhsa_user_sgpr_kernarg_preload_offset 0
		.amdhsa_user_sgpr_private_segment_size 0
		.amdhsa_uses_dynamic_stack 0
		.amdhsa_system_sgpr_private_segment_wavefront_offset 0
		.amdhsa_system_sgpr_workgroup_id_x 1
		.amdhsa_system_sgpr_workgroup_id_y 0
		.amdhsa_system_sgpr_workgroup_id_z 0
		.amdhsa_system_sgpr_workgroup_info 0
		.amdhsa_system_vgpr_workitem_id 1
		.amdhsa_next_free_vgpr 16
		.amdhsa_next_free_sgpr 18
		.amdhsa_accum_offset 16
		.amdhsa_reserve_vcc 1
		.amdhsa_reserve_flat_scratch 0
		.amdhsa_float_round_mode_32 0
		.amdhsa_float_round_mode_16_64 0
		.amdhsa_float_denorm_mode_32 3
		.amdhsa_float_denorm_mode_16_64 3
		.amdhsa_dx10_clamp 1
		.amdhsa_ieee_mode 1
		.amdhsa_fp16_overflow 0
		.amdhsa_tg_split 0
		.amdhsa_exception_fp_ieee_invalid_op 0
		.amdhsa_exception_fp_denorm_src 0
		.amdhsa_exception_fp_ieee_div_zero 0
		.amdhsa_exception_fp_ieee_overflow 0
		.amdhsa_exception_fp_ieee_underflow 0
		.amdhsa_exception_fp_ieee_inexact 0
		.amdhsa_exception_int_div_zero 0
	.end_amdhsa_kernel
	.section	.text._ZL28rocblas_dot_batched_4_kernelIiLi32ELi4ELb1EddPKPKfEviT5_lT_lS4_lS5_liPT4_,"axG",@progbits,_ZL28rocblas_dot_batched_4_kernelIiLi32ELi4ELb1EddPKPKfEviT5_lT_lS4_lS5_liPT4_,comdat
.Lfunc_end580:
	.size	_ZL28rocblas_dot_batched_4_kernelIiLi32ELi4ELb1EddPKPKfEviT5_lT_lS4_lS5_liPT4_, .Lfunc_end580-_ZL28rocblas_dot_batched_4_kernelIiLi32ELi4ELb1EddPKPKfEviT5_lT_lS4_lS5_liPT4_
                                        ; -- End function
	.section	.AMDGPU.csdata,"",@progbits
; Kernel info:
; codeLenInByte = 696
; NumSgprs: 22
; NumVgprs: 16
; NumAgprs: 0
; TotalNumVgprs: 16
; ScratchSize: 0
; MemoryBound: 0
; FloatMode: 240
; IeeeMode: 1
; LDSByteSize: 0 bytes/workgroup (compile time only)
; SGPRBlocks: 2
; VGPRBlocks: 1
; NumSGPRsForWavesPerEU: 22
; NumVGPRsForWavesPerEU: 16
; AccumOffset: 16
; Occupancy: 8
; WaveLimiterHint : 0
; COMPUTE_PGM_RSRC2:SCRATCH_EN: 0
; COMPUTE_PGM_RSRC2:USER_SGPR: 6
; COMPUTE_PGM_RSRC2:TRAP_HANDLER: 0
; COMPUTE_PGM_RSRC2:TGID_X_EN: 1
; COMPUTE_PGM_RSRC2:TGID_Y_EN: 0
; COMPUTE_PGM_RSRC2:TGID_Z_EN: 0
; COMPUTE_PGM_RSRC2:TIDIG_COMP_CNT: 1
; COMPUTE_PGM_RSRC3_GFX90A:ACCUM_OFFSET: 3
; COMPUTE_PGM_RSRC3_GFX90A:TG_SPLIT: 0
	.section	.text._ZL28rocblas_dot_batched_4_kernelIiLi64ELi4ELb1EddPKPKfEviT5_lT_lS4_lS5_liPT4_,"axG",@progbits,_ZL28rocblas_dot_batched_4_kernelIiLi64ELi4ELb1EddPKPKfEviT5_lT_lS4_lS5_liPT4_,comdat
	.globl	_ZL28rocblas_dot_batched_4_kernelIiLi64ELi4ELb1EddPKPKfEviT5_lT_lS4_lS5_liPT4_ ; -- Begin function _ZL28rocblas_dot_batched_4_kernelIiLi64ELi4ELb1EddPKPKfEviT5_lT_lS4_lS5_liPT4_
	.p2align	8
	.type	_ZL28rocblas_dot_batched_4_kernelIiLi64ELi4ELb1EddPKPKfEviT5_lT_lS4_lS5_liPT4_,@function
_ZL28rocblas_dot_batched_4_kernelIiLi64ELi4ELb1EddPKPKfEviT5_lT_lS4_lS5_liPT4_: ; @_ZL28rocblas_dot_batched_4_kernelIiLi64ELi4ELb1EddPKPKfEviT5_lT_lS4_lS5_liPT4_
; %bb.0:
	s_load_dword s0, s[4:5], 0x48
	v_bfe_u32 v1, v0, 10, 10
	v_lshl_add_u32 v4, s6, 2, v1
	s_waitcnt lgkmcnt(0)
	v_cmp_gt_u32_e32 vcc, s0, v4
	s_and_saveexec_b64 s[0:1], vcc
	s_cbranch_execz .LBB581_7
; %bb.1:
	s_load_dword s14, s[4:5], 0x0
	s_load_dwordx2 s[6:7], s[4:5], 0x50
	v_mov_b32_e32 v5, 0
	v_and_b32_e32 v8, 0x3ff, v0
	v_pk_mov_b32 v[2:3], 0, 0
	s_waitcnt lgkmcnt(0)
	v_cmp_gt_i32_e32 vcc, s14, v8
	v_lshlrev_b64 v[0:1], 3, v[4:5]
	s_and_saveexec_b64 s[12:13], vcc
	s_cbranch_execz .LBB581_5
; %bb.2:
	s_load_dwordx4 s[0:3], s[4:5], 0x8
	s_load_dwordx4 s[8:11], s[4:5], 0x28
	s_load_dword s16, s[4:5], 0x18
	s_waitcnt lgkmcnt(0)
	v_mov_b32_e32 v3, s1
	v_add_co_u32_e32 v2, vcc, s0, v0
	v_addc_co_u32_e32 v3, vcc, v3, v1, vcc
	global_load_dwordx2 v[4:5], v[2:3], off
	v_mov_b32_e32 v3, s9
	v_add_co_u32_e32 v2, vcc, s8, v0
	v_addc_co_u32_e32 v3, vcc, v3, v1, vcc
	global_load_dwordx2 v[6:7], v[2:3], off
	s_load_dword s4, s[4:5], 0x38
	v_mad_i64_i32 v[10:11], s[8:9], s16, v8, 0
	s_lshl_b64 s[8:9], s[2:3], 2
	v_lshlrev_b64 v[10:11], 2, v[10:11]
	s_waitcnt lgkmcnt(0)
	v_mad_i64_i32 v[12:13], s[2:3], s4, v8, 0
	v_mov_b32_e32 v9, s9
	v_add_co_u32_e32 v15, vcc, s8, v10
	s_lshl_b64 s[10:11], s[10:11], 2
	v_lshlrev_b64 v[12:13], 2, v[12:13]
	v_addc_co_u32_e32 v11, vcc, v11, v9, vcc
	v_mov_b32_e32 v14, s11
	v_add_co_u32_e32 v12, vcc, s10, v12
	v_addc_co_u32_e32 v13, vcc, v13, v14, vcc
	s_ashr_i32 s17, s16, 31
	s_ashr_i32 s5, s4, 31
	s_lshl_b64 s[2:3], s[16:17], 8
	s_lshl_b64 s[4:5], s[4:5], 8
	s_mov_b64 s[0:1], 0
	v_pk_mov_b32 v[2:3], 0, 0
	v_mov_b32_e32 v9, s3
	v_mov_b32_e32 v10, s5
	s_waitcnt vmcnt(1)
	v_add_co_u32_e32 v4, vcc, v4, v15
	v_addc_co_u32_e32 v5, vcc, v5, v11, vcc
	v_mov_b32_e32 v11, v8
	s_waitcnt vmcnt(0)
	v_add_co_u32_e32 v6, vcc, v6, v12
	v_addc_co_u32_e32 v7, vcc, v7, v13, vcc
.LBB581_3:                              ; =>This Inner Loop Header: Depth=1
	global_load_dword v12, v[4:5], off
	global_load_dword v14, v[6:7], off
	v_add_co_u32_e32 v4, vcc, s2, v4
	v_addc_co_u32_e32 v5, vcc, v5, v9, vcc
	v_add_co_u32_e32 v6, vcc, s4, v6
	v_add_u32_e32 v11, 64, v11
	v_addc_co_u32_e32 v7, vcc, v7, v10, vcc
	v_cmp_le_i32_e32 vcc, s14, v11
	s_or_b64 s[0:1], vcc, s[0:1]
	s_waitcnt vmcnt(1)
	v_cvt_f64_f32_e32 v[12:13], v12
	s_waitcnt vmcnt(0)
	v_cvt_f64_f32_e32 v[14:15], v14
	v_fmac_f64_e32 v[2:3], v[12:13], v[14:15]
	s_andn2_b64 exec, exec, s[0:1]
	s_cbranch_execnz .LBB581_3
; %bb.4:
	s_or_b64 exec, exec, s[0:1]
.LBB581_5:
	s_or_b64 exec, exec, s[12:13]
	v_mbcnt_lo_u32_b32 v4, -1, 0
	v_mbcnt_hi_u32_b32 v6, -1, v4
	v_and_b32_e32 v7, 63, v6
	v_cmp_gt_u32_e32 vcc, 32, v7
	v_cndmask_b32_e64 v4, 0, 1, vcc
	v_lshlrev_b32_e32 v4, 5, v4
	v_add_lshl_u32 v5, v4, v6, 2
	ds_bpermute_b32 v4, v5, v2
	ds_bpermute_b32 v5, v5, v3
	v_cmp_gt_u32_e32 vcc, 48, v7
	v_cndmask_b32_e64 v9, 0, 1, vcc
	v_cmp_gt_u32_e32 vcc, 56, v7
	s_waitcnt lgkmcnt(0)
	v_add_f64 v[2:3], v[2:3], v[4:5]
	v_lshlrev_b32_e32 v4, 4, v9
	v_add_lshl_u32 v5, v4, v6, 2
	ds_bpermute_b32 v4, v5, v2
	ds_bpermute_b32 v5, v5, v3
	s_barrier
	s_waitcnt lgkmcnt(0)
	v_add_f64 v[2:3], v[2:3], v[4:5]
	v_cndmask_b32_e64 v4, 0, 1, vcc
	v_lshlrev_b32_e32 v4, 3, v4
	v_add_lshl_u32 v5, v4, v6, 2
	ds_bpermute_b32 v4, v5, v2
	ds_bpermute_b32 v5, v5, v3
	v_cmp_gt_u32_e32 vcc, 60, v7
	s_waitcnt lgkmcnt(0)
	v_add_f64 v[2:3], v[2:3], v[4:5]
	v_cndmask_b32_e64 v4, 0, 1, vcc
	v_lshlrev_b32_e32 v4, 2, v4
	v_add_lshl_u32 v5, v4, v6, 2
	ds_bpermute_b32 v4, v5, v2
	ds_bpermute_b32 v5, v5, v3
	v_cmp_gt_u32_e32 vcc, 62, v7
	s_waitcnt lgkmcnt(0)
	v_add_f64 v[2:3], v[2:3], v[4:5]
	v_cndmask_b32_e64 v4, 0, 1, vcc
	v_lshlrev_b32_e32 v4, 1, v4
	v_add_lshl_u32 v5, v4, v6, 2
	ds_bpermute_b32 v4, v5, v2
	ds_bpermute_b32 v5, v5, v3
	v_cmp_ne_u32_e32 vcc, 63, v7
	s_waitcnt lgkmcnt(0)
	v_add_f64 v[2:3], v[2:3], v[4:5]
	v_addc_co_u32_e32 v4, vcc, 0, v6, vcc
	v_lshlrev_b32_e32 v5, 2, v4
	ds_bpermute_b32 v4, v5, v2
	ds_bpermute_b32 v5, v5, v3
	v_cmp_eq_u32_e32 vcc, 0, v8
	s_and_b64 exec, exec, vcc
	s_cbranch_execz .LBB581_7
; %bb.6:
	v_mov_b32_e32 v6, s7
	v_add_co_u32_e32 v0, vcc, s6, v0
	v_addc_co_u32_e32 v1, vcc, v6, v1, vcc
	s_waitcnt lgkmcnt(0)
	v_add_f64 v[2:3], v[2:3], v[4:5]
	global_store_dwordx2 v[0:1], v[2:3], off
.LBB581_7:
	s_endpgm
	.section	.rodata,"a",@progbits
	.p2align	6, 0x0
	.amdhsa_kernel _ZL28rocblas_dot_batched_4_kernelIiLi64ELi4ELb1EddPKPKfEviT5_lT_lS4_lS5_liPT4_
		.amdhsa_group_segment_fixed_size 0
		.amdhsa_private_segment_fixed_size 0
		.amdhsa_kernarg_size 88
		.amdhsa_user_sgpr_count 6
		.amdhsa_user_sgpr_private_segment_buffer 1
		.amdhsa_user_sgpr_dispatch_ptr 0
		.amdhsa_user_sgpr_queue_ptr 0
		.amdhsa_user_sgpr_kernarg_segment_ptr 1
		.amdhsa_user_sgpr_dispatch_id 0
		.amdhsa_user_sgpr_flat_scratch_init 0
		.amdhsa_user_sgpr_kernarg_preload_length 0
		.amdhsa_user_sgpr_kernarg_preload_offset 0
		.amdhsa_user_sgpr_private_segment_size 0
		.amdhsa_uses_dynamic_stack 0
		.amdhsa_system_sgpr_private_segment_wavefront_offset 0
		.amdhsa_system_sgpr_workgroup_id_x 1
		.amdhsa_system_sgpr_workgroup_id_y 0
		.amdhsa_system_sgpr_workgroup_id_z 0
		.amdhsa_system_sgpr_workgroup_info 0
		.amdhsa_system_vgpr_workitem_id 1
		.amdhsa_next_free_vgpr 16
		.amdhsa_next_free_sgpr 18
		.amdhsa_accum_offset 16
		.amdhsa_reserve_vcc 1
		.amdhsa_reserve_flat_scratch 0
		.amdhsa_float_round_mode_32 0
		.amdhsa_float_round_mode_16_64 0
		.amdhsa_float_denorm_mode_32 3
		.amdhsa_float_denorm_mode_16_64 3
		.amdhsa_dx10_clamp 1
		.amdhsa_ieee_mode 1
		.amdhsa_fp16_overflow 0
		.amdhsa_tg_split 0
		.amdhsa_exception_fp_ieee_invalid_op 0
		.amdhsa_exception_fp_denorm_src 0
		.amdhsa_exception_fp_ieee_div_zero 0
		.amdhsa_exception_fp_ieee_overflow 0
		.amdhsa_exception_fp_ieee_underflow 0
		.amdhsa_exception_fp_ieee_inexact 0
		.amdhsa_exception_int_div_zero 0
	.end_amdhsa_kernel
	.section	.text._ZL28rocblas_dot_batched_4_kernelIiLi64ELi4ELb1EddPKPKfEviT5_lT_lS4_lS5_liPT4_,"axG",@progbits,_ZL28rocblas_dot_batched_4_kernelIiLi64ELi4ELb1EddPKPKfEviT5_lT_lS4_lS5_liPT4_,comdat
.Lfunc_end581:
	.size	_ZL28rocblas_dot_batched_4_kernelIiLi64ELi4ELb1EddPKPKfEviT5_lT_lS4_lS5_liPT4_, .Lfunc_end581-_ZL28rocblas_dot_batched_4_kernelIiLi64ELi4ELb1EddPKPKfEviT5_lT_lS4_lS5_liPT4_
                                        ; -- End function
	.section	.AMDGPU.csdata,"",@progbits
; Kernel info:
; codeLenInByte = 748
; NumSgprs: 22
; NumVgprs: 16
; NumAgprs: 0
; TotalNumVgprs: 16
; ScratchSize: 0
; MemoryBound: 0
; FloatMode: 240
; IeeeMode: 1
; LDSByteSize: 0 bytes/workgroup (compile time only)
; SGPRBlocks: 2
; VGPRBlocks: 1
; NumSGPRsForWavesPerEU: 22
; NumVGPRsForWavesPerEU: 16
; AccumOffset: 16
; Occupancy: 8
; WaveLimiterHint : 0
; COMPUTE_PGM_RSRC2:SCRATCH_EN: 0
; COMPUTE_PGM_RSRC2:USER_SGPR: 6
; COMPUTE_PGM_RSRC2:TRAP_HANDLER: 0
; COMPUTE_PGM_RSRC2:TGID_X_EN: 1
; COMPUTE_PGM_RSRC2:TGID_Y_EN: 0
; COMPUTE_PGM_RSRC2:TGID_Z_EN: 0
; COMPUTE_PGM_RSRC2:TIDIG_COMP_CNT: 1
; COMPUTE_PGM_RSRC3_GFX90A:ACCUM_OFFSET: 3
; COMPUTE_PGM_RSRC3_GFX90A:TG_SPLIT: 0
	.section	.text._ZL26rocblas_dot_kernel_inc1by2ILb1ELi1024ELi32ELb1EdPKPKfdEviT4_llS4_lliPT5_PT3_,"axG",@progbits,_ZL26rocblas_dot_kernel_inc1by2ILb1ELi1024ELi32ELb1EdPKPKfdEviT4_llS4_lliPT5_PT3_,comdat
	.globl	_ZL26rocblas_dot_kernel_inc1by2ILb1ELi1024ELi32ELb1EdPKPKfdEviT4_llS4_lliPT5_PT3_ ; -- Begin function _ZL26rocblas_dot_kernel_inc1by2ILb1ELi1024ELi32ELb1EdPKPKfdEviT4_llS4_lliPT5_PT3_
	.p2align	8
	.type	_ZL26rocblas_dot_kernel_inc1by2ILb1ELi1024ELi32ELb1EdPKPKfdEviT4_llS4_lliPT5_PT3_,@function
_ZL26rocblas_dot_kernel_inc1by2ILb1ELi1024ELi32ELb1EdPKPKfdEviT4_llS4_lliPT5_PT3_: ; @_ZL26rocblas_dot_kernel_inc1by2ILb1ELi1024ELi32ELb1EdPKPKfdEviT4_llS4_lliPT5_PT3_
; %bb.0:
	s_mov_b32 s2, s7
	s_load_dword s10, s[4:5], 0x0
	s_load_dwordx2 s[6:7], s[4:5], 0x48
	s_mov_b32 s3, 0
	v_pk_mov_b32 v[2:3], 0, 0
	s_waitcnt lgkmcnt(0)
	v_cmp_gt_i32_e32 vcc, s10, v0
	s_and_saveexec_b64 s[8:9], vcc
	s_cbranch_execz .LBB582_4
; %bb.1:
	s_load_dwordx4 s[12:15], s[4:5], 0x8
	s_load_dwordx4 s[16:19], s[4:5], 0x20
	s_lshl_b64 s[0:1], s[2:3], 3
	v_lshlrev_b32_e32 v2, 2, v0
	v_or_b32_e32 v1, 0x400, v0
	s_waitcnt lgkmcnt(0)
	s_add_u32 s4, s12, s0
	s_addc_u32 s5, s13, s1
	s_add_u32 s0, s16, s0
	s_addc_u32 s1, s17, s1
	s_load_dwordx2 s[0:1], s[0:1], 0x0
	s_lshl_b64 s[12:13], s[18:19], 2
	s_load_dwordx2 s[4:5], s[4:5], 0x0
	s_mov_b32 s11, s3
	s_waitcnt lgkmcnt(0)
	s_add_u32 s0, s0, s12
	s_addc_u32 s1, s1, s13
	v_mov_b32_e32 v3, s1
	v_add_co_u32_e32 v4, vcc, s0, v2
	s_lshl_b64 s[0:1], s[14:15], 2
	s_add_u32 s0, s4, s0
	v_addc_co_u32_e32 v5, vcc, 0, v3, vcc
	s_addc_u32 s1, s5, s1
	v_mov_b32_e32 v3, s1
	v_add_co_u32_e32 v6, vcc, s0, v2
	v_addc_co_u32_e32 v7, vcc, 0, v3, vcc
	s_mov_b64 s[4:5], 0
	v_pk_mov_b32 v[2:3], 0, 0
.LBB582_2:                              ; =>This Inner Loop Header: Depth=1
	global_load_dword v8, v[4:5], off
	global_load_dword v10, v[6:7], off
	s_add_i32 s12, s11, 1
	s_cmp_gt_u32 s11, 30
	v_cmp_le_i32_e64 s[0:1], s10, v1
	v_add_co_u32_e32 v4, vcc, 0x1000, v4
	s_mov_b32 s11, s12
	s_cselect_b64 s[12:13], -1, 0
	v_addc_co_u32_e32 v5, vcc, 0, v5, vcc
	s_or_b64 s[0:1], s[12:13], s[0:1]
	v_add_co_u32_e32 v6, vcc, 0x1000, v6
	s_and_b64 s[0:1], exec, s[0:1]
	v_add_u32_e32 v1, 0x400, v1
	v_addc_co_u32_e32 v7, vcc, 0, v7, vcc
	s_or_b64 s[4:5], s[0:1], s[4:5]
	s_waitcnt vmcnt(1)
	v_cvt_f64_f32_e32 v[8:9], v8
	s_waitcnt vmcnt(0)
	v_cvt_f64_f32_e32 v[10:11], v10
	v_fmac_f64_e32 v[2:3], v[8:9], v[10:11]
	s_andn2_b64 exec, exec, s[4:5]
	s_cbranch_execnz .LBB582_2
; %bb.3:
	s_or_b64 exec, exec, s[4:5]
.LBB582_4:
	s_or_b64 exec, exec, s[8:9]
	v_and_b32_e32 v6, 63, v0
	v_cmp_gt_u32_e32 vcc, 64, v0
	v_lshlrev_b32_e32 v1, 3, v6
	s_and_saveexec_b64 s[0:1], vcc
	s_cbranch_execz .LBB582_6
; %bb.5:
	v_mov_b32_e32 v4, 0
	v_mov_b32_e32 v5, v4
	ds_write_b64 v1, v[4:5]
.LBB582_6:
	s_or_b64 exec, exec, s[0:1]
	v_mbcnt_lo_u32_b32 v4, -1, 0
	v_mbcnt_hi_u32_b32 v10, -1, v4
	v_and_b32_e32 v11, 63, v10
	v_cmp_gt_u32_e64 s[0:1], 32, v11
	v_cndmask_b32_e64 v4, 0, 1, s[0:1]
	v_lshlrev_b32_e32 v4, 5, v4
	v_add_lshl_u32 v5, v4, v10, 2
	ds_bpermute_b32 v4, v5, v2
	ds_bpermute_b32 v5, v5, v3
	v_cmp_gt_u32_e64 s[0:1], 48, v11
	v_cndmask_b32_e64 v7, 0, 1, s[0:1]
	v_cmp_gt_u32_e64 s[0:1], 56, v11
	s_waitcnt lgkmcnt(0)
	v_add_f64 v[2:3], v[2:3], v[4:5]
	v_lshlrev_b32_e32 v4, 4, v7
	v_add_lshl_u32 v5, v4, v10, 2
	ds_bpermute_b32 v4, v5, v2
	ds_bpermute_b32 v5, v5, v3
	s_barrier
	s_waitcnt lgkmcnt(0)
	v_add_f64 v[2:3], v[2:3], v[4:5]
	v_cndmask_b32_e64 v4, 0, 1, s[0:1]
	v_lshlrev_b32_e32 v4, 3, v4
	v_add_lshl_u32 v7, v4, v10, 2
	ds_bpermute_b32 v4, v7, v2
	ds_bpermute_b32 v5, v7, v3
	v_cmp_gt_u32_e64 s[0:1], 60, v11
	s_waitcnt lgkmcnt(0)
	v_add_f64 v[2:3], v[2:3], v[4:5]
	v_cndmask_b32_e64 v4, 0, 1, s[0:1]
	v_lshlrev_b32_e32 v4, 2, v4
	v_add_lshl_u32 v8, v4, v10, 2
	ds_bpermute_b32 v4, v8, v2
	ds_bpermute_b32 v5, v8, v3
	v_cmp_gt_u32_e64 s[0:1], 62, v11
	s_waitcnt lgkmcnt(0)
	v_add_f64 v[2:3], v[2:3], v[4:5]
	v_cndmask_b32_e64 v4, 0, 1, s[0:1]
	v_lshlrev_b32_e32 v4, 1, v4
	v_add_lshl_u32 v9, v4, v10, 2
	ds_bpermute_b32 v4, v9, v2
	ds_bpermute_b32 v5, v9, v3
	v_cmp_ne_u32_e64 s[0:1], 63, v11
	s_waitcnt lgkmcnt(0)
	v_add_f64 v[2:3], v[2:3], v[4:5]
	v_addc_co_u32_e64 v4, s[0:1], 0, v10, s[0:1]
	v_lshlrev_b32_e32 v10, 2, v4
	ds_bpermute_b32 v4, v10, v2
	ds_bpermute_b32 v5, v10, v3
	v_cmp_eq_u32_e64 s[0:1], 0, v6
	s_and_saveexec_b64 s[4:5], s[0:1]
	s_cbranch_execz .LBB582_8
; %bb.7:
	s_waitcnt lgkmcnt(0)
	v_add_f64 v[2:3], v[2:3], v[4:5]
	v_lshrrev_b32_e32 v4, 3, v0
	v_and_b32_e32 v4, 0x78, v4
	ds_write_b64 v4, v[2:3]
.LBB582_8:
	s_or_b64 exec, exec, s[4:5]
	v_cmp_gt_u32_e64 s[0:1], 16, v0
	v_pk_mov_b32 v[2:3], 0, 0
	s_waitcnt lgkmcnt(0)
	s_barrier
	s_and_saveexec_b64 s[4:5], s[0:1]
	s_cbranch_execnz .LBB582_12
; %bb.9:
	s_or_b64 exec, exec, s[4:5]
	s_and_saveexec_b64 s[0:1], vcc
	s_cbranch_execnz .LBB582_13
.LBB582_10:
	s_or_b64 exec, exec, s[0:1]
	v_cmp_eq_u32_e32 vcc, 0, v0
	s_and_saveexec_b64 s[0:1], vcc
	s_cbranch_execnz .LBB582_14
.LBB582_11:
	s_endpgm
.LBB582_12:
	ds_read_b64 v[2:3], v1
	s_or_b64 exec, exec, s[4:5]
	s_and_saveexec_b64 s[0:1], vcc
	s_cbranch_execz .LBB582_10
.LBB582_13:
	s_waitcnt lgkmcnt(0)
	ds_bpermute_b32 v4, v7, v2
	ds_bpermute_b32 v5, v7, v3
	s_waitcnt lgkmcnt(0)
	v_add_f64 v[2:3], v[2:3], v[4:5]
	ds_bpermute_b32 v4, v8, v2
	ds_bpermute_b32 v5, v8, v3
	s_waitcnt lgkmcnt(0)
	v_add_f64 v[2:3], v[2:3], v[4:5]
	;; [unrolled: 4-line block ×4, first 2 shown]
	s_or_b64 exec, exec, s[0:1]
	v_cmp_eq_u32_e32 vcc, 0, v0
	s_and_saveexec_b64 s[0:1], vcc
	s_cbranch_execz .LBB582_11
.LBB582_14:
	s_lshl_b64 s[0:1], s[2:3], 3
	s_add_u32 s0, s6, s0
	s_addc_u32 s1, s7, s1
	v_mov_b32_e32 v0, 0
	s_waitcnt lgkmcnt(0)
	global_store_dwordx2 v0, v[2:3], s[0:1]
	s_endpgm
	.section	.rodata,"a",@progbits
	.p2align	6, 0x0
	.amdhsa_kernel _ZL26rocblas_dot_kernel_inc1by2ILb1ELi1024ELi32ELb1EdPKPKfdEviT4_llS4_lliPT5_PT3_
		.amdhsa_group_segment_fixed_size 512
		.amdhsa_private_segment_fixed_size 0
		.amdhsa_kernarg_size 80
		.amdhsa_user_sgpr_count 6
		.amdhsa_user_sgpr_private_segment_buffer 1
		.amdhsa_user_sgpr_dispatch_ptr 0
		.amdhsa_user_sgpr_queue_ptr 0
		.amdhsa_user_sgpr_kernarg_segment_ptr 1
		.amdhsa_user_sgpr_dispatch_id 0
		.amdhsa_user_sgpr_flat_scratch_init 0
		.amdhsa_user_sgpr_kernarg_preload_length 0
		.amdhsa_user_sgpr_kernarg_preload_offset 0
		.amdhsa_user_sgpr_private_segment_size 0
		.amdhsa_uses_dynamic_stack 0
		.amdhsa_system_sgpr_private_segment_wavefront_offset 0
		.amdhsa_system_sgpr_workgroup_id_x 1
		.amdhsa_system_sgpr_workgroup_id_y 0
		.amdhsa_system_sgpr_workgroup_id_z 1
		.amdhsa_system_sgpr_workgroup_info 0
		.amdhsa_system_vgpr_workitem_id 0
		.amdhsa_next_free_vgpr 12
		.amdhsa_next_free_sgpr 20
		.amdhsa_accum_offset 12
		.amdhsa_reserve_vcc 1
		.amdhsa_reserve_flat_scratch 0
		.amdhsa_float_round_mode_32 0
		.amdhsa_float_round_mode_16_64 0
		.amdhsa_float_denorm_mode_32 3
		.amdhsa_float_denorm_mode_16_64 3
		.amdhsa_dx10_clamp 1
		.amdhsa_ieee_mode 1
		.amdhsa_fp16_overflow 0
		.amdhsa_tg_split 0
		.amdhsa_exception_fp_ieee_invalid_op 0
		.amdhsa_exception_fp_denorm_src 0
		.amdhsa_exception_fp_ieee_div_zero 0
		.amdhsa_exception_fp_ieee_overflow 0
		.amdhsa_exception_fp_ieee_underflow 0
		.amdhsa_exception_fp_ieee_inexact 0
		.amdhsa_exception_int_div_zero 0
	.end_amdhsa_kernel
	.section	.text._ZL26rocblas_dot_kernel_inc1by2ILb1ELi1024ELi32ELb1EdPKPKfdEviT4_llS4_lliPT5_PT3_,"axG",@progbits,_ZL26rocblas_dot_kernel_inc1by2ILb1ELi1024ELi32ELb1EdPKPKfdEviT4_llS4_lliPT5_PT3_,comdat
.Lfunc_end582:
	.size	_ZL26rocblas_dot_kernel_inc1by2ILb1ELi1024ELi32ELb1EdPKPKfdEviT4_llS4_lliPT5_PT3_, .Lfunc_end582-_ZL26rocblas_dot_kernel_inc1by2ILb1ELi1024ELi32ELb1EdPKPKfdEviT4_llS4_lliPT5_PT3_
                                        ; -- End function
	.section	.AMDGPU.csdata,"",@progbits
; Kernel info:
; codeLenInByte = 984
; NumSgprs: 24
; NumVgprs: 12
; NumAgprs: 0
; TotalNumVgprs: 12
; ScratchSize: 0
; MemoryBound: 0
; FloatMode: 240
; IeeeMode: 1
; LDSByteSize: 512 bytes/workgroup (compile time only)
; SGPRBlocks: 2
; VGPRBlocks: 1
; NumSGPRsForWavesPerEU: 24
; NumVGPRsForWavesPerEU: 12
; AccumOffset: 12
; Occupancy: 8
; WaveLimiterHint : 0
; COMPUTE_PGM_RSRC2:SCRATCH_EN: 0
; COMPUTE_PGM_RSRC2:USER_SGPR: 6
; COMPUTE_PGM_RSRC2:TRAP_HANDLER: 0
; COMPUTE_PGM_RSRC2:TGID_X_EN: 1
; COMPUTE_PGM_RSRC2:TGID_Y_EN: 0
; COMPUTE_PGM_RSRC2:TGID_Z_EN: 1
; COMPUTE_PGM_RSRC2:TIDIG_COMP_CNT: 0
; COMPUTE_PGM_RSRC3_GFX90A:ACCUM_OFFSET: 2
; COMPUTE_PGM_RSRC3_GFX90A:TG_SPLIT: 0
	.section	.text._ZL18rocblas_dot_kernelIiLb1ELi1024ELi32ELb1EdPKPKfdEviT5_lT_lS4_lS5_liPT6_PT4_,"axG",@progbits,_ZL18rocblas_dot_kernelIiLb1ELi1024ELi32ELb1EdPKPKfdEviT5_lT_lS4_lS5_liPT6_PT4_,comdat
	.globl	_ZL18rocblas_dot_kernelIiLb1ELi1024ELi32ELb1EdPKPKfdEviT5_lT_lS4_lS5_liPT6_PT4_ ; -- Begin function _ZL18rocblas_dot_kernelIiLb1ELi1024ELi32ELb1EdPKPKfdEviT5_lT_lS4_lS5_liPT6_PT4_
	.p2align	8
	.type	_ZL18rocblas_dot_kernelIiLb1ELi1024ELi32ELb1EdPKPKfdEviT5_lT_lS4_lS5_liPT6_PT4_,@function
_ZL18rocblas_dot_kernelIiLb1ELi1024ELi32ELb1EdPKPKfdEviT5_lT_lS4_lS5_liPT6_PT4_: ; @_ZL18rocblas_dot_kernelIiLb1ELi1024ELi32ELb1EdPKPKfdEviT5_lT_lS4_lS5_liPT6_PT4_
; %bb.0:
	s_mov_b32 s2, s7
	s_load_dword s14, s[4:5], 0x0
	s_load_dwordx2 s[6:7], s[4:5], 0x58
	s_mov_b32 s3, 0
	v_pk_mov_b32 v[2:3], 0, 0
	s_waitcnt lgkmcnt(0)
	v_cmp_gt_i32_e32 vcc, s14, v0
	s_and_saveexec_b64 s[8:9], vcc
	s_cbranch_execz .LBB583_4
; %bb.1:
	s_load_dwordx4 s[16:19], s[4:5], 0x8
	s_load_dword s24, s[4:5], 0x18
	s_lshl_b64 s[0:1], s[2:3], 3
	s_load_dwordx4 s[20:23], s[4:5], 0x28
	s_waitcnt lgkmcnt(0)
	s_add_u32 s10, s16, s0
	s_addc_u32 s11, s17, s1
	s_load_dword s16, s[4:5], 0x38
	s_load_dword s15, s[4:5], 0x60
	s_load_dwordx2 s[12:13], s[10:11], 0x0
	s_add_u32 s0, s20, s0
	v_mad_i64_i32 v[2:3], s[4:5], s24, v0, 0
	s_addc_u32 s1, s21, s1
	s_waitcnt lgkmcnt(0)
	s_lshl_b32 s15, s15, 10
	s_lshl_b64 s[4:5], s[18:19], 2
	s_load_dwordx2 s[0:1], s[0:1], 0x0
	s_add_u32 s4, s12, s4
	v_lshlrev_b64 v[2:3], 2, v[2:3]
	s_addc_u32 s5, s13, s5
	v_mov_b32_e32 v5, s5
	v_add_co_u32_e32 v4, vcc, s4, v2
	v_addc_co_u32_e32 v5, vcc, v5, v3, vcc
	s_mul_hi_i32 s5, s24, s15
	s_mul_i32 s4, s24, s15
	v_mad_i64_i32 v[2:3], s[10:11], s16, v0, 0
	s_lshl_b64 s[4:5], s[4:5], 2
	s_lshl_b64 s[10:11], s[22:23], 2
	s_waitcnt lgkmcnt(0)
	s_add_u32 s0, s0, s10
	v_lshlrev_b64 v[2:3], 2, v[2:3]
	s_addc_u32 s1, s1, s11
	v_mov_b32_e32 v7, s1
	v_add_co_u32_e32 v6, vcc, s0, v2
	s_mul_hi_i32 s1, s16, s15
	s_mul_i32 s0, s16, s15
	s_lshl_b64 s[12:13], s[0:1], 2
	v_or_b32_e32 v1, s15, v0
	v_addc_co_u32_e32 v7, vcc, v7, v3, vcc
	s_mov_b64 s[10:11], 0
	v_pk_mov_b32 v[2:3], 0, 0
	v_mov_b32_e32 v8, s5
	v_mov_b32_e32 v9, s13
	s_mov_b32 s5, s3
.LBB583_2:                              ; =>This Inner Loop Header: Depth=1
	global_load_dword v10, v[6:7], off
	global_load_dword v12, v[4:5], off
	v_add_co_u32_e64 v4, s[0:1], s4, v4
	v_addc_co_u32_e64 v5, s[0:1], v5, v8, s[0:1]
	s_add_i32 s13, s5, 1
	v_add_co_u32_e64 v6, s[0:1], s12, v6
	v_addc_co_u32_e64 v7, s[0:1], v7, v9, s[0:1]
	s_cmp_gt_u32 s5, 30
	v_cmp_le_i32_e32 vcc, s14, v1
	s_cselect_b64 s[0:1], -1, 0
	s_or_b64 s[0:1], s[0:1], vcc
	s_and_b64 s[0:1], exec, s[0:1]
	v_add_u32_e32 v1, s15, v1
	s_mov_b32 s5, s13
	s_or_b64 s[10:11], s[0:1], s[10:11]
	s_waitcnt vmcnt(1)
	v_cvt_f64_f32_e32 v[10:11], v10
	s_waitcnt vmcnt(0)
	v_cvt_f64_f32_e32 v[12:13], v12
	v_fmac_f64_e32 v[2:3], v[10:11], v[12:13]
	s_andn2_b64 exec, exec, s[10:11]
	s_cbranch_execnz .LBB583_2
; %bb.3:
	s_or_b64 exec, exec, s[10:11]
.LBB583_4:
	s_or_b64 exec, exec, s[8:9]
	v_and_b32_e32 v6, 63, v0
	v_cmp_gt_u32_e32 vcc, 64, v0
	v_lshlrev_b32_e32 v1, 3, v6
	s_and_saveexec_b64 s[0:1], vcc
	s_cbranch_execz .LBB583_6
; %bb.5:
	v_mov_b32_e32 v4, 0
	v_mov_b32_e32 v5, v4
	ds_write_b64 v1, v[4:5]
.LBB583_6:
	s_or_b64 exec, exec, s[0:1]
	v_mbcnt_lo_u32_b32 v4, -1, 0
	v_mbcnt_hi_u32_b32 v10, -1, v4
	v_and_b32_e32 v11, 63, v10
	v_cmp_gt_u32_e64 s[0:1], 32, v11
	v_cndmask_b32_e64 v4, 0, 1, s[0:1]
	v_lshlrev_b32_e32 v4, 5, v4
	v_add_lshl_u32 v5, v4, v10, 2
	ds_bpermute_b32 v4, v5, v2
	ds_bpermute_b32 v5, v5, v3
	v_cmp_gt_u32_e64 s[0:1], 48, v11
	v_cndmask_b32_e64 v7, 0, 1, s[0:1]
	v_cmp_gt_u32_e64 s[0:1], 56, v11
	s_waitcnt lgkmcnt(0)
	v_add_f64 v[2:3], v[2:3], v[4:5]
	v_lshlrev_b32_e32 v4, 4, v7
	v_add_lshl_u32 v5, v4, v10, 2
	ds_bpermute_b32 v4, v5, v2
	ds_bpermute_b32 v5, v5, v3
	s_barrier
	s_waitcnt lgkmcnt(0)
	v_add_f64 v[2:3], v[2:3], v[4:5]
	v_cndmask_b32_e64 v4, 0, 1, s[0:1]
	v_lshlrev_b32_e32 v4, 3, v4
	v_add_lshl_u32 v7, v4, v10, 2
	ds_bpermute_b32 v4, v7, v2
	ds_bpermute_b32 v5, v7, v3
	v_cmp_gt_u32_e64 s[0:1], 60, v11
	s_waitcnt lgkmcnt(0)
	v_add_f64 v[2:3], v[2:3], v[4:5]
	v_cndmask_b32_e64 v4, 0, 1, s[0:1]
	v_lshlrev_b32_e32 v4, 2, v4
	v_add_lshl_u32 v8, v4, v10, 2
	ds_bpermute_b32 v4, v8, v2
	ds_bpermute_b32 v5, v8, v3
	v_cmp_gt_u32_e64 s[0:1], 62, v11
	s_waitcnt lgkmcnt(0)
	v_add_f64 v[2:3], v[2:3], v[4:5]
	v_cndmask_b32_e64 v4, 0, 1, s[0:1]
	v_lshlrev_b32_e32 v4, 1, v4
	v_add_lshl_u32 v9, v4, v10, 2
	ds_bpermute_b32 v4, v9, v2
	ds_bpermute_b32 v5, v9, v3
	v_cmp_ne_u32_e64 s[0:1], 63, v11
	s_waitcnt lgkmcnt(0)
	v_add_f64 v[2:3], v[2:3], v[4:5]
	v_addc_co_u32_e64 v4, s[0:1], 0, v10, s[0:1]
	v_lshlrev_b32_e32 v10, 2, v4
	ds_bpermute_b32 v4, v10, v2
	ds_bpermute_b32 v5, v10, v3
	v_cmp_eq_u32_e64 s[0:1], 0, v6
	s_and_saveexec_b64 s[4:5], s[0:1]
	s_cbranch_execz .LBB583_8
; %bb.7:
	s_waitcnt lgkmcnt(0)
	v_add_f64 v[2:3], v[2:3], v[4:5]
	v_lshrrev_b32_e32 v4, 3, v0
	v_and_b32_e32 v4, 0x78, v4
	ds_write_b64 v4, v[2:3]
.LBB583_8:
	s_or_b64 exec, exec, s[4:5]
	v_cmp_gt_u32_e64 s[0:1], 16, v0
	v_pk_mov_b32 v[2:3], 0, 0
	s_waitcnt lgkmcnt(0)
	s_barrier
	s_and_saveexec_b64 s[4:5], s[0:1]
	s_cbranch_execnz .LBB583_12
; %bb.9:
	s_or_b64 exec, exec, s[4:5]
	s_and_saveexec_b64 s[0:1], vcc
	s_cbranch_execnz .LBB583_13
.LBB583_10:
	s_or_b64 exec, exec, s[0:1]
	v_cmp_eq_u32_e32 vcc, 0, v0
	s_and_saveexec_b64 s[0:1], vcc
	s_cbranch_execnz .LBB583_14
.LBB583_11:
	s_endpgm
.LBB583_12:
	ds_read_b64 v[2:3], v1
	s_or_b64 exec, exec, s[4:5]
	s_and_saveexec_b64 s[0:1], vcc
	s_cbranch_execz .LBB583_10
.LBB583_13:
	s_waitcnt lgkmcnt(0)
	ds_bpermute_b32 v4, v7, v2
	ds_bpermute_b32 v5, v7, v3
	s_waitcnt lgkmcnt(0)
	v_add_f64 v[2:3], v[2:3], v[4:5]
	ds_bpermute_b32 v4, v8, v2
	ds_bpermute_b32 v5, v8, v3
	s_waitcnt lgkmcnt(0)
	v_add_f64 v[2:3], v[2:3], v[4:5]
	;; [unrolled: 4-line block ×4, first 2 shown]
	s_or_b64 exec, exec, s[0:1]
	v_cmp_eq_u32_e32 vcc, 0, v0
	s_and_saveexec_b64 s[0:1], vcc
	s_cbranch_execz .LBB583_11
.LBB583_14:
	s_lshl_b64 s[0:1], s[2:3], 3
	s_add_u32 s0, s6, s0
	s_addc_u32 s1, s7, s1
	v_mov_b32_e32 v0, 0
	s_waitcnt lgkmcnt(0)
	global_store_dwordx2 v0, v[2:3], s[0:1]
	s_endpgm
	.section	.rodata,"a",@progbits
	.p2align	6, 0x0
	.amdhsa_kernel _ZL18rocblas_dot_kernelIiLb1ELi1024ELi32ELb1EdPKPKfdEviT5_lT_lS4_lS5_liPT6_PT4_
		.amdhsa_group_segment_fixed_size 512
		.amdhsa_private_segment_fixed_size 0
		.amdhsa_kernarg_size 352
		.amdhsa_user_sgpr_count 6
		.amdhsa_user_sgpr_private_segment_buffer 1
		.amdhsa_user_sgpr_dispatch_ptr 0
		.amdhsa_user_sgpr_queue_ptr 0
		.amdhsa_user_sgpr_kernarg_segment_ptr 1
		.amdhsa_user_sgpr_dispatch_id 0
		.amdhsa_user_sgpr_flat_scratch_init 0
		.amdhsa_user_sgpr_kernarg_preload_length 0
		.amdhsa_user_sgpr_kernarg_preload_offset 0
		.amdhsa_user_sgpr_private_segment_size 0
		.amdhsa_uses_dynamic_stack 0
		.amdhsa_system_sgpr_private_segment_wavefront_offset 0
		.amdhsa_system_sgpr_workgroup_id_x 1
		.amdhsa_system_sgpr_workgroup_id_y 0
		.amdhsa_system_sgpr_workgroup_id_z 1
		.amdhsa_system_sgpr_workgroup_info 0
		.amdhsa_system_vgpr_workitem_id 0
		.amdhsa_next_free_vgpr 14
		.amdhsa_next_free_sgpr 25
		.amdhsa_accum_offset 16
		.amdhsa_reserve_vcc 1
		.amdhsa_reserve_flat_scratch 0
		.amdhsa_float_round_mode_32 0
		.amdhsa_float_round_mode_16_64 0
		.amdhsa_float_denorm_mode_32 3
		.amdhsa_float_denorm_mode_16_64 3
		.amdhsa_dx10_clamp 1
		.amdhsa_ieee_mode 1
		.amdhsa_fp16_overflow 0
		.amdhsa_tg_split 0
		.amdhsa_exception_fp_ieee_invalid_op 0
		.amdhsa_exception_fp_denorm_src 0
		.amdhsa_exception_fp_ieee_div_zero 0
		.amdhsa_exception_fp_ieee_overflow 0
		.amdhsa_exception_fp_ieee_underflow 0
		.amdhsa_exception_fp_ieee_inexact 0
		.amdhsa_exception_int_div_zero 0
	.end_amdhsa_kernel
	.section	.text._ZL18rocblas_dot_kernelIiLb1ELi1024ELi32ELb1EdPKPKfdEviT5_lT_lS4_lS5_liPT6_PT4_,"axG",@progbits,_ZL18rocblas_dot_kernelIiLb1ELi1024ELi32ELb1EdPKPKfdEviT5_lT_lS4_lS5_liPT6_PT4_,comdat
.Lfunc_end583:
	.size	_ZL18rocblas_dot_kernelIiLb1ELi1024ELi32ELb1EdPKPKfdEviT5_lT_lS4_lS5_liPT6_PT4_, .Lfunc_end583-_ZL18rocblas_dot_kernelIiLb1ELi1024ELi32ELb1EdPKPKfdEviT5_lT_lS4_lS5_liPT6_PT4_
                                        ; -- End function
	.section	.AMDGPU.csdata,"",@progbits
; Kernel info:
; codeLenInByte = 1072
; NumSgprs: 29
; NumVgprs: 14
; NumAgprs: 0
; TotalNumVgprs: 14
; ScratchSize: 0
; MemoryBound: 0
; FloatMode: 240
; IeeeMode: 1
; LDSByteSize: 512 bytes/workgroup (compile time only)
; SGPRBlocks: 3
; VGPRBlocks: 1
; NumSGPRsForWavesPerEU: 29
; NumVGPRsForWavesPerEU: 14
; AccumOffset: 16
; Occupancy: 8
; WaveLimiterHint : 0
; COMPUTE_PGM_RSRC2:SCRATCH_EN: 0
; COMPUTE_PGM_RSRC2:USER_SGPR: 6
; COMPUTE_PGM_RSRC2:TRAP_HANDLER: 0
; COMPUTE_PGM_RSRC2:TGID_X_EN: 1
; COMPUTE_PGM_RSRC2:TGID_Y_EN: 0
; COMPUTE_PGM_RSRC2:TGID_Z_EN: 1
; COMPUTE_PGM_RSRC2:TIDIG_COMP_CNT: 0
; COMPUTE_PGM_RSRC3_GFX90A:ACCUM_OFFSET: 3
; COMPUTE_PGM_RSRC3_GFX90A:TG_SPLIT: 0
	.section	.text._ZL24rocblas_dot_kernel_magsqIiLb1ELi1024ELi32ELb1EdPKPKfdEviT5_lT_liPT6_PT4_,"axG",@progbits,_ZL24rocblas_dot_kernel_magsqIiLb1ELi1024ELi32ELb1EdPKPKfdEviT5_lT_liPT6_PT4_,comdat
	.globl	_ZL24rocblas_dot_kernel_magsqIiLb1ELi1024ELi32ELb1EdPKPKfdEviT5_lT_liPT6_PT4_ ; -- Begin function _ZL24rocblas_dot_kernel_magsqIiLb1ELi1024ELi32ELb1EdPKPKfdEviT5_lT_liPT6_PT4_
	.p2align	8
	.type	_ZL24rocblas_dot_kernel_magsqIiLb1ELi1024ELi32ELb1EdPKPKfdEviT5_lT_liPT6_PT4_,@function
_ZL24rocblas_dot_kernel_magsqIiLb1ELi1024ELi32ELb1EdPKPKfdEviT5_lT_liPT6_PT4_: ; @_ZL24rocblas_dot_kernel_magsqIiLb1ELi1024ELi32ELb1EdPKPKfdEviT5_lT_liPT6_PT4_
; %bb.0:
	s_mov_b32 s2, s7
	s_load_dword s12, s[4:5], 0x0
	s_load_dwordx2 s[6:7], s[4:5], 0x38
	s_mov_b32 s3, 0
	v_pk_mov_b32 v[2:3], 0, 0
	s_waitcnt lgkmcnt(0)
	v_cmp_gt_i32_e32 vcc, s12, v0
	s_and_saveexec_b64 s[8:9], vcc
	s_cbranch_execz .LBB584_4
; %bb.1:
	s_load_dwordx4 s[16:19], s[4:5], 0x8
	s_load_dword s10, s[4:5], 0x40
	s_load_dword s11, s[4:5], 0x18
	s_lshl_b64 s[0:1], s[2:3], 3
	s_waitcnt lgkmcnt(0)
	s_add_u32 s0, s16, s0
	s_addc_u32 s1, s17, s1
	s_load_dwordx2 s[0:1], s[0:1], 0x0
	v_mad_i64_i32 v[2:3], s[4:5], s11, v0, 0
	s_lshl_b32 s13, s10, 10
	s_lshl_b64 s[4:5], s[18:19], 2
	s_waitcnt lgkmcnt(0)
	s_add_u32 s0, s0, s4
	v_lshlrev_b64 v[2:3], 2, v[2:3]
	s_addc_u32 s1, s1, s5
	v_mov_b32_e32 v5, s1
	v_add_co_u32_e32 v4, vcc, s0, v2
	s_mul_hi_i32 s1, s11, s13
	s_mul_i32 s0, s11, s13
	s_lshl_b64 s[10:11], s[0:1], 2
	v_or_b32_e32 v1, s13, v0
	v_addc_co_u32_e32 v5, vcc, v5, v3, vcc
	s_mov_b64 s[4:5], 0
	v_pk_mov_b32 v[2:3], 0, 0
	v_mov_b32_e32 v6, s11
	s_mov_b32 s11, s3
.LBB584_2:                              ; =>This Inner Loop Header: Depth=1
	global_load_dword v7, v[4:5], off
	s_add_i32 s14, s11, 1
	v_add_co_u32_e64 v4, s[0:1], s10, v4
	v_addc_co_u32_e64 v5, s[0:1], v5, v6, s[0:1]
	s_cmp_gt_u32 s11, 30
	v_cmp_le_i32_e32 vcc, s12, v1
	s_cselect_b64 s[0:1], -1, 0
	s_or_b64 s[0:1], s[0:1], vcc
	s_and_b64 s[0:1], exec, s[0:1]
	v_add_u32_e32 v1, s13, v1
	s_mov_b32 s11, s14
	s_or_b64 s[4:5], s[0:1], s[4:5]
	s_waitcnt vmcnt(0)
	v_cvt_f64_f32_e32 v[8:9], v7
	v_fmac_f64_e32 v[2:3], v[8:9], v[8:9]
	s_andn2_b64 exec, exec, s[4:5]
	s_cbranch_execnz .LBB584_2
; %bb.3:
	s_or_b64 exec, exec, s[4:5]
.LBB584_4:
	s_or_b64 exec, exec, s[8:9]
	v_and_b32_e32 v6, 63, v0
	v_cmp_gt_u32_e32 vcc, 64, v0
	v_lshlrev_b32_e32 v1, 3, v6
	s_and_saveexec_b64 s[0:1], vcc
	s_cbranch_execz .LBB584_6
; %bb.5:
	v_mov_b32_e32 v4, 0
	v_mov_b32_e32 v5, v4
	ds_write_b64 v1, v[4:5]
.LBB584_6:
	s_or_b64 exec, exec, s[0:1]
	v_mbcnt_lo_u32_b32 v4, -1, 0
	v_mbcnt_hi_u32_b32 v10, -1, v4
	v_and_b32_e32 v11, 63, v10
	v_cmp_gt_u32_e64 s[0:1], 32, v11
	v_cndmask_b32_e64 v4, 0, 1, s[0:1]
	v_lshlrev_b32_e32 v4, 5, v4
	v_add_lshl_u32 v5, v4, v10, 2
	ds_bpermute_b32 v4, v5, v2
	ds_bpermute_b32 v5, v5, v3
	v_cmp_gt_u32_e64 s[0:1], 48, v11
	v_cndmask_b32_e64 v7, 0, 1, s[0:1]
	v_cmp_gt_u32_e64 s[0:1], 56, v11
	s_waitcnt lgkmcnt(0)
	v_add_f64 v[2:3], v[2:3], v[4:5]
	v_lshlrev_b32_e32 v4, 4, v7
	v_add_lshl_u32 v5, v4, v10, 2
	ds_bpermute_b32 v4, v5, v2
	ds_bpermute_b32 v5, v5, v3
	s_barrier
	s_waitcnt lgkmcnt(0)
	v_add_f64 v[2:3], v[2:3], v[4:5]
	v_cndmask_b32_e64 v4, 0, 1, s[0:1]
	v_lshlrev_b32_e32 v4, 3, v4
	v_add_lshl_u32 v7, v4, v10, 2
	ds_bpermute_b32 v4, v7, v2
	ds_bpermute_b32 v5, v7, v3
	v_cmp_gt_u32_e64 s[0:1], 60, v11
	s_waitcnt lgkmcnt(0)
	v_add_f64 v[2:3], v[2:3], v[4:5]
	v_cndmask_b32_e64 v4, 0, 1, s[0:1]
	v_lshlrev_b32_e32 v4, 2, v4
	v_add_lshl_u32 v8, v4, v10, 2
	ds_bpermute_b32 v4, v8, v2
	ds_bpermute_b32 v5, v8, v3
	v_cmp_gt_u32_e64 s[0:1], 62, v11
	s_waitcnt lgkmcnt(0)
	v_add_f64 v[2:3], v[2:3], v[4:5]
	v_cndmask_b32_e64 v4, 0, 1, s[0:1]
	v_lshlrev_b32_e32 v4, 1, v4
	v_add_lshl_u32 v9, v4, v10, 2
	ds_bpermute_b32 v4, v9, v2
	ds_bpermute_b32 v5, v9, v3
	v_cmp_ne_u32_e64 s[0:1], 63, v11
	s_waitcnt lgkmcnt(0)
	v_add_f64 v[2:3], v[2:3], v[4:5]
	v_addc_co_u32_e64 v4, s[0:1], 0, v10, s[0:1]
	v_lshlrev_b32_e32 v10, 2, v4
	ds_bpermute_b32 v4, v10, v2
	ds_bpermute_b32 v5, v10, v3
	v_cmp_eq_u32_e64 s[0:1], 0, v6
	s_and_saveexec_b64 s[4:5], s[0:1]
	s_cbranch_execz .LBB584_8
; %bb.7:
	s_waitcnt lgkmcnt(0)
	v_add_f64 v[2:3], v[2:3], v[4:5]
	v_lshrrev_b32_e32 v4, 3, v0
	v_and_b32_e32 v4, 0x78, v4
	ds_write_b64 v4, v[2:3]
.LBB584_8:
	s_or_b64 exec, exec, s[4:5]
	v_cmp_gt_u32_e64 s[0:1], 16, v0
	v_pk_mov_b32 v[2:3], 0, 0
	s_waitcnt lgkmcnt(0)
	s_barrier
	s_and_saveexec_b64 s[4:5], s[0:1]
	s_cbranch_execnz .LBB584_12
; %bb.9:
	s_or_b64 exec, exec, s[4:5]
	s_and_saveexec_b64 s[0:1], vcc
	s_cbranch_execnz .LBB584_13
.LBB584_10:
	s_or_b64 exec, exec, s[0:1]
	v_cmp_eq_u32_e32 vcc, 0, v0
	s_and_saveexec_b64 s[0:1], vcc
	s_cbranch_execnz .LBB584_14
.LBB584_11:
	s_endpgm
.LBB584_12:
	ds_read_b64 v[2:3], v1
	s_or_b64 exec, exec, s[4:5]
	s_and_saveexec_b64 s[0:1], vcc
	s_cbranch_execz .LBB584_10
.LBB584_13:
	s_waitcnt lgkmcnt(0)
	ds_bpermute_b32 v4, v7, v2
	ds_bpermute_b32 v5, v7, v3
	s_waitcnt lgkmcnt(0)
	v_add_f64 v[2:3], v[2:3], v[4:5]
	ds_bpermute_b32 v4, v8, v2
	ds_bpermute_b32 v5, v8, v3
	s_waitcnt lgkmcnt(0)
	v_add_f64 v[2:3], v[2:3], v[4:5]
	;; [unrolled: 4-line block ×4, first 2 shown]
	s_or_b64 exec, exec, s[0:1]
	v_cmp_eq_u32_e32 vcc, 0, v0
	s_and_saveexec_b64 s[0:1], vcc
	s_cbranch_execz .LBB584_11
.LBB584_14:
	s_lshl_b64 s[0:1], s[2:3], 3
	s_add_u32 s0, s6, s0
	s_addc_u32 s1, s7, s1
	v_mov_b32_e32 v0, 0
	s_waitcnt lgkmcnt(0)
	global_store_dwordx2 v0, v[2:3], s[0:1]
	s_endpgm
	.section	.rodata,"a",@progbits
	.p2align	6, 0x0
	.amdhsa_kernel _ZL24rocblas_dot_kernel_magsqIiLb1ELi1024ELi32ELb1EdPKPKfdEviT5_lT_liPT6_PT4_
		.amdhsa_group_segment_fixed_size 512
		.amdhsa_private_segment_fixed_size 0
		.amdhsa_kernarg_size 320
		.amdhsa_user_sgpr_count 6
		.amdhsa_user_sgpr_private_segment_buffer 1
		.amdhsa_user_sgpr_dispatch_ptr 0
		.amdhsa_user_sgpr_queue_ptr 0
		.amdhsa_user_sgpr_kernarg_segment_ptr 1
		.amdhsa_user_sgpr_dispatch_id 0
		.amdhsa_user_sgpr_flat_scratch_init 0
		.amdhsa_user_sgpr_kernarg_preload_length 0
		.amdhsa_user_sgpr_kernarg_preload_offset 0
		.amdhsa_user_sgpr_private_segment_size 0
		.amdhsa_uses_dynamic_stack 0
		.amdhsa_system_sgpr_private_segment_wavefront_offset 0
		.amdhsa_system_sgpr_workgroup_id_x 1
		.amdhsa_system_sgpr_workgroup_id_y 0
		.amdhsa_system_sgpr_workgroup_id_z 1
		.amdhsa_system_sgpr_workgroup_info 0
		.amdhsa_system_vgpr_workitem_id 0
		.amdhsa_next_free_vgpr 12
		.amdhsa_next_free_sgpr 20
		.amdhsa_accum_offset 12
		.amdhsa_reserve_vcc 1
		.amdhsa_reserve_flat_scratch 0
		.amdhsa_float_round_mode_32 0
		.amdhsa_float_round_mode_16_64 0
		.amdhsa_float_denorm_mode_32 3
		.amdhsa_float_denorm_mode_16_64 3
		.amdhsa_dx10_clamp 1
		.amdhsa_ieee_mode 1
		.amdhsa_fp16_overflow 0
		.amdhsa_tg_split 0
		.amdhsa_exception_fp_ieee_invalid_op 0
		.amdhsa_exception_fp_denorm_src 0
		.amdhsa_exception_fp_ieee_div_zero 0
		.amdhsa_exception_fp_ieee_overflow 0
		.amdhsa_exception_fp_ieee_underflow 0
		.amdhsa_exception_fp_ieee_inexact 0
		.amdhsa_exception_int_div_zero 0
	.end_amdhsa_kernel
	.section	.text._ZL24rocblas_dot_kernel_magsqIiLb1ELi1024ELi32ELb1EdPKPKfdEviT5_lT_liPT6_PT4_,"axG",@progbits,_ZL24rocblas_dot_kernel_magsqIiLb1ELi1024ELi32ELb1EdPKPKfdEviT5_lT_liPT6_PT4_,comdat
.Lfunc_end584:
	.size	_ZL24rocblas_dot_kernel_magsqIiLb1ELi1024ELi32ELb1EdPKPKfdEviT5_lT_liPT6_PT4_, .Lfunc_end584-_ZL24rocblas_dot_kernel_magsqIiLb1ELi1024ELi32ELb1EdPKPKfdEviT5_lT_liPT6_PT4_
                                        ; -- End function
	.section	.AMDGPU.csdata,"",@progbits
; Kernel info:
; codeLenInByte = 948
; NumSgprs: 24
; NumVgprs: 12
; NumAgprs: 0
; TotalNumVgprs: 12
; ScratchSize: 0
; MemoryBound: 0
; FloatMode: 240
; IeeeMode: 1
; LDSByteSize: 512 bytes/workgroup (compile time only)
; SGPRBlocks: 2
; VGPRBlocks: 1
; NumSGPRsForWavesPerEU: 24
; NumVGPRsForWavesPerEU: 12
; AccumOffset: 12
; Occupancy: 8
; WaveLimiterHint : 0
; COMPUTE_PGM_RSRC2:SCRATCH_EN: 0
; COMPUTE_PGM_RSRC2:USER_SGPR: 6
; COMPUTE_PGM_RSRC2:TRAP_HANDLER: 0
; COMPUTE_PGM_RSRC2:TGID_X_EN: 1
; COMPUTE_PGM_RSRC2:TGID_Y_EN: 0
; COMPUTE_PGM_RSRC2:TGID_Z_EN: 1
; COMPUTE_PGM_RSRC2:TIDIG_COMP_CNT: 0
; COMPUTE_PGM_RSRC3_GFX90A:ACCUM_OFFSET: 2
; COMPUTE_PGM_RSRC3_GFX90A:TG_SPLIT: 0
	.section	.text._ZL23rocblas_dot_kernel_inc1ILb0ELi512ELi2ELb1EdPKPKfdEviT4_llS4_lliPT5_PT3_,"axG",@progbits,_ZL23rocblas_dot_kernel_inc1ILb0ELi512ELi2ELb1EdPKPKfdEviT4_llS4_lliPT5_PT3_,comdat
	.globl	_ZL23rocblas_dot_kernel_inc1ILb0ELi512ELi2ELb1EdPKPKfdEviT4_llS4_lliPT5_PT3_ ; -- Begin function _ZL23rocblas_dot_kernel_inc1ILb0ELi512ELi2ELb1EdPKPKfdEviT4_llS4_lliPT5_PT3_
	.p2align	8
	.type	_ZL23rocblas_dot_kernel_inc1ILb0ELi512ELi2ELb1EdPKPKfdEviT4_llS4_lliPT5_PT3_,@function
_ZL23rocblas_dot_kernel_inc1ILb0ELi512ELi2ELb1EdPKPKfdEviT4_llS4_lliPT5_PT3_: ; @_ZL23rocblas_dot_kernel_inc1ILb0ELi512ELi2ELb1EdPKPKfdEviT4_llS4_lliPT5_PT3_
; %bb.0:
	s_mov_b32 s2, s7
	s_load_dword s7, s[4:5], 0x0
	s_load_dword s10, s[4:5], 0x50
	v_lshl_or_b32 v4, s6, 9, v0
	s_mov_b32 s3, 0
	v_pk_mov_b32 v[2:3], 0, 0
	s_waitcnt lgkmcnt(0)
	v_cmp_gt_i32_e32 vcc, s7, v4
	s_and_saveexec_b64 s[0:1], vcc
	s_cbranch_execz .LBB585_4
; %bb.1:
	s_load_dwordx4 s[12:15], s[4:5], 0x8
	s_load_dwordx4 s[16:19], s[4:5], 0x20
	s_lshl_b64 s[8:9], s[2:3], 3
	v_ashrrev_i32_e32 v5, 31, v4
	v_lshlrev_b64 v[2:3], 2, v[4:5]
	s_waitcnt lgkmcnt(0)
	s_add_u32 s12, s12, s8
	s_addc_u32 s13, s13, s9
	s_load_dwordx2 s[12:13], s[12:13], 0x0
	s_lshl_b64 s[14:15], s[14:15], 2
	s_waitcnt lgkmcnt(0)
	s_add_u32 s11, s12, s14
	s_addc_u32 s12, s13, s15
	s_add_u32 s8, s16, s8
	s_addc_u32 s9, s17, s9
	s_load_dwordx2 s[8:9], s[8:9], 0x0
	s_lshl_b64 s[14:15], s[18:19], 2
	v_mov_b32_e32 v1, s12
	s_waitcnt lgkmcnt(0)
	s_add_u32 s13, s8, s14
	s_addc_u32 s14, s9, s15
	v_mov_b32_e32 v5, s14
	v_add_co_u32_e32 v4, vcc, s13, v2
	v_addc_co_u32_e32 v5, vcc, v5, v3, vcc
	v_add_co_u32_e32 v2, vcc, s11, v2
	v_addc_co_u32_e32 v3, vcc, v1, v3, vcc
	global_load_dword v1, v[2:3], off
	global_load_dword v6, v[4:5], off
	s_add_i32 s8, s6, s10
	v_lshl_or_b32 v4, s8, 9, v0
	v_cmp_gt_i32_e32 vcc, s7, v4
	s_waitcnt vmcnt(1)
	v_cvt_f64_f32_e32 v[2:3], v1
	s_waitcnt vmcnt(0)
	v_cvt_f64_f32_e32 v[6:7], v6
	v_fma_f64 v[2:3], v[6:7], v[2:3], 0
	s_and_saveexec_b64 s[8:9], vcc
	s_cbranch_execz .LBB585_3
; %bb.2:
	v_ashrrev_i32_e32 v5, 31, v4
	v_lshlrev_b64 v[4:5], 2, v[4:5]
	v_mov_b32_e32 v1, s14
	v_add_co_u32_e32 v6, vcc, s13, v4
	v_addc_co_u32_e32 v7, vcc, v1, v5, vcc
	global_load_dword v1, v[6:7], off
	v_mov_b32_e32 v6, s12
	v_add_co_u32_e32 v4, vcc, s11, v4
	v_addc_co_u32_e32 v5, vcc, v6, v5, vcc
	global_load_dword v6, v[4:5], off
	s_waitcnt vmcnt(1)
	v_cvt_f64_f32_e32 v[4:5], v1
	s_waitcnt vmcnt(0)
	v_cvt_f64_f32_e32 v[6:7], v6
	v_fmac_f64_e32 v[2:3], v[4:5], v[6:7]
.LBB585_3:
	s_or_b64 exec, exec, s[8:9]
.LBB585_4:
	s_or_b64 exec, exec, s[0:1]
	v_and_b32_e32 v6, 63, v0
	v_cmp_gt_u32_e32 vcc, 64, v0
	v_lshlrev_b32_e32 v1, 3, v6
	s_and_saveexec_b64 s[0:1], vcc
	s_cbranch_execz .LBB585_6
; %bb.5:
	v_mov_b32_e32 v4, 0
	v_mov_b32_e32 v5, v4
	ds_write_b64 v1, v[4:5]
.LBB585_6:
	s_or_b64 exec, exec, s[0:1]
	v_mbcnt_lo_u32_b32 v4, -1, 0
	v_mbcnt_hi_u32_b32 v9, -1, v4
	v_and_b32_e32 v10, 63, v9
	v_cmp_gt_u32_e64 s[0:1], 32, v10
	v_cndmask_b32_e64 v4, 0, 1, s[0:1]
	v_lshlrev_b32_e32 v4, 5, v4
	v_add_lshl_u32 v5, v4, v9, 2
	ds_bpermute_b32 v4, v5, v2
	ds_bpermute_b32 v5, v5, v3
	v_cmp_gt_u32_e64 s[0:1], 48, v10
	v_cndmask_b32_e64 v7, 0, 1, s[0:1]
	v_cmp_gt_u32_e64 s[0:1], 56, v10
	s_waitcnt lgkmcnt(0)
	v_add_f64 v[2:3], v[2:3], v[4:5]
	v_lshlrev_b32_e32 v4, 4, v7
	v_add_lshl_u32 v5, v4, v9, 2
	ds_bpermute_b32 v4, v5, v2
	ds_bpermute_b32 v5, v5, v3
	s_barrier
	s_waitcnt lgkmcnt(0)
	v_add_f64 v[2:3], v[2:3], v[4:5]
	v_cndmask_b32_e64 v4, 0, 1, s[0:1]
	v_lshlrev_b32_e32 v4, 3, v4
	v_add_lshl_u32 v5, v4, v9, 2
	ds_bpermute_b32 v4, v5, v2
	ds_bpermute_b32 v5, v5, v3
	v_cmp_gt_u32_e64 s[0:1], 60, v10
	s_waitcnt lgkmcnt(0)
	v_add_f64 v[2:3], v[2:3], v[4:5]
	v_cndmask_b32_e64 v4, 0, 1, s[0:1]
	v_lshlrev_b32_e32 v4, 2, v4
	v_add_lshl_u32 v7, v4, v9, 2
	ds_bpermute_b32 v4, v7, v2
	ds_bpermute_b32 v5, v7, v3
	v_cmp_gt_u32_e64 s[0:1], 62, v10
	s_waitcnt lgkmcnt(0)
	v_add_f64 v[2:3], v[2:3], v[4:5]
	v_cndmask_b32_e64 v4, 0, 1, s[0:1]
	v_lshlrev_b32_e32 v4, 1, v4
	v_add_lshl_u32 v8, v4, v9, 2
	ds_bpermute_b32 v4, v8, v2
	ds_bpermute_b32 v5, v8, v3
	v_cmp_ne_u32_e64 s[0:1], 63, v10
	s_waitcnt lgkmcnt(0)
	v_add_f64 v[2:3], v[2:3], v[4:5]
	v_addc_co_u32_e64 v4, s[0:1], 0, v9, s[0:1]
	v_lshlrev_b32_e32 v9, 2, v4
	ds_bpermute_b32 v4, v9, v2
	ds_bpermute_b32 v5, v9, v3
	v_cmp_eq_u32_e64 s[0:1], 0, v6
	s_and_saveexec_b64 s[8:9], s[0:1]
	s_cbranch_execz .LBB585_8
; %bb.7:
	s_waitcnt lgkmcnt(0)
	v_add_f64 v[2:3], v[2:3], v[4:5]
	v_lshrrev_b32_e32 v4, 3, v0
	v_and_b32_e32 v4, 56, v4
	ds_write_b64 v4, v[2:3]
.LBB585_8:
	s_or_b64 exec, exec, s[8:9]
	v_cmp_gt_u32_e64 s[0:1], 8, v0
	v_pk_mov_b32 v[2:3], 0, 0
	s_waitcnt lgkmcnt(0)
	s_barrier
	s_and_saveexec_b64 s[8:9], s[0:1]
	s_cbranch_execnz .LBB585_12
; %bb.9:
	s_or_b64 exec, exec, s[8:9]
	s_and_saveexec_b64 s[0:1], vcc
	s_cbranch_execnz .LBB585_13
.LBB585_10:
	s_or_b64 exec, exec, s[0:1]
	v_cmp_eq_u32_e32 vcc, 0, v0
	s_and_saveexec_b64 s[0:1], vcc
	s_cbranch_execnz .LBB585_14
.LBB585_11:
	s_endpgm
.LBB585_12:
	ds_read_b64 v[2:3], v1
	s_or_b64 exec, exec, s[8:9]
	s_and_saveexec_b64 s[0:1], vcc
	s_cbranch_execz .LBB585_10
.LBB585_13:
	s_waitcnt lgkmcnt(0)
	ds_bpermute_b32 v4, v7, v2
	ds_bpermute_b32 v5, v7, v3
	s_waitcnt lgkmcnt(0)
	v_add_f64 v[2:3], v[2:3], v[4:5]
	ds_bpermute_b32 v4, v8, v2
	ds_bpermute_b32 v5, v8, v3
	s_waitcnt lgkmcnt(0)
	v_add_f64 v[2:3], v[2:3], v[4:5]
	;; [unrolled: 4-line block ×3, first 2 shown]
	s_or_b64 exec, exec, s[0:1]
	v_cmp_eq_u32_e32 vcc, 0, v0
	s_and_saveexec_b64 s[0:1], vcc
	s_cbranch_execz .LBB585_11
.LBB585_14:
	s_cmp_lg_u32 s10, 1
	s_cbranch_scc0 .LBB585_16
; %bb.15:
	s_load_dwordx2 s[0:1], s[4:5], 0x40
	s_mul_hi_u32 s9, s10, s2
	s_mul_i32 s8, s10, s2
	s_lshl_b64 s[8:9], s[8:9], 3
	s_mov_b32 s7, 0
	s_waitcnt lgkmcnt(0)
	s_add_u32 s8, s0, s8
	s_addc_u32 s9, s1, s9
	s_lshl_b64 s[0:1], s[6:7], 3
	s_add_u32 s0, s8, s0
	s_addc_u32 s1, s9, s1
	s_cbranch_execz .LBB585_17
	s_branch .LBB585_18
.LBB585_16:
                                        ; implicit-def: $sgpr0_sgpr1
.LBB585_17:
	s_load_dwordx2 s[0:1], s[4:5], 0x48
	s_lshl_b64 s[2:3], s[2:3], 3
	s_waitcnt lgkmcnt(0)
	s_add_u32 s0, s0, s2
	s_addc_u32 s1, s1, s3
.LBB585_18:
	v_mov_b32_e32 v0, 0
	s_waitcnt lgkmcnt(0)
	global_store_dwordx2 v0, v[2:3], s[0:1]
	s_endpgm
	.section	.rodata,"a",@progbits
	.p2align	6, 0x0
	.amdhsa_kernel _ZL23rocblas_dot_kernel_inc1ILb0ELi512ELi2ELb1EdPKPKfdEviT4_llS4_lliPT5_PT3_
		.amdhsa_group_segment_fixed_size 512
		.amdhsa_private_segment_fixed_size 0
		.amdhsa_kernarg_size 336
		.amdhsa_user_sgpr_count 6
		.amdhsa_user_sgpr_private_segment_buffer 1
		.amdhsa_user_sgpr_dispatch_ptr 0
		.amdhsa_user_sgpr_queue_ptr 0
		.amdhsa_user_sgpr_kernarg_segment_ptr 1
		.amdhsa_user_sgpr_dispatch_id 0
		.amdhsa_user_sgpr_flat_scratch_init 0
		.amdhsa_user_sgpr_kernarg_preload_length 0
		.amdhsa_user_sgpr_kernarg_preload_offset 0
		.amdhsa_user_sgpr_private_segment_size 0
		.amdhsa_uses_dynamic_stack 0
		.amdhsa_system_sgpr_private_segment_wavefront_offset 0
		.amdhsa_system_sgpr_workgroup_id_x 1
		.amdhsa_system_sgpr_workgroup_id_y 0
		.amdhsa_system_sgpr_workgroup_id_z 1
		.amdhsa_system_sgpr_workgroup_info 0
		.amdhsa_system_vgpr_workitem_id 0
		.amdhsa_next_free_vgpr 11
		.amdhsa_next_free_sgpr 20
		.amdhsa_accum_offset 12
		.amdhsa_reserve_vcc 1
		.amdhsa_reserve_flat_scratch 0
		.amdhsa_float_round_mode_32 0
		.amdhsa_float_round_mode_16_64 0
		.amdhsa_float_denorm_mode_32 3
		.amdhsa_float_denorm_mode_16_64 3
		.amdhsa_dx10_clamp 1
		.amdhsa_ieee_mode 1
		.amdhsa_fp16_overflow 0
		.amdhsa_tg_split 0
		.amdhsa_exception_fp_ieee_invalid_op 0
		.amdhsa_exception_fp_denorm_src 0
		.amdhsa_exception_fp_ieee_div_zero 0
		.amdhsa_exception_fp_ieee_overflow 0
		.amdhsa_exception_fp_ieee_underflow 0
		.amdhsa_exception_fp_ieee_inexact 0
		.amdhsa_exception_int_div_zero 0
	.end_amdhsa_kernel
	.section	.text._ZL23rocblas_dot_kernel_inc1ILb0ELi512ELi2ELb1EdPKPKfdEviT4_llS4_lliPT5_PT3_,"axG",@progbits,_ZL23rocblas_dot_kernel_inc1ILb0ELi512ELi2ELb1EdPKPKfdEviT4_llS4_lliPT5_PT3_,comdat
.Lfunc_end585:
	.size	_ZL23rocblas_dot_kernel_inc1ILb0ELi512ELi2ELb1EdPKPKfdEviT4_llS4_lliPT5_PT3_, .Lfunc_end585-_ZL23rocblas_dot_kernel_inc1ILb0ELi512ELi2ELb1EdPKPKfdEviT4_llS4_lliPT5_PT3_
                                        ; -- End function
	.section	.AMDGPU.csdata,"",@progbits
; Kernel info:
; codeLenInByte = 1048
; NumSgprs: 24
; NumVgprs: 11
; NumAgprs: 0
; TotalNumVgprs: 11
; ScratchSize: 0
; MemoryBound: 0
; FloatMode: 240
; IeeeMode: 1
; LDSByteSize: 512 bytes/workgroup (compile time only)
; SGPRBlocks: 2
; VGPRBlocks: 1
; NumSGPRsForWavesPerEU: 24
; NumVGPRsForWavesPerEU: 11
; AccumOffset: 12
; Occupancy: 8
; WaveLimiterHint : 1
; COMPUTE_PGM_RSRC2:SCRATCH_EN: 0
; COMPUTE_PGM_RSRC2:USER_SGPR: 6
; COMPUTE_PGM_RSRC2:TRAP_HANDLER: 0
; COMPUTE_PGM_RSRC2:TGID_X_EN: 1
; COMPUTE_PGM_RSRC2:TGID_Y_EN: 0
; COMPUTE_PGM_RSRC2:TGID_Z_EN: 1
; COMPUTE_PGM_RSRC2:TIDIG_COMP_CNT: 0
; COMPUTE_PGM_RSRC3_GFX90A:ACCUM_OFFSET: 2
; COMPUTE_PGM_RSRC3_GFX90A:TG_SPLIT: 0
	.section	.text._ZL18rocblas_dot_kernelIiLb0ELi512ELi2ELb1EdPKPKfdEviT5_lT_lS4_lS5_liPT6_PT4_,"axG",@progbits,_ZL18rocblas_dot_kernelIiLb0ELi512ELi2ELb1EdPKPKfdEviT5_lT_lS4_lS5_liPT6_PT4_,comdat
	.globl	_ZL18rocblas_dot_kernelIiLb0ELi512ELi2ELb1EdPKPKfdEviT5_lT_lS4_lS5_liPT6_PT4_ ; -- Begin function _ZL18rocblas_dot_kernelIiLb0ELi512ELi2ELb1EdPKPKfdEviT5_lT_lS4_lS5_liPT6_PT4_
	.p2align	8
	.type	_ZL18rocblas_dot_kernelIiLb0ELi512ELi2ELb1EdPKPKfdEviT5_lT_lS4_lS5_liPT6_PT4_,@function
_ZL18rocblas_dot_kernelIiLb0ELi512ELi2ELb1EdPKPKfdEviT5_lT_lS4_lS5_liPT6_PT4_: ; @_ZL18rocblas_dot_kernelIiLb0ELi512ELi2ELb1EdPKPKfdEviT5_lT_lS4_lS5_liPT6_PT4_
; %bb.0:
	s_load_dword s8, s[4:5], 0x0
	s_load_dword s10, s[4:5], 0x60
	v_lshl_or_b32 v1, s6, 9, v0
	s_mov_b32 s2, s7
	s_mov_b32 s3, 0
	s_waitcnt lgkmcnt(0)
	v_cmp_gt_i32_e32 vcc, s8, v1
	v_pk_mov_b32 v[2:3], 0, 0
	s_and_saveexec_b64 s[0:1], vcc
	s_cbranch_execz .LBB586_4
; %bb.1:
	s_load_dwordx4 s[12:15], s[4:5], 0x8
	s_load_dword s7, s[4:5], 0x18
	s_lshl_b64 s[20:21], s[2:3], 3
	s_waitcnt lgkmcnt(0)
	s_add_u32 s22, s12, s20
	s_addc_u32 s23, s13, s21
	s_load_dwordx2 s[24:25], s[22:23], 0x0
	s_load_dwordx4 s[16:19], s[4:5], 0x28
	s_load_dword s13, s[4:5], 0x38
	s_lshl_b64 s[14:15], s[14:15], 2
	s_waitcnt lgkmcnt(0)
	s_add_u32 s11, s24, s14
	s_addc_u32 s12, s25, s15
	s_add_u32 s14, s16, s20
	s_addc_u32 s15, s17, s21
	s_load_dwordx2 s[14:15], s[14:15], 0x0
	v_mad_i64_i32 v[2:3], s[16:17], v1, s13, 0
	s_lshl_b64 s[16:17], s[18:19], 2
	v_lshlrev_b64 v[2:3], 2, v[2:3]
	s_waitcnt lgkmcnt(0)
	s_add_u32 s14, s14, s16
	s_addc_u32 s15, s15, s17
	v_mov_b32_e32 v4, s15
	v_add_co_u32_e32 v2, vcc, s14, v2
	v_addc_co_u32_e32 v3, vcc, v4, v3, vcc
	v_mad_i64_i32 v[4:5], s[16:17], v1, s7, 0
	v_lshlrev_b64 v[4:5], 2, v[4:5]
	v_mov_b32_e32 v1, s12
	v_add_co_u32_e32 v4, vcc, s11, v4
	v_addc_co_u32_e32 v5, vcc, v1, v5, vcc
	global_load_dword v6, v[4:5], off
	global_load_dword v7, v[2:3], off
	s_add_i32 s9, s6, s10
	v_lshl_or_b32 v1, s9, 9, v0
	v_cmp_gt_i32_e32 vcc, s8, v1
	s_waitcnt vmcnt(1)
	v_cvt_f64_f32_e32 v[2:3], v6
	s_waitcnt vmcnt(0)
	v_cvt_f64_f32_e32 v[4:5], v7
	v_fma_f64 v[2:3], v[4:5], v[2:3], 0
	s_and_saveexec_b64 s[8:9], vcc
	s_cbranch_execz .LBB586_3
; %bb.2:
	v_mad_i64_i32 v[4:5], s[16:17], v1, s13, 0
	v_lshlrev_b64 v[4:5], 2, v[4:5]
	v_mov_b32_e32 v6, s15
	v_add_co_u32_e32 v4, vcc, s14, v4
	v_addc_co_u32_e32 v5, vcc, v6, v5, vcc
	global_load_dword v6, v[4:5], off
	v_mad_i64_i32 v[4:5], s[14:15], v1, s7, 0
	v_lshlrev_b64 v[4:5], 2, v[4:5]
	v_mov_b32_e32 v1, s12
	v_add_co_u32_e32 v4, vcc, s11, v4
	v_addc_co_u32_e32 v5, vcc, v1, v5, vcc
	global_load_dword v1, v[4:5], off
	s_waitcnt vmcnt(1)
	v_cvt_f64_f32_e32 v[4:5], v6
	s_waitcnt vmcnt(0)
	v_cvt_f64_f32_e32 v[6:7], v1
	v_fmac_f64_e32 v[2:3], v[4:5], v[6:7]
.LBB586_3:
	s_or_b64 exec, exec, s[8:9]
.LBB586_4:
	s_or_b64 exec, exec, s[0:1]
	v_and_b32_e32 v6, 63, v0
	v_cmp_gt_u32_e32 vcc, 64, v0
	v_lshlrev_b32_e32 v1, 3, v6
	s_and_saveexec_b64 s[0:1], vcc
	s_cbranch_execz .LBB586_6
; %bb.5:
	v_mov_b32_e32 v4, 0
	v_mov_b32_e32 v5, v4
	ds_write_b64 v1, v[4:5]
.LBB586_6:
	s_or_b64 exec, exec, s[0:1]
	v_mbcnt_lo_u32_b32 v4, -1, 0
	v_mbcnt_hi_u32_b32 v9, -1, v4
	v_and_b32_e32 v10, 63, v9
	v_cmp_gt_u32_e64 s[0:1], 32, v10
	v_cndmask_b32_e64 v4, 0, 1, s[0:1]
	v_lshlrev_b32_e32 v4, 5, v4
	v_add_lshl_u32 v5, v4, v9, 2
	ds_bpermute_b32 v4, v5, v2
	ds_bpermute_b32 v5, v5, v3
	v_cmp_gt_u32_e64 s[0:1], 48, v10
	v_cndmask_b32_e64 v7, 0, 1, s[0:1]
	v_cmp_gt_u32_e64 s[0:1], 56, v10
	s_waitcnt lgkmcnt(0)
	v_add_f64 v[2:3], v[2:3], v[4:5]
	v_lshlrev_b32_e32 v4, 4, v7
	v_add_lshl_u32 v5, v4, v9, 2
	ds_bpermute_b32 v4, v5, v2
	ds_bpermute_b32 v5, v5, v3
	s_barrier
	s_waitcnt lgkmcnt(0)
	v_add_f64 v[2:3], v[2:3], v[4:5]
	v_cndmask_b32_e64 v4, 0, 1, s[0:1]
	v_lshlrev_b32_e32 v4, 3, v4
	v_add_lshl_u32 v5, v4, v9, 2
	ds_bpermute_b32 v4, v5, v2
	ds_bpermute_b32 v5, v5, v3
	v_cmp_gt_u32_e64 s[0:1], 60, v10
	s_waitcnt lgkmcnt(0)
	v_add_f64 v[2:3], v[2:3], v[4:5]
	v_cndmask_b32_e64 v4, 0, 1, s[0:1]
	v_lshlrev_b32_e32 v4, 2, v4
	v_add_lshl_u32 v7, v4, v9, 2
	ds_bpermute_b32 v4, v7, v2
	ds_bpermute_b32 v5, v7, v3
	v_cmp_gt_u32_e64 s[0:1], 62, v10
	s_waitcnt lgkmcnt(0)
	v_add_f64 v[2:3], v[2:3], v[4:5]
	v_cndmask_b32_e64 v4, 0, 1, s[0:1]
	v_lshlrev_b32_e32 v4, 1, v4
	v_add_lshl_u32 v8, v4, v9, 2
	ds_bpermute_b32 v4, v8, v2
	ds_bpermute_b32 v5, v8, v3
	v_cmp_ne_u32_e64 s[0:1], 63, v10
	s_waitcnt lgkmcnt(0)
	v_add_f64 v[2:3], v[2:3], v[4:5]
	v_addc_co_u32_e64 v4, s[0:1], 0, v9, s[0:1]
	v_lshlrev_b32_e32 v9, 2, v4
	ds_bpermute_b32 v4, v9, v2
	ds_bpermute_b32 v5, v9, v3
	v_cmp_eq_u32_e64 s[0:1], 0, v6
	s_and_saveexec_b64 s[8:9], s[0:1]
	s_cbranch_execz .LBB586_8
; %bb.7:
	s_waitcnt lgkmcnt(0)
	v_add_f64 v[2:3], v[2:3], v[4:5]
	v_lshrrev_b32_e32 v4, 3, v0
	v_and_b32_e32 v4, 56, v4
	ds_write_b64 v4, v[2:3]
.LBB586_8:
	s_or_b64 exec, exec, s[8:9]
	v_cmp_gt_u32_e64 s[0:1], 8, v0
	v_pk_mov_b32 v[2:3], 0, 0
	s_waitcnt lgkmcnt(0)
	s_barrier
	s_and_saveexec_b64 s[8:9], s[0:1]
	s_cbranch_execnz .LBB586_12
; %bb.9:
	s_or_b64 exec, exec, s[8:9]
	s_and_saveexec_b64 s[0:1], vcc
	s_cbranch_execnz .LBB586_13
.LBB586_10:
	s_or_b64 exec, exec, s[0:1]
	v_cmp_eq_u32_e32 vcc, 0, v0
	s_and_saveexec_b64 s[0:1], vcc
	s_cbranch_execnz .LBB586_14
.LBB586_11:
	s_endpgm
.LBB586_12:
	ds_read_b64 v[2:3], v1
	s_or_b64 exec, exec, s[8:9]
	s_and_saveexec_b64 s[0:1], vcc
	s_cbranch_execz .LBB586_10
.LBB586_13:
	s_waitcnt lgkmcnt(0)
	ds_bpermute_b32 v4, v7, v2
	ds_bpermute_b32 v5, v7, v3
	s_waitcnt lgkmcnt(0)
	v_add_f64 v[2:3], v[2:3], v[4:5]
	ds_bpermute_b32 v4, v8, v2
	ds_bpermute_b32 v5, v8, v3
	s_waitcnt lgkmcnt(0)
	v_add_f64 v[2:3], v[2:3], v[4:5]
	;; [unrolled: 4-line block ×3, first 2 shown]
	s_or_b64 exec, exec, s[0:1]
	v_cmp_eq_u32_e32 vcc, 0, v0
	s_and_saveexec_b64 s[0:1], vcc
	s_cbranch_execz .LBB586_11
.LBB586_14:
	s_cmp_lg_u32 s10, 1
	s_cbranch_scc0 .LBB586_16
; %bb.15:
	s_load_dwordx2 s[0:1], s[4:5], 0x50
	s_mul_hi_u32 s9, s10, s2
	s_mul_i32 s8, s10, s2
	s_lshl_b64 s[8:9], s[8:9], 3
	s_mov_b32 s7, 0
	s_waitcnt lgkmcnt(0)
	s_add_u32 s8, s0, s8
	s_addc_u32 s9, s1, s9
	s_lshl_b64 s[0:1], s[6:7], 3
	s_add_u32 s0, s8, s0
	s_addc_u32 s1, s9, s1
	s_cbranch_execz .LBB586_17
	s_branch .LBB586_18
.LBB586_16:
                                        ; implicit-def: $sgpr0_sgpr1
.LBB586_17:
	s_load_dwordx2 s[0:1], s[4:5], 0x58
	s_lshl_b64 s[2:3], s[2:3], 3
	s_waitcnt lgkmcnt(0)
	s_add_u32 s0, s0, s2
	s_addc_u32 s1, s1, s3
.LBB586_18:
	v_mov_b32_e32 v0, 0
	s_waitcnt lgkmcnt(0)
	global_store_dwordx2 v0, v[2:3], s[0:1]
	s_endpgm
	.section	.rodata,"a",@progbits
	.p2align	6, 0x0
	.amdhsa_kernel _ZL18rocblas_dot_kernelIiLb0ELi512ELi2ELb1EdPKPKfdEviT5_lT_lS4_lS5_liPT6_PT4_
		.amdhsa_group_segment_fixed_size 512
		.amdhsa_private_segment_fixed_size 0
		.amdhsa_kernarg_size 352
		.amdhsa_user_sgpr_count 6
		.amdhsa_user_sgpr_private_segment_buffer 1
		.amdhsa_user_sgpr_dispatch_ptr 0
		.amdhsa_user_sgpr_queue_ptr 0
		.amdhsa_user_sgpr_kernarg_segment_ptr 1
		.amdhsa_user_sgpr_dispatch_id 0
		.amdhsa_user_sgpr_flat_scratch_init 0
		.amdhsa_user_sgpr_kernarg_preload_length 0
		.amdhsa_user_sgpr_kernarg_preload_offset 0
		.amdhsa_user_sgpr_private_segment_size 0
		.amdhsa_uses_dynamic_stack 0
		.amdhsa_system_sgpr_private_segment_wavefront_offset 0
		.amdhsa_system_sgpr_workgroup_id_x 1
		.amdhsa_system_sgpr_workgroup_id_y 0
		.amdhsa_system_sgpr_workgroup_id_z 1
		.amdhsa_system_sgpr_workgroup_info 0
		.amdhsa_system_vgpr_workitem_id 0
		.amdhsa_next_free_vgpr 11
		.amdhsa_next_free_sgpr 26
		.amdhsa_accum_offset 12
		.amdhsa_reserve_vcc 1
		.amdhsa_reserve_flat_scratch 0
		.amdhsa_float_round_mode_32 0
		.amdhsa_float_round_mode_16_64 0
		.amdhsa_float_denorm_mode_32 3
		.amdhsa_float_denorm_mode_16_64 3
		.amdhsa_dx10_clamp 1
		.amdhsa_ieee_mode 1
		.amdhsa_fp16_overflow 0
		.amdhsa_tg_split 0
		.amdhsa_exception_fp_ieee_invalid_op 0
		.amdhsa_exception_fp_denorm_src 0
		.amdhsa_exception_fp_ieee_div_zero 0
		.amdhsa_exception_fp_ieee_overflow 0
		.amdhsa_exception_fp_ieee_underflow 0
		.amdhsa_exception_fp_ieee_inexact 0
		.amdhsa_exception_int_div_zero 0
	.end_amdhsa_kernel
	.section	.text._ZL18rocblas_dot_kernelIiLb0ELi512ELi2ELb1EdPKPKfdEviT5_lT_lS4_lS5_liPT6_PT4_,"axG",@progbits,_ZL18rocblas_dot_kernelIiLb0ELi512ELi2ELb1EdPKPKfdEviT5_lT_lS4_lS5_liPT6_PT4_,comdat
.Lfunc_end586:
	.size	_ZL18rocblas_dot_kernelIiLb0ELi512ELi2ELb1EdPKPKfdEviT5_lT_lS4_lS5_liPT6_PT4_, .Lfunc_end586-_ZL18rocblas_dot_kernelIiLb0ELi512ELi2ELb1EdPKPKfdEviT5_lT_lS4_lS5_liPT6_PT4_
                                        ; -- End function
	.section	.AMDGPU.csdata,"",@progbits
; Kernel info:
; codeLenInByte = 1104
; NumSgprs: 30
; NumVgprs: 11
; NumAgprs: 0
; TotalNumVgprs: 11
; ScratchSize: 0
; MemoryBound: 0
; FloatMode: 240
; IeeeMode: 1
; LDSByteSize: 512 bytes/workgroup (compile time only)
; SGPRBlocks: 3
; VGPRBlocks: 1
; NumSGPRsForWavesPerEU: 30
; NumVGPRsForWavesPerEU: 11
; AccumOffset: 12
; Occupancy: 8
; WaveLimiterHint : 1
; COMPUTE_PGM_RSRC2:SCRATCH_EN: 0
; COMPUTE_PGM_RSRC2:USER_SGPR: 6
; COMPUTE_PGM_RSRC2:TRAP_HANDLER: 0
; COMPUTE_PGM_RSRC2:TGID_X_EN: 1
; COMPUTE_PGM_RSRC2:TGID_Y_EN: 0
; COMPUTE_PGM_RSRC2:TGID_Z_EN: 1
; COMPUTE_PGM_RSRC2:TIDIG_COMP_CNT: 0
; COMPUTE_PGM_RSRC3_GFX90A:ACCUM_OFFSET: 2
; COMPUTE_PGM_RSRC3_GFX90A:TG_SPLIT: 0
	.section	.text._ZL24rocblas_dot_kernel_magsqIiLb0ELi512ELi2ELb1EdPKPKfdEviT5_lT_liPT6_PT4_,"axG",@progbits,_ZL24rocblas_dot_kernel_magsqIiLb0ELi512ELi2ELb1EdPKPKfdEviT5_lT_liPT6_PT4_,comdat
	.globl	_ZL24rocblas_dot_kernel_magsqIiLb0ELi512ELi2ELb1EdPKPKfdEviT5_lT_liPT6_PT4_ ; -- Begin function _ZL24rocblas_dot_kernel_magsqIiLb0ELi512ELi2ELb1EdPKPKfdEviT5_lT_liPT6_PT4_
	.p2align	8
	.type	_ZL24rocblas_dot_kernel_magsqIiLb0ELi512ELi2ELb1EdPKPKfdEviT5_lT_liPT6_PT4_,@function
_ZL24rocblas_dot_kernel_magsqIiLb0ELi512ELi2ELb1EdPKPKfdEviT5_lT_liPT6_PT4_: ; @_ZL24rocblas_dot_kernel_magsqIiLb0ELi512ELi2ELb1EdPKPKfdEviT5_lT_liPT6_PT4_
; %bb.0:
	s_mov_b32 s2, s7
	s_load_dword s7, s[4:5], 0x0
	s_load_dword s10, s[4:5], 0x40
	v_lshl_or_b32 v1, s6, 9, v0
	s_mov_b32 s3, 0
	v_pk_mov_b32 v[2:3], 0, 0
	s_waitcnt lgkmcnt(0)
	v_cmp_gt_i32_e32 vcc, s7, v1
	s_and_saveexec_b64 s[0:1], vcc
	s_cbranch_execz .LBB587_4
; %bb.1:
	s_load_dwordx4 s[12:15], s[4:5], 0x8
	s_load_dword s11, s[4:5], 0x18
	s_lshl_b64 s[8:9], s[2:3], 3
	s_waitcnt lgkmcnt(0)
	s_add_u32 s8, s12, s8
	s_addc_u32 s9, s13, s9
	s_load_dwordx2 s[8:9], s[8:9], 0x0
	v_mad_i64_i32 v[2:3], s[12:13], v1, s11, 0
	s_lshl_b64 s[12:13], s[14:15], 2
	v_lshlrev_b64 v[2:3], 2, v[2:3]
	s_waitcnt lgkmcnt(0)
	s_add_u32 s12, s8, s12
	s_addc_u32 s13, s9, s13
	v_mov_b32_e32 v1, s13
	v_add_co_u32_e32 v2, vcc, s12, v2
	v_addc_co_u32_e32 v3, vcc, v1, v3, vcc
	global_load_dword v2, v[2:3], off
	s_add_i32 s8, s6, s10
	v_lshl_or_b32 v1, s8, 9, v0
	v_cmp_gt_i32_e32 vcc, s7, v1
	s_waitcnt vmcnt(0)
	v_cvt_f64_f32_e32 v[2:3], v2
	v_mul_f64 v[2:3], v[2:3], v[2:3]
	s_and_saveexec_b64 s[8:9], vcc
	s_cbranch_execz .LBB587_3
; %bb.2:
	v_mad_i64_i32 v[4:5], s[14:15], v1, s11, 0
	v_lshlrev_b64 v[4:5], 2, v[4:5]
	v_mov_b32_e32 v1, s13
	v_add_co_u32_e32 v4, vcc, s12, v4
	v_addc_co_u32_e32 v5, vcc, v1, v5, vcc
	global_load_dword v1, v[4:5], off
	s_waitcnt vmcnt(0)
	v_cvt_f64_f32_e32 v[4:5], v1
	v_fmac_f64_e32 v[2:3], v[4:5], v[4:5]
.LBB587_3:
	s_or_b64 exec, exec, s[8:9]
.LBB587_4:
	s_or_b64 exec, exec, s[0:1]
	v_and_b32_e32 v6, 63, v0
	v_cmp_gt_u32_e32 vcc, 64, v0
	v_lshlrev_b32_e32 v1, 3, v6
	s_and_saveexec_b64 s[0:1], vcc
	s_cbranch_execz .LBB587_6
; %bb.5:
	v_mov_b32_e32 v4, 0
	v_mov_b32_e32 v5, v4
	ds_write_b64 v1, v[4:5]
.LBB587_6:
	s_or_b64 exec, exec, s[0:1]
	v_mbcnt_lo_u32_b32 v4, -1, 0
	v_mbcnt_hi_u32_b32 v9, -1, v4
	v_and_b32_e32 v10, 63, v9
	v_cmp_gt_u32_e64 s[0:1], 32, v10
	v_cndmask_b32_e64 v4, 0, 1, s[0:1]
	v_lshlrev_b32_e32 v4, 5, v4
	v_add_lshl_u32 v5, v4, v9, 2
	ds_bpermute_b32 v4, v5, v2
	ds_bpermute_b32 v5, v5, v3
	v_cmp_gt_u32_e64 s[0:1], 48, v10
	v_cndmask_b32_e64 v7, 0, 1, s[0:1]
	v_cmp_gt_u32_e64 s[0:1], 56, v10
	s_waitcnt lgkmcnt(0)
	v_add_f64 v[2:3], v[2:3], v[4:5]
	v_lshlrev_b32_e32 v4, 4, v7
	v_add_lshl_u32 v5, v4, v9, 2
	ds_bpermute_b32 v4, v5, v2
	ds_bpermute_b32 v5, v5, v3
	s_barrier
	s_waitcnt lgkmcnt(0)
	v_add_f64 v[2:3], v[2:3], v[4:5]
	v_cndmask_b32_e64 v4, 0, 1, s[0:1]
	v_lshlrev_b32_e32 v4, 3, v4
	v_add_lshl_u32 v5, v4, v9, 2
	ds_bpermute_b32 v4, v5, v2
	ds_bpermute_b32 v5, v5, v3
	v_cmp_gt_u32_e64 s[0:1], 60, v10
	s_waitcnt lgkmcnt(0)
	v_add_f64 v[2:3], v[2:3], v[4:5]
	v_cndmask_b32_e64 v4, 0, 1, s[0:1]
	v_lshlrev_b32_e32 v4, 2, v4
	v_add_lshl_u32 v7, v4, v9, 2
	ds_bpermute_b32 v4, v7, v2
	ds_bpermute_b32 v5, v7, v3
	v_cmp_gt_u32_e64 s[0:1], 62, v10
	s_waitcnt lgkmcnt(0)
	v_add_f64 v[2:3], v[2:3], v[4:5]
	v_cndmask_b32_e64 v4, 0, 1, s[0:1]
	v_lshlrev_b32_e32 v4, 1, v4
	v_add_lshl_u32 v8, v4, v9, 2
	ds_bpermute_b32 v4, v8, v2
	ds_bpermute_b32 v5, v8, v3
	v_cmp_ne_u32_e64 s[0:1], 63, v10
	s_waitcnt lgkmcnt(0)
	v_add_f64 v[2:3], v[2:3], v[4:5]
	v_addc_co_u32_e64 v4, s[0:1], 0, v9, s[0:1]
	v_lshlrev_b32_e32 v9, 2, v4
	ds_bpermute_b32 v4, v9, v2
	ds_bpermute_b32 v5, v9, v3
	v_cmp_eq_u32_e64 s[0:1], 0, v6
	s_and_saveexec_b64 s[8:9], s[0:1]
	s_cbranch_execz .LBB587_8
; %bb.7:
	s_waitcnt lgkmcnt(0)
	v_add_f64 v[2:3], v[2:3], v[4:5]
	v_lshrrev_b32_e32 v4, 3, v0
	v_and_b32_e32 v4, 56, v4
	ds_write_b64 v4, v[2:3]
.LBB587_8:
	s_or_b64 exec, exec, s[8:9]
	v_cmp_gt_u32_e64 s[0:1], 8, v0
	v_pk_mov_b32 v[2:3], 0, 0
	s_waitcnt lgkmcnt(0)
	s_barrier
	s_and_saveexec_b64 s[8:9], s[0:1]
	s_cbranch_execnz .LBB587_12
; %bb.9:
	s_or_b64 exec, exec, s[8:9]
	s_and_saveexec_b64 s[0:1], vcc
	s_cbranch_execnz .LBB587_13
.LBB587_10:
	s_or_b64 exec, exec, s[0:1]
	v_cmp_eq_u32_e32 vcc, 0, v0
	s_and_saveexec_b64 s[0:1], vcc
	s_cbranch_execnz .LBB587_14
.LBB587_11:
	s_endpgm
.LBB587_12:
	ds_read_b64 v[2:3], v1
	s_or_b64 exec, exec, s[8:9]
	s_and_saveexec_b64 s[0:1], vcc
	s_cbranch_execz .LBB587_10
.LBB587_13:
	s_waitcnt lgkmcnt(0)
	ds_bpermute_b32 v4, v7, v2
	ds_bpermute_b32 v5, v7, v3
	s_waitcnt lgkmcnt(0)
	v_add_f64 v[2:3], v[2:3], v[4:5]
	ds_bpermute_b32 v4, v8, v2
	ds_bpermute_b32 v5, v8, v3
	s_waitcnt lgkmcnt(0)
	v_add_f64 v[2:3], v[2:3], v[4:5]
	;; [unrolled: 4-line block ×3, first 2 shown]
	s_or_b64 exec, exec, s[0:1]
	v_cmp_eq_u32_e32 vcc, 0, v0
	s_and_saveexec_b64 s[0:1], vcc
	s_cbranch_execz .LBB587_11
.LBB587_14:
	s_cmp_lg_u32 s10, 1
	s_cbranch_scc0 .LBB587_16
; %bb.15:
	s_load_dwordx2 s[0:1], s[4:5], 0x30
	s_mul_hi_u32 s9, s10, s2
	s_mul_i32 s8, s10, s2
	s_lshl_b64 s[8:9], s[8:9], 3
	s_mov_b32 s7, 0
	s_waitcnt lgkmcnt(0)
	s_add_u32 s8, s0, s8
	s_addc_u32 s9, s1, s9
	s_lshl_b64 s[0:1], s[6:7], 3
	s_add_u32 s0, s8, s0
	s_addc_u32 s1, s9, s1
	s_cbranch_execz .LBB587_17
	s_branch .LBB587_18
.LBB587_16:
                                        ; implicit-def: $sgpr0_sgpr1
.LBB587_17:
	s_load_dwordx2 s[0:1], s[4:5], 0x38
	s_lshl_b64 s[2:3], s[2:3], 3
	s_waitcnt lgkmcnt(0)
	s_add_u32 s0, s0, s2
	s_addc_u32 s1, s1, s3
.LBB587_18:
	v_mov_b32_e32 v0, 0
	s_waitcnt lgkmcnt(0)
	global_store_dwordx2 v0, v[2:3], s[0:1]
	s_endpgm
	.section	.rodata,"a",@progbits
	.p2align	6, 0x0
	.amdhsa_kernel _ZL24rocblas_dot_kernel_magsqIiLb0ELi512ELi2ELb1EdPKPKfdEviT5_lT_liPT6_PT4_
		.amdhsa_group_segment_fixed_size 512
		.amdhsa_private_segment_fixed_size 0
		.amdhsa_kernarg_size 320
		.amdhsa_user_sgpr_count 6
		.amdhsa_user_sgpr_private_segment_buffer 1
		.amdhsa_user_sgpr_dispatch_ptr 0
		.amdhsa_user_sgpr_queue_ptr 0
		.amdhsa_user_sgpr_kernarg_segment_ptr 1
		.amdhsa_user_sgpr_dispatch_id 0
		.amdhsa_user_sgpr_flat_scratch_init 0
		.amdhsa_user_sgpr_kernarg_preload_length 0
		.amdhsa_user_sgpr_kernarg_preload_offset 0
		.amdhsa_user_sgpr_private_segment_size 0
		.amdhsa_uses_dynamic_stack 0
		.amdhsa_system_sgpr_private_segment_wavefront_offset 0
		.amdhsa_system_sgpr_workgroup_id_x 1
		.amdhsa_system_sgpr_workgroup_id_y 0
		.amdhsa_system_sgpr_workgroup_id_z 1
		.amdhsa_system_sgpr_workgroup_info 0
		.amdhsa_system_vgpr_workitem_id 0
		.amdhsa_next_free_vgpr 11
		.amdhsa_next_free_sgpr 16
		.amdhsa_accum_offset 12
		.amdhsa_reserve_vcc 1
		.amdhsa_reserve_flat_scratch 0
		.amdhsa_float_round_mode_32 0
		.amdhsa_float_round_mode_16_64 0
		.amdhsa_float_denorm_mode_32 3
		.amdhsa_float_denorm_mode_16_64 3
		.amdhsa_dx10_clamp 1
		.amdhsa_ieee_mode 1
		.amdhsa_fp16_overflow 0
		.amdhsa_tg_split 0
		.amdhsa_exception_fp_ieee_invalid_op 0
		.amdhsa_exception_fp_denorm_src 0
		.amdhsa_exception_fp_ieee_div_zero 0
		.amdhsa_exception_fp_ieee_overflow 0
		.amdhsa_exception_fp_ieee_underflow 0
		.amdhsa_exception_fp_ieee_inexact 0
		.amdhsa_exception_int_div_zero 0
	.end_amdhsa_kernel
	.section	.text._ZL24rocblas_dot_kernel_magsqIiLb0ELi512ELi2ELb1EdPKPKfdEviT5_lT_liPT6_PT4_,"axG",@progbits,_ZL24rocblas_dot_kernel_magsqIiLb0ELi512ELi2ELb1EdPKPKfdEviT5_lT_liPT6_PT4_,comdat
.Lfunc_end587:
	.size	_ZL24rocblas_dot_kernel_magsqIiLb0ELi512ELi2ELb1EdPKPKfdEviT5_lT_liPT6_PT4_, .Lfunc_end587-_ZL24rocblas_dot_kernel_magsqIiLb0ELi512ELi2ELb1EdPKPKfdEviT5_lT_liPT6_PT4_
                                        ; -- End function
	.section	.AMDGPU.csdata,"",@progbits
; Kernel info:
; codeLenInByte = 968
; NumSgprs: 20
; NumVgprs: 11
; NumAgprs: 0
; TotalNumVgprs: 11
; ScratchSize: 0
; MemoryBound: 0
; FloatMode: 240
; IeeeMode: 1
; LDSByteSize: 512 bytes/workgroup (compile time only)
; SGPRBlocks: 2
; VGPRBlocks: 1
; NumSGPRsForWavesPerEU: 20
; NumVGPRsForWavesPerEU: 11
; AccumOffset: 12
; Occupancy: 8
; WaveLimiterHint : 1
; COMPUTE_PGM_RSRC2:SCRATCH_EN: 0
; COMPUTE_PGM_RSRC2:USER_SGPR: 6
; COMPUTE_PGM_RSRC2:TRAP_HANDLER: 0
; COMPUTE_PGM_RSRC2:TGID_X_EN: 1
; COMPUTE_PGM_RSRC2:TGID_Y_EN: 0
; COMPUTE_PGM_RSRC2:TGID_Z_EN: 1
; COMPUTE_PGM_RSRC2:TIDIG_COMP_CNT: 0
; COMPUTE_PGM_RSRC3_GFX90A:ACCUM_OFFSET: 2
; COMPUTE_PGM_RSRC3_GFX90A:TG_SPLIT: 0
	.section	.text._ZL28rocblas_dot_batched_4_kernelIlLi32ELi4ELb1EddPKPKfEviT5_lT_lS4_lS5_liPT4_,"axG",@progbits,_ZL28rocblas_dot_batched_4_kernelIlLi32ELi4ELb1EddPKPKfEviT5_lT_lS4_lS5_liPT4_,comdat
	.globl	_ZL28rocblas_dot_batched_4_kernelIlLi32ELi4ELb1EddPKPKfEviT5_lT_lS4_lS5_liPT4_ ; -- Begin function _ZL28rocblas_dot_batched_4_kernelIlLi32ELi4ELb1EddPKPKfEviT5_lT_lS4_lS5_liPT4_
	.p2align	8
	.type	_ZL28rocblas_dot_batched_4_kernelIlLi32ELi4ELb1EddPKPKfEviT5_lT_lS4_lS5_liPT4_,@function
_ZL28rocblas_dot_batched_4_kernelIlLi32ELi4ELb1EddPKPKfEviT5_lT_lS4_lS5_liPT4_: ; @_ZL28rocblas_dot_batched_4_kernelIlLi32ELi4ELb1EddPKPKfEviT5_lT_lS4_lS5_liPT4_
; %bb.0:
	s_load_dword s0, s[4:5], 0x48
	v_bfe_u32 v1, v0, 10, 10
	v_lshl_add_u32 v4, s6, 2, v1
	s_waitcnt lgkmcnt(0)
	v_cmp_gt_u32_e32 vcc, s0, v4
	s_and_saveexec_b64 s[0:1], vcc
	s_cbranch_execz .LBB588_7
; %bb.1:
	s_load_dword s14, s[4:5], 0x0
	s_load_dwordx2 s[8:9], s[4:5], 0x50
	v_mov_b32_e32 v5, 0
	v_and_b32_e32 v8, 0x3ff, v0
	v_pk_mov_b32 v[2:3], 0, 0
	s_waitcnt lgkmcnt(0)
	v_cmp_gt_i32_e32 vcc, s14, v8
	v_lshlrev_b64 v[0:1], 3, v[4:5]
	s_and_saveexec_b64 s[10:11], vcc
	s_cbranch_execz .LBB588_5
; %bb.2:
	s_load_dwordx2 s[6:7], s[4:5], 0x8
	s_load_dwordx2 s[12:13], s[4:5], 0x28
	s_load_dwordx4 s[0:3], s[4:5], 0x10
	s_waitcnt lgkmcnt(0)
	v_mov_b32_e32 v3, s7
	v_add_co_u32_e32 v2, vcc, s6, v0
	v_addc_co_u32_e32 v3, vcc, v3, v1, vcc
	global_load_dwordx2 v[4:5], v[2:3], off
	v_mov_b32_e32 v3, s13
	v_add_co_u32_e32 v2, vcc, s12, v0
	v_addc_co_u32_e32 v3, vcc, v3, v1, vcc
	global_load_dwordx2 v[6:7], v[2:3], off
	s_load_dwordx4 s[4:7], s[4:5], 0x30
	v_mad_u64_u32 v[12:13], s[16:17], s2, v8, 0
	v_mov_b32_e32 v16, v13
	s_lshl_b64 s[16:17], s[0:1], 2
	s_lshl_b64 s[0:1], s[2:3], 7
	s_waitcnt lgkmcnt(0)
	v_mad_u64_u32 v[14:15], s[18:19], s6, v8, 0
	v_mad_u64_u32 v[16:17], s[2:3], s3, v8, v[16:17]
	v_mov_b32_e32 v18, v15
	v_mov_b32_e32 v13, v16
	v_mad_u64_u32 v[18:19], s[2:3], s7, v8, v[18:19]
	v_lshlrev_b64 v[12:13], 2, v[12:13]
	v_mov_b32_e32 v11, s17
	v_mov_b32_e32 v15, v18
	v_add_co_u32_e32 v12, vcc, s16, v12
	s_lshl_b64 s[18:19], s[4:5], 2
	v_lshlrev_b64 v[14:15], 2, v[14:15]
	v_addc_co_u32_e32 v11, vcc, v13, v11, vcc
	v_mov_b32_e32 v20, s19
	v_add_co_u32_e32 v13, vcc, s18, v14
	v_addc_co_u32_e32 v14, vcc, v15, v20, vcc
	s_lshl_b64 s[4:5], s[6:7], 7
	s_mov_b64 s[12:13], 0
	v_pk_mov_b32 v[2:3], 0, 0
	v_mov_b32_e32 v9, s1
	v_mov_b32_e32 v10, s5
	s_waitcnt vmcnt(1)
	v_add_co_u32_e32 v4, vcc, v4, v12
	v_addc_co_u32_e32 v5, vcc, v5, v11, vcc
	v_mov_b32_e32 v11, v8
	s_waitcnt vmcnt(0)
	v_add_co_u32_e32 v6, vcc, v6, v13
	v_addc_co_u32_e32 v7, vcc, v7, v14, vcc
.LBB588_3:                              ; =>This Inner Loop Header: Depth=1
	global_load_dword v12, v[4:5], off
	global_load_dword v14, v[6:7], off
	v_add_co_u32_e32 v4, vcc, s0, v4
	v_addc_co_u32_e32 v5, vcc, v5, v9, vcc
	v_add_co_u32_e32 v6, vcc, s4, v6
	v_add_u32_e32 v11, 32, v11
	v_addc_co_u32_e32 v7, vcc, v7, v10, vcc
	v_cmp_le_i32_e32 vcc, s14, v11
	s_or_b64 s[12:13], vcc, s[12:13]
	s_waitcnt vmcnt(1)
	v_cvt_f64_f32_e32 v[12:13], v12
	s_waitcnt vmcnt(0)
	v_cvt_f64_f32_e32 v[14:15], v14
	v_fmac_f64_e32 v[2:3], v[12:13], v[14:15]
	s_andn2_b64 exec, exec, s[12:13]
	s_cbranch_execnz .LBB588_3
; %bb.4:
	s_or_b64 exec, exec, s[12:13]
.LBB588_5:
	s_or_b64 exec, exec, s[10:11]
	v_mbcnt_lo_u32_b32 v4, -1, 0
	v_mbcnt_hi_u32_b32 v6, -1, v4
	v_and_b32_e32 v7, 63, v6
	v_cmp_gt_u32_e32 vcc, 48, v7
	v_cndmask_b32_e64 v4, 0, 1, vcc
	v_lshlrev_b32_e32 v4, 4, v4
	v_add_lshl_u32 v5, v4, v6, 2
	ds_bpermute_b32 v4, v5, v2
	ds_bpermute_b32 v5, v5, v3
	v_cmp_gt_u32_e32 vcc, 56, v7
	v_cndmask_b32_e64 v9, 0, 1, vcc
	v_cmp_gt_u32_e32 vcc, 60, v7
	s_waitcnt lgkmcnt(0)
	v_add_f64 v[2:3], v[2:3], v[4:5]
	v_lshlrev_b32_e32 v4, 3, v9
	v_add_lshl_u32 v5, v4, v6, 2
	ds_bpermute_b32 v4, v5, v2
	ds_bpermute_b32 v5, v5, v3
	s_barrier
	s_waitcnt lgkmcnt(0)
	v_add_f64 v[2:3], v[2:3], v[4:5]
	v_cndmask_b32_e64 v4, 0, 1, vcc
	v_lshlrev_b32_e32 v4, 2, v4
	v_add_lshl_u32 v5, v4, v6, 2
	ds_bpermute_b32 v4, v5, v2
	ds_bpermute_b32 v5, v5, v3
	v_cmp_gt_u32_e32 vcc, 62, v7
	s_waitcnt lgkmcnt(0)
	v_add_f64 v[2:3], v[2:3], v[4:5]
	v_cndmask_b32_e64 v4, 0, 1, vcc
	v_lshlrev_b32_e32 v4, 1, v4
	v_add_lshl_u32 v5, v4, v6, 2
	ds_bpermute_b32 v4, v5, v2
	ds_bpermute_b32 v5, v5, v3
	v_cmp_ne_u32_e32 vcc, 63, v7
	s_waitcnt lgkmcnt(0)
	v_add_f64 v[2:3], v[2:3], v[4:5]
	v_addc_co_u32_e32 v4, vcc, 0, v6, vcc
	v_lshlrev_b32_e32 v5, 2, v4
	ds_bpermute_b32 v4, v5, v2
	ds_bpermute_b32 v5, v5, v3
	v_cmp_eq_u32_e32 vcc, 0, v8
	s_and_b64 exec, exec, vcc
	s_cbranch_execz .LBB588_7
; %bb.6:
	v_mov_b32_e32 v6, s9
	v_add_co_u32_e32 v0, vcc, s8, v0
	v_addc_co_u32_e32 v1, vcc, v6, v1, vcc
	s_waitcnt lgkmcnt(0)
	v_add_f64 v[2:3], v[2:3], v[4:5]
	global_store_dwordx2 v[0:1], v[2:3], off
.LBB588_7:
	s_endpgm
	.section	.rodata,"a",@progbits
	.p2align	6, 0x0
	.amdhsa_kernel _ZL28rocblas_dot_batched_4_kernelIlLi32ELi4ELb1EddPKPKfEviT5_lT_lS4_lS5_liPT4_
		.amdhsa_group_segment_fixed_size 0
		.amdhsa_private_segment_fixed_size 0
		.amdhsa_kernarg_size 88
		.amdhsa_user_sgpr_count 6
		.amdhsa_user_sgpr_private_segment_buffer 1
		.amdhsa_user_sgpr_dispatch_ptr 0
		.amdhsa_user_sgpr_queue_ptr 0
		.amdhsa_user_sgpr_kernarg_segment_ptr 1
		.amdhsa_user_sgpr_dispatch_id 0
		.amdhsa_user_sgpr_flat_scratch_init 0
		.amdhsa_user_sgpr_kernarg_preload_length 0
		.amdhsa_user_sgpr_kernarg_preload_offset 0
		.amdhsa_user_sgpr_private_segment_size 0
		.amdhsa_uses_dynamic_stack 0
		.amdhsa_system_sgpr_private_segment_wavefront_offset 0
		.amdhsa_system_sgpr_workgroup_id_x 1
		.amdhsa_system_sgpr_workgroup_id_y 0
		.amdhsa_system_sgpr_workgroup_id_z 0
		.amdhsa_system_sgpr_workgroup_info 0
		.amdhsa_system_vgpr_workitem_id 1
		.amdhsa_next_free_vgpr 21
		.amdhsa_next_free_sgpr 20
		.amdhsa_accum_offset 24
		.amdhsa_reserve_vcc 1
		.amdhsa_reserve_flat_scratch 0
		.amdhsa_float_round_mode_32 0
		.amdhsa_float_round_mode_16_64 0
		.amdhsa_float_denorm_mode_32 3
		.amdhsa_float_denorm_mode_16_64 3
		.amdhsa_dx10_clamp 1
		.amdhsa_ieee_mode 1
		.amdhsa_fp16_overflow 0
		.amdhsa_tg_split 0
		.amdhsa_exception_fp_ieee_invalid_op 0
		.amdhsa_exception_fp_denorm_src 0
		.amdhsa_exception_fp_ieee_div_zero 0
		.amdhsa_exception_fp_ieee_overflow 0
		.amdhsa_exception_fp_ieee_underflow 0
		.amdhsa_exception_fp_ieee_inexact 0
		.amdhsa_exception_int_div_zero 0
	.end_amdhsa_kernel
	.section	.text._ZL28rocblas_dot_batched_4_kernelIlLi32ELi4ELb1EddPKPKfEviT5_lT_lS4_lS5_liPT4_,"axG",@progbits,_ZL28rocblas_dot_batched_4_kernelIlLi32ELi4ELb1EddPKPKfEviT5_lT_lS4_lS5_liPT4_,comdat
.Lfunc_end588:
	.size	_ZL28rocblas_dot_batched_4_kernelIlLi32ELi4ELb1EddPKPKfEviT5_lT_lS4_lS5_liPT4_, .Lfunc_end588-_ZL28rocblas_dot_batched_4_kernelIlLi32ELi4ELb1EddPKPKfEviT5_lT_lS4_lS5_liPT4_
                                        ; -- End function
	.section	.AMDGPU.csdata,"",@progbits
; Kernel info:
; codeLenInByte = 720
; NumSgprs: 24
; NumVgprs: 21
; NumAgprs: 0
; TotalNumVgprs: 21
; ScratchSize: 0
; MemoryBound: 0
; FloatMode: 240
; IeeeMode: 1
; LDSByteSize: 0 bytes/workgroup (compile time only)
; SGPRBlocks: 2
; VGPRBlocks: 2
; NumSGPRsForWavesPerEU: 24
; NumVGPRsForWavesPerEU: 21
; AccumOffset: 24
; Occupancy: 8
; WaveLimiterHint : 0
; COMPUTE_PGM_RSRC2:SCRATCH_EN: 0
; COMPUTE_PGM_RSRC2:USER_SGPR: 6
; COMPUTE_PGM_RSRC2:TRAP_HANDLER: 0
; COMPUTE_PGM_RSRC2:TGID_X_EN: 1
; COMPUTE_PGM_RSRC2:TGID_Y_EN: 0
; COMPUTE_PGM_RSRC2:TGID_Z_EN: 0
; COMPUTE_PGM_RSRC2:TIDIG_COMP_CNT: 1
; COMPUTE_PGM_RSRC3_GFX90A:ACCUM_OFFSET: 5
; COMPUTE_PGM_RSRC3_GFX90A:TG_SPLIT: 0
	.section	.text._ZL28rocblas_dot_batched_4_kernelIlLi64ELi4ELb1EddPKPKfEviT5_lT_lS4_lS5_liPT4_,"axG",@progbits,_ZL28rocblas_dot_batched_4_kernelIlLi64ELi4ELb1EddPKPKfEviT5_lT_lS4_lS5_liPT4_,comdat
	.globl	_ZL28rocblas_dot_batched_4_kernelIlLi64ELi4ELb1EddPKPKfEviT5_lT_lS4_lS5_liPT4_ ; -- Begin function _ZL28rocblas_dot_batched_4_kernelIlLi64ELi4ELb1EddPKPKfEviT5_lT_lS4_lS5_liPT4_
	.p2align	8
	.type	_ZL28rocblas_dot_batched_4_kernelIlLi64ELi4ELb1EddPKPKfEviT5_lT_lS4_lS5_liPT4_,@function
_ZL28rocblas_dot_batched_4_kernelIlLi64ELi4ELb1EddPKPKfEviT5_lT_lS4_lS5_liPT4_: ; @_ZL28rocblas_dot_batched_4_kernelIlLi64ELi4ELb1EddPKPKfEviT5_lT_lS4_lS5_liPT4_
; %bb.0:
	s_load_dword s0, s[4:5], 0x48
	v_bfe_u32 v1, v0, 10, 10
	v_lshl_add_u32 v4, s6, 2, v1
	s_waitcnt lgkmcnt(0)
	v_cmp_gt_u32_e32 vcc, s0, v4
	s_and_saveexec_b64 s[0:1], vcc
	s_cbranch_execz .LBB589_7
; %bb.1:
	s_load_dword s14, s[4:5], 0x0
	s_load_dwordx2 s[8:9], s[4:5], 0x50
	v_mov_b32_e32 v5, 0
	v_and_b32_e32 v8, 0x3ff, v0
	v_pk_mov_b32 v[2:3], 0, 0
	s_waitcnt lgkmcnt(0)
	v_cmp_gt_i32_e32 vcc, s14, v8
	v_lshlrev_b64 v[0:1], 3, v[4:5]
	s_and_saveexec_b64 s[10:11], vcc
	s_cbranch_execz .LBB589_5
; %bb.2:
	s_load_dwordx2 s[6:7], s[4:5], 0x8
	s_load_dwordx2 s[12:13], s[4:5], 0x28
	s_load_dwordx4 s[0:3], s[4:5], 0x10
	s_waitcnt lgkmcnt(0)
	v_mov_b32_e32 v3, s7
	v_add_co_u32_e32 v2, vcc, s6, v0
	v_addc_co_u32_e32 v3, vcc, v3, v1, vcc
	global_load_dwordx2 v[4:5], v[2:3], off
	v_mov_b32_e32 v3, s13
	v_add_co_u32_e32 v2, vcc, s12, v0
	v_addc_co_u32_e32 v3, vcc, v3, v1, vcc
	global_load_dwordx2 v[6:7], v[2:3], off
	s_load_dwordx4 s[4:7], s[4:5], 0x30
	v_mad_u64_u32 v[12:13], s[16:17], s2, v8, 0
	v_mov_b32_e32 v16, v13
	s_lshl_b64 s[16:17], s[0:1], 2
	s_lshl_b64 s[0:1], s[2:3], 8
	s_waitcnt lgkmcnt(0)
	v_mad_u64_u32 v[14:15], s[18:19], s6, v8, 0
	v_mad_u64_u32 v[16:17], s[2:3], s3, v8, v[16:17]
	v_mov_b32_e32 v18, v15
	v_mov_b32_e32 v13, v16
	v_mad_u64_u32 v[18:19], s[2:3], s7, v8, v[18:19]
	v_lshlrev_b64 v[12:13], 2, v[12:13]
	v_mov_b32_e32 v11, s17
	v_mov_b32_e32 v15, v18
	v_add_co_u32_e32 v12, vcc, s16, v12
	s_lshl_b64 s[18:19], s[4:5], 2
	v_lshlrev_b64 v[14:15], 2, v[14:15]
	v_addc_co_u32_e32 v11, vcc, v13, v11, vcc
	v_mov_b32_e32 v20, s19
	v_add_co_u32_e32 v13, vcc, s18, v14
	v_addc_co_u32_e32 v14, vcc, v15, v20, vcc
	s_lshl_b64 s[4:5], s[6:7], 8
	s_mov_b64 s[12:13], 0
	v_pk_mov_b32 v[2:3], 0, 0
	v_mov_b32_e32 v9, s1
	v_mov_b32_e32 v10, s5
	s_waitcnt vmcnt(1)
	v_add_co_u32_e32 v4, vcc, v4, v12
	v_addc_co_u32_e32 v5, vcc, v5, v11, vcc
	v_mov_b32_e32 v11, v8
	s_waitcnt vmcnt(0)
	v_add_co_u32_e32 v6, vcc, v6, v13
	v_addc_co_u32_e32 v7, vcc, v7, v14, vcc
.LBB589_3:                              ; =>This Inner Loop Header: Depth=1
	global_load_dword v12, v[4:5], off
	global_load_dword v14, v[6:7], off
	v_add_co_u32_e32 v4, vcc, s0, v4
	v_addc_co_u32_e32 v5, vcc, v5, v9, vcc
	v_add_co_u32_e32 v6, vcc, s4, v6
	v_add_u32_e32 v11, 64, v11
	v_addc_co_u32_e32 v7, vcc, v7, v10, vcc
	v_cmp_le_i32_e32 vcc, s14, v11
	s_or_b64 s[12:13], vcc, s[12:13]
	s_waitcnt vmcnt(1)
	v_cvt_f64_f32_e32 v[12:13], v12
	s_waitcnt vmcnt(0)
	v_cvt_f64_f32_e32 v[14:15], v14
	v_fmac_f64_e32 v[2:3], v[12:13], v[14:15]
	s_andn2_b64 exec, exec, s[12:13]
	s_cbranch_execnz .LBB589_3
; %bb.4:
	s_or_b64 exec, exec, s[12:13]
.LBB589_5:
	s_or_b64 exec, exec, s[10:11]
	v_mbcnt_lo_u32_b32 v4, -1, 0
	v_mbcnt_hi_u32_b32 v6, -1, v4
	v_and_b32_e32 v7, 63, v6
	v_cmp_gt_u32_e32 vcc, 32, v7
	v_cndmask_b32_e64 v4, 0, 1, vcc
	v_lshlrev_b32_e32 v4, 5, v4
	v_add_lshl_u32 v5, v4, v6, 2
	ds_bpermute_b32 v4, v5, v2
	ds_bpermute_b32 v5, v5, v3
	v_cmp_gt_u32_e32 vcc, 48, v7
	v_cndmask_b32_e64 v9, 0, 1, vcc
	v_cmp_gt_u32_e32 vcc, 56, v7
	s_waitcnt lgkmcnt(0)
	v_add_f64 v[2:3], v[2:3], v[4:5]
	v_lshlrev_b32_e32 v4, 4, v9
	v_add_lshl_u32 v5, v4, v6, 2
	ds_bpermute_b32 v4, v5, v2
	ds_bpermute_b32 v5, v5, v3
	s_barrier
	s_waitcnt lgkmcnt(0)
	v_add_f64 v[2:3], v[2:3], v[4:5]
	v_cndmask_b32_e64 v4, 0, 1, vcc
	v_lshlrev_b32_e32 v4, 3, v4
	v_add_lshl_u32 v5, v4, v6, 2
	ds_bpermute_b32 v4, v5, v2
	ds_bpermute_b32 v5, v5, v3
	v_cmp_gt_u32_e32 vcc, 60, v7
	s_waitcnt lgkmcnt(0)
	v_add_f64 v[2:3], v[2:3], v[4:5]
	v_cndmask_b32_e64 v4, 0, 1, vcc
	v_lshlrev_b32_e32 v4, 2, v4
	v_add_lshl_u32 v5, v4, v6, 2
	ds_bpermute_b32 v4, v5, v2
	ds_bpermute_b32 v5, v5, v3
	v_cmp_gt_u32_e32 vcc, 62, v7
	s_waitcnt lgkmcnt(0)
	v_add_f64 v[2:3], v[2:3], v[4:5]
	v_cndmask_b32_e64 v4, 0, 1, vcc
	v_lshlrev_b32_e32 v4, 1, v4
	v_add_lshl_u32 v5, v4, v6, 2
	ds_bpermute_b32 v4, v5, v2
	ds_bpermute_b32 v5, v5, v3
	v_cmp_ne_u32_e32 vcc, 63, v7
	s_waitcnt lgkmcnt(0)
	v_add_f64 v[2:3], v[2:3], v[4:5]
	v_addc_co_u32_e32 v4, vcc, 0, v6, vcc
	v_lshlrev_b32_e32 v5, 2, v4
	ds_bpermute_b32 v4, v5, v2
	ds_bpermute_b32 v5, v5, v3
	v_cmp_eq_u32_e32 vcc, 0, v8
	s_and_b64 exec, exec, vcc
	s_cbranch_execz .LBB589_7
; %bb.6:
	v_mov_b32_e32 v6, s9
	v_add_co_u32_e32 v0, vcc, s8, v0
	v_addc_co_u32_e32 v1, vcc, v6, v1, vcc
	s_waitcnt lgkmcnt(0)
	v_add_f64 v[2:3], v[2:3], v[4:5]
	global_store_dwordx2 v[0:1], v[2:3], off
.LBB589_7:
	s_endpgm
	.section	.rodata,"a",@progbits
	.p2align	6, 0x0
	.amdhsa_kernel _ZL28rocblas_dot_batched_4_kernelIlLi64ELi4ELb1EddPKPKfEviT5_lT_lS4_lS5_liPT4_
		.amdhsa_group_segment_fixed_size 0
		.amdhsa_private_segment_fixed_size 0
		.amdhsa_kernarg_size 88
		.amdhsa_user_sgpr_count 6
		.amdhsa_user_sgpr_private_segment_buffer 1
		.amdhsa_user_sgpr_dispatch_ptr 0
		.amdhsa_user_sgpr_queue_ptr 0
		.amdhsa_user_sgpr_kernarg_segment_ptr 1
		.amdhsa_user_sgpr_dispatch_id 0
		.amdhsa_user_sgpr_flat_scratch_init 0
		.amdhsa_user_sgpr_kernarg_preload_length 0
		.amdhsa_user_sgpr_kernarg_preload_offset 0
		.amdhsa_user_sgpr_private_segment_size 0
		.amdhsa_uses_dynamic_stack 0
		.amdhsa_system_sgpr_private_segment_wavefront_offset 0
		.amdhsa_system_sgpr_workgroup_id_x 1
		.amdhsa_system_sgpr_workgroup_id_y 0
		.amdhsa_system_sgpr_workgroup_id_z 0
		.amdhsa_system_sgpr_workgroup_info 0
		.amdhsa_system_vgpr_workitem_id 1
		.amdhsa_next_free_vgpr 21
		.amdhsa_next_free_sgpr 20
		.amdhsa_accum_offset 24
		.amdhsa_reserve_vcc 1
		.amdhsa_reserve_flat_scratch 0
		.amdhsa_float_round_mode_32 0
		.amdhsa_float_round_mode_16_64 0
		.amdhsa_float_denorm_mode_32 3
		.amdhsa_float_denorm_mode_16_64 3
		.amdhsa_dx10_clamp 1
		.amdhsa_ieee_mode 1
		.amdhsa_fp16_overflow 0
		.amdhsa_tg_split 0
		.amdhsa_exception_fp_ieee_invalid_op 0
		.amdhsa_exception_fp_denorm_src 0
		.amdhsa_exception_fp_ieee_div_zero 0
		.amdhsa_exception_fp_ieee_overflow 0
		.amdhsa_exception_fp_ieee_underflow 0
		.amdhsa_exception_fp_ieee_inexact 0
		.amdhsa_exception_int_div_zero 0
	.end_amdhsa_kernel
	.section	.text._ZL28rocblas_dot_batched_4_kernelIlLi64ELi4ELb1EddPKPKfEviT5_lT_lS4_lS5_liPT4_,"axG",@progbits,_ZL28rocblas_dot_batched_4_kernelIlLi64ELi4ELb1EddPKPKfEviT5_lT_lS4_lS5_liPT4_,comdat
.Lfunc_end589:
	.size	_ZL28rocblas_dot_batched_4_kernelIlLi64ELi4ELb1EddPKPKfEviT5_lT_lS4_lS5_liPT4_, .Lfunc_end589-_ZL28rocblas_dot_batched_4_kernelIlLi64ELi4ELb1EddPKPKfEviT5_lT_lS4_lS5_liPT4_
                                        ; -- End function
	.section	.AMDGPU.csdata,"",@progbits
; Kernel info:
; codeLenInByte = 772
; NumSgprs: 24
; NumVgprs: 21
; NumAgprs: 0
; TotalNumVgprs: 21
; ScratchSize: 0
; MemoryBound: 0
; FloatMode: 240
; IeeeMode: 1
; LDSByteSize: 0 bytes/workgroup (compile time only)
; SGPRBlocks: 2
; VGPRBlocks: 2
; NumSGPRsForWavesPerEU: 24
; NumVGPRsForWavesPerEU: 21
; AccumOffset: 24
; Occupancy: 8
; WaveLimiterHint : 0
; COMPUTE_PGM_RSRC2:SCRATCH_EN: 0
; COMPUTE_PGM_RSRC2:USER_SGPR: 6
; COMPUTE_PGM_RSRC2:TRAP_HANDLER: 0
; COMPUTE_PGM_RSRC2:TGID_X_EN: 1
; COMPUTE_PGM_RSRC2:TGID_Y_EN: 0
; COMPUTE_PGM_RSRC2:TGID_Z_EN: 0
; COMPUTE_PGM_RSRC2:TIDIG_COMP_CNT: 1
; COMPUTE_PGM_RSRC3_GFX90A:ACCUM_OFFSET: 5
; COMPUTE_PGM_RSRC3_GFX90A:TG_SPLIT: 0
	.section	.text._ZL18rocblas_dot_kernelIlLb1ELi1024ELi32ELb1EdPKPKfdEviT5_lT_lS4_lS5_liPT6_PT4_,"axG",@progbits,_ZL18rocblas_dot_kernelIlLb1ELi1024ELi32ELb1EdPKPKfdEviT5_lT_lS4_lS5_liPT6_PT4_,comdat
	.globl	_ZL18rocblas_dot_kernelIlLb1ELi1024ELi32ELb1EdPKPKfdEviT5_lT_lS4_lS5_liPT6_PT4_ ; -- Begin function _ZL18rocblas_dot_kernelIlLb1ELi1024ELi32ELb1EdPKPKfdEviT5_lT_lS4_lS5_liPT6_PT4_
	.p2align	8
	.type	_ZL18rocblas_dot_kernelIlLb1ELi1024ELi32ELb1EdPKPKfdEviT5_lT_lS4_lS5_liPT6_PT4_,@function
_ZL18rocblas_dot_kernelIlLb1ELi1024ELi32ELb1EdPKPKfdEviT5_lT_lS4_lS5_liPT6_PT4_: ; @_ZL18rocblas_dot_kernelIlLb1ELi1024ELi32ELb1EdPKPKfdEviT5_lT_lS4_lS5_liPT6_PT4_
; %bb.0:
	s_load_dword s16, s[4:5], 0x0
	s_load_dwordx2 s[12:13], s[4:5], 0x58
	s_mov_b32 s6, s7
	s_mov_b32 s7, 0
	v_pk_mov_b32 v[2:3], 0, 0
	s_waitcnt lgkmcnt(0)
	v_cmp_gt_i32_e32 vcc, s16, v0
	s_and_saveexec_b64 s[14:15], vcc
	s_cbranch_execz .LBB590_4
; %bb.1:
	s_load_dwordx2 s[18:19], s[4:5], 0x8
	s_load_dwordx4 s[8:11], s[4:5], 0x10
	s_load_dwordx2 s[20:21], s[4:5], 0x28
	s_load_dwordx4 s[0:3], s[4:5], 0x30
	s_lshl_b64 s[22:23], s[6:7], 3
	s_waitcnt lgkmcnt(0)
	s_add_u32 s18, s18, s22
	s_addc_u32 s19, s19, s23
	s_load_dword s17, s[4:5], 0x60
	s_load_dwordx2 s[24:25], s[18:19], 0x0
	s_add_u32 s4, s20, s22
	s_addc_u32 s5, s21, s23
	s_load_dwordx2 s[18:19], s[4:5], 0x0
	v_mad_u64_u32 v[2:3], s[4:5], s10, v0, 0
	v_mov_b32_e32 v4, v3
	v_mad_u64_u32 v[4:5], s[4:5], s11, v0, v[4:5]
	s_waitcnt lgkmcnt(0)
	s_lshl_b32 s17, s17, 10
	s_lshl_b64 s[4:5], s[8:9], 2
	v_mov_b32_e32 v3, v4
	s_add_u32 s4, s24, s4
	v_lshlrev_b64 v[2:3], 2, v[2:3]
	s_addc_u32 s5, s25, s5
	s_ashr_i32 s20, s17, 31
	v_mov_b32_e32 v5, s5
	v_add_co_u32_e32 v4, vcc, s4, v2
	s_mul_i32 s4, s10, s20
	s_mul_hi_u32 s5, s10, s17
	v_addc_co_u32_e32 v5, vcc, v5, v3, vcc
	s_add_i32 s4, s5, s4
	s_mul_i32 s5, s11, s17
	v_mad_u64_u32 v[2:3], s[8:9], s2, v0, 0
	s_add_i32 s5, s4, s5
	s_mul_i32 s4, s10, s17
	v_mov_b32_e32 v6, v3
	s_lshl_b64 s[4:5], s[4:5], 2
	v_mad_u64_u32 v[6:7], s[8:9], s3, v0, v[6:7]
	s_lshl_b64 s[0:1], s[0:1], 2
	v_mov_b32_e32 v3, v6
	s_add_u32 s0, s18, s0
	v_lshlrev_b64 v[2:3], 2, v[2:3]
	s_addc_u32 s1, s19, s1
	v_mov_b32_e32 v7, s1
	v_add_co_u32_e32 v6, vcc, s0, v2
	s_mul_i32 s0, s2, s20
	s_mul_hi_u32 s1, s2, s17
	s_add_i32 s0, s1, s0
	s_mul_i32 s1, s3, s17
	s_add_i32 s1, s0, s1
	s_mul_i32 s0, s2, s17
	s_lshl_b64 s[8:9], s[0:1], 2
	v_or_b32_e32 v1, s17, v0
	v_addc_co_u32_e32 v7, vcc, v7, v3, vcc
	s_mov_b64 s[2:3], 0
	v_pk_mov_b32 v[2:3], 0, 0
	v_mov_b32_e32 v8, s5
	v_mov_b32_e32 v9, s9
	s_mov_b32 s5, s7
.LBB590_2:                              ; =>This Inner Loop Header: Depth=1
	global_load_dword v10, v[6:7], off
	global_load_dword v12, v[4:5], off
	v_add_co_u32_e64 v4, s[0:1], s4, v4
	v_addc_co_u32_e64 v5, s[0:1], v5, v8, s[0:1]
	s_add_i32 s9, s5, 1
	v_add_co_u32_e64 v6, s[0:1], s8, v6
	v_addc_co_u32_e64 v7, s[0:1], v7, v9, s[0:1]
	s_cmp_gt_u32 s5, 30
	v_cmp_le_i32_e32 vcc, s16, v1
	s_cselect_b64 s[0:1], -1, 0
	s_or_b64 s[0:1], s[0:1], vcc
	s_and_b64 s[0:1], exec, s[0:1]
	v_add_u32_e32 v1, s17, v1
	s_mov_b32 s5, s9
	s_or_b64 s[2:3], s[0:1], s[2:3]
	s_waitcnt vmcnt(1)
	v_cvt_f64_f32_e32 v[10:11], v10
	s_waitcnt vmcnt(0)
	v_cvt_f64_f32_e32 v[12:13], v12
	v_fmac_f64_e32 v[2:3], v[10:11], v[12:13]
	s_andn2_b64 exec, exec, s[2:3]
	s_cbranch_execnz .LBB590_2
; %bb.3:
	s_or_b64 exec, exec, s[2:3]
.LBB590_4:
	s_or_b64 exec, exec, s[14:15]
	v_and_b32_e32 v6, 63, v0
	v_cmp_gt_u32_e32 vcc, 64, v0
	v_lshlrev_b32_e32 v1, 3, v6
	s_and_saveexec_b64 s[0:1], vcc
	s_cbranch_execz .LBB590_6
; %bb.5:
	v_mov_b32_e32 v4, 0
	v_mov_b32_e32 v5, v4
	ds_write_b64 v1, v[4:5]
.LBB590_6:
	s_or_b64 exec, exec, s[0:1]
	v_mbcnt_lo_u32_b32 v4, -1, 0
	v_mbcnt_hi_u32_b32 v10, -1, v4
	v_and_b32_e32 v11, 63, v10
	v_cmp_gt_u32_e64 s[0:1], 32, v11
	v_cndmask_b32_e64 v4, 0, 1, s[0:1]
	v_lshlrev_b32_e32 v4, 5, v4
	v_add_lshl_u32 v5, v4, v10, 2
	ds_bpermute_b32 v4, v5, v2
	ds_bpermute_b32 v5, v5, v3
	v_cmp_gt_u32_e64 s[0:1], 48, v11
	v_cndmask_b32_e64 v7, 0, 1, s[0:1]
	v_cmp_gt_u32_e64 s[0:1], 56, v11
	s_waitcnt lgkmcnt(0)
	v_add_f64 v[2:3], v[2:3], v[4:5]
	v_lshlrev_b32_e32 v4, 4, v7
	v_add_lshl_u32 v5, v4, v10, 2
	ds_bpermute_b32 v4, v5, v2
	ds_bpermute_b32 v5, v5, v3
	s_barrier
	s_waitcnt lgkmcnt(0)
	v_add_f64 v[2:3], v[2:3], v[4:5]
	v_cndmask_b32_e64 v4, 0, 1, s[0:1]
	v_lshlrev_b32_e32 v4, 3, v4
	v_add_lshl_u32 v7, v4, v10, 2
	ds_bpermute_b32 v4, v7, v2
	ds_bpermute_b32 v5, v7, v3
	v_cmp_gt_u32_e64 s[0:1], 60, v11
	s_waitcnt lgkmcnt(0)
	v_add_f64 v[2:3], v[2:3], v[4:5]
	v_cndmask_b32_e64 v4, 0, 1, s[0:1]
	v_lshlrev_b32_e32 v4, 2, v4
	v_add_lshl_u32 v8, v4, v10, 2
	ds_bpermute_b32 v4, v8, v2
	ds_bpermute_b32 v5, v8, v3
	v_cmp_gt_u32_e64 s[0:1], 62, v11
	s_waitcnt lgkmcnt(0)
	v_add_f64 v[2:3], v[2:3], v[4:5]
	v_cndmask_b32_e64 v4, 0, 1, s[0:1]
	v_lshlrev_b32_e32 v4, 1, v4
	v_add_lshl_u32 v9, v4, v10, 2
	ds_bpermute_b32 v4, v9, v2
	ds_bpermute_b32 v5, v9, v3
	v_cmp_ne_u32_e64 s[0:1], 63, v11
	s_waitcnt lgkmcnt(0)
	v_add_f64 v[2:3], v[2:3], v[4:5]
	v_addc_co_u32_e64 v4, s[0:1], 0, v10, s[0:1]
	v_lshlrev_b32_e32 v10, 2, v4
	ds_bpermute_b32 v4, v10, v2
	ds_bpermute_b32 v5, v10, v3
	v_cmp_eq_u32_e64 s[0:1], 0, v6
	s_and_saveexec_b64 s[2:3], s[0:1]
	s_cbranch_execz .LBB590_8
; %bb.7:
	s_waitcnt lgkmcnt(0)
	v_add_f64 v[2:3], v[2:3], v[4:5]
	v_lshrrev_b32_e32 v4, 3, v0
	v_and_b32_e32 v4, 0x78, v4
	ds_write_b64 v4, v[2:3]
.LBB590_8:
	s_or_b64 exec, exec, s[2:3]
	v_cmp_gt_u32_e64 s[0:1], 16, v0
	v_pk_mov_b32 v[2:3], 0, 0
	s_waitcnt lgkmcnt(0)
	s_barrier
	s_and_saveexec_b64 s[2:3], s[0:1]
	s_cbranch_execnz .LBB590_12
; %bb.9:
	s_or_b64 exec, exec, s[2:3]
	s_and_saveexec_b64 s[0:1], vcc
	s_cbranch_execnz .LBB590_13
.LBB590_10:
	s_or_b64 exec, exec, s[0:1]
	v_cmp_eq_u32_e32 vcc, 0, v0
	s_and_saveexec_b64 s[0:1], vcc
	s_cbranch_execnz .LBB590_14
.LBB590_11:
	s_endpgm
.LBB590_12:
	ds_read_b64 v[2:3], v1
	s_or_b64 exec, exec, s[2:3]
	s_and_saveexec_b64 s[0:1], vcc
	s_cbranch_execz .LBB590_10
.LBB590_13:
	s_waitcnt lgkmcnt(0)
	ds_bpermute_b32 v4, v7, v2
	ds_bpermute_b32 v5, v7, v3
	s_waitcnt lgkmcnt(0)
	v_add_f64 v[2:3], v[2:3], v[4:5]
	ds_bpermute_b32 v4, v8, v2
	ds_bpermute_b32 v5, v8, v3
	s_waitcnt lgkmcnt(0)
	v_add_f64 v[2:3], v[2:3], v[4:5]
	;; [unrolled: 4-line block ×4, first 2 shown]
	s_or_b64 exec, exec, s[0:1]
	v_cmp_eq_u32_e32 vcc, 0, v0
	s_and_saveexec_b64 s[0:1], vcc
	s_cbranch_execz .LBB590_11
.LBB590_14:
	s_lshl_b64 s[0:1], s[6:7], 3
	s_add_u32 s0, s12, s0
	s_addc_u32 s1, s13, s1
	v_mov_b32_e32 v0, 0
	s_waitcnt lgkmcnt(0)
	global_store_dwordx2 v0, v[2:3], s[0:1]
	s_endpgm
	.section	.rodata,"a",@progbits
	.p2align	6, 0x0
	.amdhsa_kernel _ZL18rocblas_dot_kernelIlLb1ELi1024ELi32ELb1EdPKPKfdEviT5_lT_lS4_lS5_liPT6_PT4_
		.amdhsa_group_segment_fixed_size 512
		.amdhsa_private_segment_fixed_size 0
		.amdhsa_kernarg_size 352
		.amdhsa_user_sgpr_count 6
		.amdhsa_user_sgpr_private_segment_buffer 1
		.amdhsa_user_sgpr_dispatch_ptr 0
		.amdhsa_user_sgpr_queue_ptr 0
		.amdhsa_user_sgpr_kernarg_segment_ptr 1
		.amdhsa_user_sgpr_dispatch_id 0
		.amdhsa_user_sgpr_flat_scratch_init 0
		.amdhsa_user_sgpr_kernarg_preload_length 0
		.amdhsa_user_sgpr_kernarg_preload_offset 0
		.amdhsa_user_sgpr_private_segment_size 0
		.amdhsa_uses_dynamic_stack 0
		.amdhsa_system_sgpr_private_segment_wavefront_offset 0
		.amdhsa_system_sgpr_workgroup_id_x 1
		.amdhsa_system_sgpr_workgroup_id_y 0
		.amdhsa_system_sgpr_workgroup_id_z 1
		.amdhsa_system_sgpr_workgroup_info 0
		.amdhsa_system_vgpr_workitem_id 0
		.amdhsa_next_free_vgpr 14
		.amdhsa_next_free_sgpr 26
		.amdhsa_accum_offset 16
		.amdhsa_reserve_vcc 1
		.amdhsa_reserve_flat_scratch 0
		.amdhsa_float_round_mode_32 0
		.amdhsa_float_round_mode_16_64 0
		.amdhsa_float_denorm_mode_32 3
		.amdhsa_float_denorm_mode_16_64 3
		.amdhsa_dx10_clamp 1
		.amdhsa_ieee_mode 1
		.amdhsa_fp16_overflow 0
		.amdhsa_tg_split 0
		.amdhsa_exception_fp_ieee_invalid_op 0
		.amdhsa_exception_fp_denorm_src 0
		.amdhsa_exception_fp_ieee_div_zero 0
		.amdhsa_exception_fp_ieee_overflow 0
		.amdhsa_exception_fp_ieee_underflow 0
		.amdhsa_exception_fp_ieee_inexact 0
		.amdhsa_exception_int_div_zero 0
	.end_amdhsa_kernel
	.section	.text._ZL18rocblas_dot_kernelIlLb1ELi1024ELi32ELb1EdPKPKfdEviT5_lT_lS4_lS5_liPT6_PT4_,"axG",@progbits,_ZL18rocblas_dot_kernelIlLb1ELi1024ELi32ELb1EdPKPKfdEviT5_lT_lS4_lS5_liPT6_PT4_,comdat
.Lfunc_end590:
	.size	_ZL18rocblas_dot_kernelIlLb1ELi1024ELi32ELb1EdPKPKfdEviT5_lT_lS4_lS5_liPT6_PT4_, .Lfunc_end590-_ZL18rocblas_dot_kernelIlLb1ELi1024ELi32ELb1EdPKPKfdEviT5_lT_lS4_lS5_liPT6_PT4_
                                        ; -- End function
	.section	.AMDGPU.csdata,"",@progbits
; Kernel info:
; codeLenInByte = 1136
; NumSgprs: 30
; NumVgprs: 14
; NumAgprs: 0
; TotalNumVgprs: 14
; ScratchSize: 0
; MemoryBound: 0
; FloatMode: 240
; IeeeMode: 1
; LDSByteSize: 512 bytes/workgroup (compile time only)
; SGPRBlocks: 3
; VGPRBlocks: 1
; NumSGPRsForWavesPerEU: 30
; NumVGPRsForWavesPerEU: 14
; AccumOffset: 16
; Occupancy: 8
; WaveLimiterHint : 0
; COMPUTE_PGM_RSRC2:SCRATCH_EN: 0
; COMPUTE_PGM_RSRC2:USER_SGPR: 6
; COMPUTE_PGM_RSRC2:TRAP_HANDLER: 0
; COMPUTE_PGM_RSRC2:TGID_X_EN: 1
; COMPUTE_PGM_RSRC2:TGID_Y_EN: 0
; COMPUTE_PGM_RSRC2:TGID_Z_EN: 1
; COMPUTE_PGM_RSRC2:TIDIG_COMP_CNT: 0
; COMPUTE_PGM_RSRC3_GFX90A:ACCUM_OFFSET: 3
; COMPUTE_PGM_RSRC3_GFX90A:TG_SPLIT: 0
	.section	.text._ZL24rocblas_dot_kernel_magsqIlLb1ELi1024ELi32ELb1EdPKPKfdEviT5_lT_liPT6_PT4_,"axG",@progbits,_ZL24rocblas_dot_kernel_magsqIlLb1ELi1024ELi32ELb1EdPKPKfdEviT5_lT_liPT6_PT4_,comdat
	.globl	_ZL24rocblas_dot_kernel_magsqIlLb1ELi1024ELi32ELb1EdPKPKfdEviT5_lT_liPT6_PT4_ ; -- Begin function _ZL24rocblas_dot_kernel_magsqIlLb1ELi1024ELi32ELb1EdPKPKfdEviT5_lT_liPT6_PT4_
	.p2align	8
	.type	_ZL24rocblas_dot_kernel_magsqIlLb1ELi1024ELi32ELb1EdPKPKfdEviT5_lT_liPT6_PT4_,@function
_ZL24rocblas_dot_kernel_magsqIlLb1ELi1024ELi32ELb1EdPKPKfdEviT5_lT_liPT6_PT4_: ; @_ZL24rocblas_dot_kernel_magsqIlLb1ELi1024ELi32ELb1EdPKPKfdEviT5_lT_liPT6_PT4_
; %bb.0:
	s_mov_b32 s2, s7
	s_load_dword s12, s[4:5], 0x0
	s_load_dwordx2 s[6:7], s[4:5], 0x38
	s_mov_b32 s3, 0
	v_pk_mov_b32 v[2:3], 0, 0
	s_waitcnt lgkmcnt(0)
	v_cmp_gt_i32_e32 vcc, s12, v0
	s_and_saveexec_b64 s[8:9], vcc
	s_cbranch_execz .LBB591_4
; %bb.1:
	s_load_dwordx2 s[0:1], s[4:5], 0x8
	s_load_dword s10, s[4:5], 0x40
	s_load_dwordx4 s[16:19], s[4:5], 0x10
	s_lshl_b64 s[4:5], s[2:3], 3
	s_waitcnt lgkmcnt(0)
	s_add_u32 s0, s0, s4
	s_addc_u32 s1, s1, s5
	s_load_dwordx2 s[0:1], s[0:1], 0x0
	v_mad_u64_u32 v[2:3], s[4:5], s18, v0, 0
	v_mov_b32_e32 v4, v3
	v_mad_u64_u32 v[4:5], s[4:5], s19, v0, v[4:5]
	s_lshl_b32 s13, s10, 10
	v_mov_b32_e32 v3, v4
	s_lshl_b64 s[4:5], s[16:17], 2
	v_lshlrev_b64 v[2:3], 2, v[2:3]
	s_waitcnt lgkmcnt(0)
	s_add_u32 s0, s0, s4
	s_addc_u32 s1, s1, s5
	v_add_co_u32_e32 v4, vcc, s0, v2
	s_ashr_i32 s0, s13, 31
	v_mov_b32_e32 v5, s1
	s_mul_i32 s0, s18, s0
	s_mul_hi_u32 s1, s18, s13
	s_add_i32 s0, s1, s0
	s_mul_i32 s1, s19, s13
	s_add_i32 s1, s0, s1
	s_mul_i32 s0, s18, s13
	s_lshl_b64 s[10:11], s[0:1], 2
	v_or_b32_e32 v1, s13, v0
	v_addc_co_u32_e32 v5, vcc, v5, v3, vcc
	s_mov_b64 s[4:5], 0
	v_pk_mov_b32 v[2:3], 0, 0
	v_mov_b32_e32 v6, s11
	s_mov_b32 s11, s3
.LBB591_2:                              ; =>This Inner Loop Header: Depth=1
	global_load_dword v7, v[4:5], off
	s_add_i32 s14, s11, 1
	v_add_co_u32_e64 v4, s[0:1], s10, v4
	v_addc_co_u32_e64 v5, s[0:1], v5, v6, s[0:1]
	s_cmp_gt_u32 s11, 30
	v_cmp_le_i32_e32 vcc, s12, v1
	s_cselect_b64 s[0:1], -1, 0
	s_or_b64 s[0:1], s[0:1], vcc
	s_and_b64 s[0:1], exec, s[0:1]
	v_add_u32_e32 v1, s13, v1
	s_mov_b32 s11, s14
	s_or_b64 s[4:5], s[0:1], s[4:5]
	s_waitcnt vmcnt(0)
	v_cvt_f64_f32_e32 v[8:9], v7
	v_fmac_f64_e32 v[2:3], v[8:9], v[8:9]
	s_andn2_b64 exec, exec, s[4:5]
	s_cbranch_execnz .LBB591_2
; %bb.3:
	s_or_b64 exec, exec, s[4:5]
.LBB591_4:
	s_or_b64 exec, exec, s[8:9]
	v_and_b32_e32 v6, 63, v0
	v_cmp_gt_u32_e32 vcc, 64, v0
	v_lshlrev_b32_e32 v1, 3, v6
	s_and_saveexec_b64 s[0:1], vcc
	s_cbranch_execz .LBB591_6
; %bb.5:
	v_mov_b32_e32 v4, 0
	v_mov_b32_e32 v5, v4
	ds_write_b64 v1, v[4:5]
.LBB591_6:
	s_or_b64 exec, exec, s[0:1]
	v_mbcnt_lo_u32_b32 v4, -1, 0
	v_mbcnt_hi_u32_b32 v10, -1, v4
	v_and_b32_e32 v11, 63, v10
	v_cmp_gt_u32_e64 s[0:1], 32, v11
	v_cndmask_b32_e64 v4, 0, 1, s[0:1]
	v_lshlrev_b32_e32 v4, 5, v4
	v_add_lshl_u32 v5, v4, v10, 2
	ds_bpermute_b32 v4, v5, v2
	ds_bpermute_b32 v5, v5, v3
	v_cmp_gt_u32_e64 s[0:1], 48, v11
	v_cndmask_b32_e64 v7, 0, 1, s[0:1]
	v_cmp_gt_u32_e64 s[0:1], 56, v11
	s_waitcnt lgkmcnt(0)
	v_add_f64 v[2:3], v[2:3], v[4:5]
	v_lshlrev_b32_e32 v4, 4, v7
	v_add_lshl_u32 v5, v4, v10, 2
	ds_bpermute_b32 v4, v5, v2
	ds_bpermute_b32 v5, v5, v3
	s_barrier
	s_waitcnt lgkmcnt(0)
	v_add_f64 v[2:3], v[2:3], v[4:5]
	v_cndmask_b32_e64 v4, 0, 1, s[0:1]
	v_lshlrev_b32_e32 v4, 3, v4
	v_add_lshl_u32 v7, v4, v10, 2
	ds_bpermute_b32 v4, v7, v2
	ds_bpermute_b32 v5, v7, v3
	v_cmp_gt_u32_e64 s[0:1], 60, v11
	s_waitcnt lgkmcnt(0)
	v_add_f64 v[2:3], v[2:3], v[4:5]
	v_cndmask_b32_e64 v4, 0, 1, s[0:1]
	v_lshlrev_b32_e32 v4, 2, v4
	v_add_lshl_u32 v8, v4, v10, 2
	ds_bpermute_b32 v4, v8, v2
	ds_bpermute_b32 v5, v8, v3
	v_cmp_gt_u32_e64 s[0:1], 62, v11
	s_waitcnt lgkmcnt(0)
	v_add_f64 v[2:3], v[2:3], v[4:5]
	v_cndmask_b32_e64 v4, 0, 1, s[0:1]
	v_lshlrev_b32_e32 v4, 1, v4
	v_add_lshl_u32 v9, v4, v10, 2
	ds_bpermute_b32 v4, v9, v2
	ds_bpermute_b32 v5, v9, v3
	v_cmp_ne_u32_e64 s[0:1], 63, v11
	s_waitcnt lgkmcnt(0)
	v_add_f64 v[2:3], v[2:3], v[4:5]
	v_addc_co_u32_e64 v4, s[0:1], 0, v10, s[0:1]
	v_lshlrev_b32_e32 v10, 2, v4
	ds_bpermute_b32 v4, v10, v2
	ds_bpermute_b32 v5, v10, v3
	v_cmp_eq_u32_e64 s[0:1], 0, v6
	s_and_saveexec_b64 s[4:5], s[0:1]
	s_cbranch_execz .LBB591_8
; %bb.7:
	s_waitcnt lgkmcnt(0)
	v_add_f64 v[2:3], v[2:3], v[4:5]
	v_lshrrev_b32_e32 v4, 3, v0
	v_and_b32_e32 v4, 0x78, v4
	ds_write_b64 v4, v[2:3]
.LBB591_8:
	s_or_b64 exec, exec, s[4:5]
	v_cmp_gt_u32_e64 s[0:1], 16, v0
	v_pk_mov_b32 v[2:3], 0, 0
	s_waitcnt lgkmcnt(0)
	s_barrier
	s_and_saveexec_b64 s[4:5], s[0:1]
	s_cbranch_execnz .LBB591_12
; %bb.9:
	s_or_b64 exec, exec, s[4:5]
	s_and_saveexec_b64 s[0:1], vcc
	s_cbranch_execnz .LBB591_13
.LBB591_10:
	s_or_b64 exec, exec, s[0:1]
	v_cmp_eq_u32_e32 vcc, 0, v0
	s_and_saveexec_b64 s[0:1], vcc
	s_cbranch_execnz .LBB591_14
.LBB591_11:
	s_endpgm
.LBB591_12:
	ds_read_b64 v[2:3], v1
	s_or_b64 exec, exec, s[4:5]
	s_and_saveexec_b64 s[0:1], vcc
	s_cbranch_execz .LBB591_10
.LBB591_13:
	s_waitcnt lgkmcnt(0)
	ds_bpermute_b32 v4, v7, v2
	ds_bpermute_b32 v5, v7, v3
	s_waitcnt lgkmcnt(0)
	v_add_f64 v[2:3], v[2:3], v[4:5]
	ds_bpermute_b32 v4, v8, v2
	ds_bpermute_b32 v5, v8, v3
	s_waitcnt lgkmcnt(0)
	v_add_f64 v[2:3], v[2:3], v[4:5]
	;; [unrolled: 4-line block ×4, first 2 shown]
	s_or_b64 exec, exec, s[0:1]
	v_cmp_eq_u32_e32 vcc, 0, v0
	s_and_saveexec_b64 s[0:1], vcc
	s_cbranch_execz .LBB591_11
.LBB591_14:
	s_lshl_b64 s[0:1], s[2:3], 3
	s_add_u32 s0, s6, s0
	s_addc_u32 s1, s7, s1
	v_mov_b32_e32 v0, 0
	s_waitcnt lgkmcnt(0)
	global_store_dwordx2 v0, v[2:3], s[0:1]
	s_endpgm
	.section	.rodata,"a",@progbits
	.p2align	6, 0x0
	.amdhsa_kernel _ZL24rocblas_dot_kernel_magsqIlLb1ELi1024ELi32ELb1EdPKPKfdEviT5_lT_liPT6_PT4_
		.amdhsa_group_segment_fixed_size 512
		.amdhsa_private_segment_fixed_size 0
		.amdhsa_kernarg_size 320
		.amdhsa_user_sgpr_count 6
		.amdhsa_user_sgpr_private_segment_buffer 1
		.amdhsa_user_sgpr_dispatch_ptr 0
		.amdhsa_user_sgpr_queue_ptr 0
		.amdhsa_user_sgpr_kernarg_segment_ptr 1
		.amdhsa_user_sgpr_dispatch_id 0
		.amdhsa_user_sgpr_flat_scratch_init 0
		.amdhsa_user_sgpr_kernarg_preload_length 0
		.amdhsa_user_sgpr_kernarg_preload_offset 0
		.amdhsa_user_sgpr_private_segment_size 0
		.amdhsa_uses_dynamic_stack 0
		.amdhsa_system_sgpr_private_segment_wavefront_offset 0
		.amdhsa_system_sgpr_workgroup_id_x 1
		.amdhsa_system_sgpr_workgroup_id_y 0
		.amdhsa_system_sgpr_workgroup_id_z 1
		.amdhsa_system_sgpr_workgroup_info 0
		.amdhsa_system_vgpr_workitem_id 0
		.amdhsa_next_free_vgpr 12
		.amdhsa_next_free_sgpr 20
		.amdhsa_accum_offset 12
		.amdhsa_reserve_vcc 1
		.amdhsa_reserve_flat_scratch 0
		.amdhsa_float_round_mode_32 0
		.amdhsa_float_round_mode_16_64 0
		.amdhsa_float_denorm_mode_32 3
		.amdhsa_float_denorm_mode_16_64 3
		.amdhsa_dx10_clamp 1
		.amdhsa_ieee_mode 1
		.amdhsa_fp16_overflow 0
		.amdhsa_tg_split 0
		.amdhsa_exception_fp_ieee_invalid_op 0
		.amdhsa_exception_fp_denorm_src 0
		.amdhsa_exception_fp_ieee_div_zero 0
		.amdhsa_exception_fp_ieee_overflow 0
		.amdhsa_exception_fp_ieee_underflow 0
		.amdhsa_exception_fp_ieee_inexact 0
		.amdhsa_exception_int_div_zero 0
	.end_amdhsa_kernel
	.section	.text._ZL24rocblas_dot_kernel_magsqIlLb1ELi1024ELi32ELb1EdPKPKfdEviT5_lT_liPT6_PT4_,"axG",@progbits,_ZL24rocblas_dot_kernel_magsqIlLb1ELi1024ELi32ELb1EdPKPKfdEviT5_lT_liPT6_PT4_,comdat
.Lfunc_end591:
	.size	_ZL24rocblas_dot_kernel_magsqIlLb1ELi1024ELi32ELb1EdPKPKfdEviT5_lT_liPT6_PT4_, .Lfunc_end591-_ZL24rocblas_dot_kernel_magsqIlLb1ELi1024ELi32ELb1EdPKPKfdEviT5_lT_liPT6_PT4_
                                        ; -- End function
	.section	.AMDGPU.csdata,"",@progbits
; Kernel info:
; codeLenInByte = 984
; NumSgprs: 24
; NumVgprs: 12
; NumAgprs: 0
; TotalNumVgprs: 12
; ScratchSize: 0
; MemoryBound: 0
; FloatMode: 240
; IeeeMode: 1
; LDSByteSize: 512 bytes/workgroup (compile time only)
; SGPRBlocks: 2
; VGPRBlocks: 1
; NumSGPRsForWavesPerEU: 24
; NumVGPRsForWavesPerEU: 12
; AccumOffset: 12
; Occupancy: 8
; WaveLimiterHint : 0
; COMPUTE_PGM_RSRC2:SCRATCH_EN: 0
; COMPUTE_PGM_RSRC2:USER_SGPR: 6
; COMPUTE_PGM_RSRC2:TRAP_HANDLER: 0
; COMPUTE_PGM_RSRC2:TGID_X_EN: 1
; COMPUTE_PGM_RSRC2:TGID_Y_EN: 0
; COMPUTE_PGM_RSRC2:TGID_Z_EN: 1
; COMPUTE_PGM_RSRC2:TIDIG_COMP_CNT: 0
; COMPUTE_PGM_RSRC3_GFX90A:ACCUM_OFFSET: 2
; COMPUTE_PGM_RSRC3_GFX90A:TG_SPLIT: 0
	.section	.text._ZL18rocblas_dot_kernelIlLb0ELi512ELi2ELb1EdPKPKfdEviT5_lT_lS4_lS5_liPT6_PT4_,"axG",@progbits,_ZL18rocblas_dot_kernelIlLb0ELi512ELi2ELb1EdPKPKfdEviT5_lT_lS4_lS5_liPT6_PT4_,comdat
	.globl	_ZL18rocblas_dot_kernelIlLb0ELi512ELi2ELb1EdPKPKfdEviT5_lT_lS4_lS5_liPT6_PT4_ ; -- Begin function _ZL18rocblas_dot_kernelIlLb0ELi512ELi2ELb1EdPKPKfdEviT5_lT_lS4_lS5_liPT6_PT4_
	.p2align	8
	.type	_ZL18rocblas_dot_kernelIlLb0ELi512ELi2ELb1EdPKPKfdEviT5_lT_lS4_lS5_liPT6_PT4_,@function
_ZL18rocblas_dot_kernelIlLb0ELi512ELi2ELb1EdPKPKfdEviT5_lT_lS4_lS5_liPT6_PT4_: ; @_ZL18rocblas_dot_kernelIlLb0ELi512ELi2ELb1EdPKPKfdEviT5_lT_lS4_lS5_liPT6_PT4_
; %bb.0:
	s_mov_b32 s12, s7
	s_load_dword s7, s[4:5], 0x0
	s_load_dword s16, s[4:5], 0x60
	v_lshl_or_b32 v1, s6, 9, v0
	s_mov_b32 s13, 0
	v_pk_mov_b32 v[2:3], 0, 0
	s_waitcnt lgkmcnt(0)
	v_cmp_gt_i32_e32 vcc, s7, v1
	s_and_saveexec_b64 s[14:15], vcc
	s_cbranch_execz .LBB592_4
; %bb.1:
	s_load_dwordx2 s[18:19], s[4:5], 0x8
	s_load_dwordx4 s[0:3], s[4:5], 0x10
	s_load_dwordx2 s[20:21], s[4:5], 0x28
	s_load_dwordx4 s[8:11], s[4:5], 0x30
	s_lshl_b64 s[22:23], s[12:13], 3
	s_waitcnt lgkmcnt(0)
	s_add_u32 s18, s18, s22
	s_addc_u32 s19, s19, s23
	s_load_dwordx2 s[18:19], s[18:19], 0x0
	s_lshl_b64 s[0:1], s[0:1], 2
	v_ashrrev_i32_e32 v4, 31, v1
	v_mul_lo_u32 v5, v1, s11
	v_mul_lo_u32 v6, v4, s10
	s_waitcnt lgkmcnt(0)
	s_add_u32 s17, s18, s0
	s_addc_u32 s18, s19, s1
	s_add_u32 s0, s20, s22
	s_addc_u32 s1, s21, s23
	s_load_dwordx2 s[0:1], s[0:1], 0x0
	v_mad_u64_u32 v[2:3], s[20:21], v1, s10, 0
	s_lshl_b64 s[8:9], s[8:9], 2
	v_add3_u32 v3, v3, v5, v6
	s_waitcnt lgkmcnt(0)
	s_add_u32 s8, s0, s8
	s_addc_u32 s9, s1, s9
	v_lshlrev_b64 v[2:3], 2, v[2:3]
	v_mov_b32_e32 v5, s9
	v_add_co_u32_e32 v2, vcc, s8, v2
	v_addc_co_u32_e32 v3, vcc, v5, v3, vcc
	v_mul_lo_u32 v6, v1, s3
	v_mul_lo_u32 v7, v4, s2
	v_mad_u64_u32 v[4:5], s[0:1], v1, s2, 0
	v_add3_u32 v5, v5, v6, v7
	v_lshlrev_b64 v[4:5], 2, v[4:5]
	v_mov_b32_e32 v1, s18
	v_add_co_u32_e32 v4, vcc, s17, v4
	v_addc_co_u32_e32 v5, vcc, v1, v5, vcc
	global_load_dword v6, v[4:5], off
	global_load_dword v7, v[2:3], off
	s_add_i32 s0, s6, s16
	v_lshl_or_b32 v1, s0, 9, v0
	v_cmp_gt_i32_e32 vcc, s7, v1
	s_waitcnt vmcnt(1)
	v_cvt_f64_f32_e32 v[2:3], v6
	s_waitcnt vmcnt(0)
	v_cvt_f64_f32_e32 v[4:5], v7
	v_fma_f64 v[2:3], v[4:5], v[2:3], 0
	s_and_saveexec_b64 s[0:1], vcc
	s_cbranch_execz .LBB592_3
; %bb.2:
	v_ashrrev_i32_e32 v6, 31, v1
	v_mul_lo_u32 v7, v1, s11
	v_mul_lo_u32 v8, v6, s10
	v_mad_u64_u32 v[4:5], s[10:11], v1, s10, 0
	v_add3_u32 v5, v5, v7, v8
	v_lshlrev_b64 v[4:5], 2, v[4:5]
	v_mov_b32_e32 v7, s9
	v_add_co_u32_e32 v4, vcc, s8, v4
	v_addc_co_u32_e32 v5, vcc, v7, v5, vcc
	global_load_dword v7, v[4:5], off
	v_mul_lo_u32 v8, v1, s3
	v_mul_lo_u32 v6, v6, s2
	v_mad_u64_u32 v[4:5], s[2:3], v1, s2, 0
	v_add3_u32 v5, v5, v8, v6
	v_lshlrev_b64 v[4:5], 2, v[4:5]
	v_mov_b32_e32 v1, s18
	v_add_co_u32_e32 v4, vcc, s17, v4
	v_addc_co_u32_e32 v5, vcc, v1, v5, vcc
	global_load_dword v1, v[4:5], off
	s_waitcnt vmcnt(1)
	v_cvt_f64_f32_e32 v[4:5], v7
	s_waitcnt vmcnt(0)
	v_cvt_f64_f32_e32 v[6:7], v1
	v_fmac_f64_e32 v[2:3], v[4:5], v[6:7]
.LBB592_3:
	s_or_b64 exec, exec, s[0:1]
.LBB592_4:
	s_or_b64 exec, exec, s[14:15]
	v_and_b32_e32 v6, 63, v0
	v_cmp_gt_u32_e32 vcc, 64, v0
	v_lshlrev_b32_e32 v1, 3, v6
	s_and_saveexec_b64 s[0:1], vcc
	s_cbranch_execz .LBB592_6
; %bb.5:
	v_mov_b32_e32 v4, 0
	v_mov_b32_e32 v5, v4
	ds_write_b64 v1, v[4:5]
.LBB592_6:
	s_or_b64 exec, exec, s[0:1]
	v_mbcnt_lo_u32_b32 v4, -1, 0
	v_mbcnt_hi_u32_b32 v9, -1, v4
	v_and_b32_e32 v10, 63, v9
	v_cmp_gt_u32_e64 s[0:1], 32, v10
	v_cndmask_b32_e64 v4, 0, 1, s[0:1]
	v_lshlrev_b32_e32 v4, 5, v4
	v_add_lshl_u32 v5, v4, v9, 2
	ds_bpermute_b32 v4, v5, v2
	ds_bpermute_b32 v5, v5, v3
	v_cmp_gt_u32_e64 s[0:1], 48, v10
	v_cndmask_b32_e64 v7, 0, 1, s[0:1]
	v_cmp_gt_u32_e64 s[0:1], 56, v10
	s_waitcnt lgkmcnt(0)
	v_add_f64 v[2:3], v[2:3], v[4:5]
	v_lshlrev_b32_e32 v4, 4, v7
	v_add_lshl_u32 v5, v4, v9, 2
	ds_bpermute_b32 v4, v5, v2
	ds_bpermute_b32 v5, v5, v3
	s_barrier
	s_waitcnt lgkmcnt(0)
	v_add_f64 v[2:3], v[2:3], v[4:5]
	v_cndmask_b32_e64 v4, 0, 1, s[0:1]
	v_lshlrev_b32_e32 v4, 3, v4
	v_add_lshl_u32 v5, v4, v9, 2
	ds_bpermute_b32 v4, v5, v2
	ds_bpermute_b32 v5, v5, v3
	v_cmp_gt_u32_e64 s[0:1], 60, v10
	s_waitcnt lgkmcnt(0)
	v_add_f64 v[2:3], v[2:3], v[4:5]
	v_cndmask_b32_e64 v4, 0, 1, s[0:1]
	v_lshlrev_b32_e32 v4, 2, v4
	v_add_lshl_u32 v7, v4, v9, 2
	ds_bpermute_b32 v4, v7, v2
	ds_bpermute_b32 v5, v7, v3
	v_cmp_gt_u32_e64 s[0:1], 62, v10
	s_waitcnt lgkmcnt(0)
	v_add_f64 v[2:3], v[2:3], v[4:5]
	v_cndmask_b32_e64 v4, 0, 1, s[0:1]
	v_lshlrev_b32_e32 v4, 1, v4
	v_add_lshl_u32 v8, v4, v9, 2
	ds_bpermute_b32 v4, v8, v2
	ds_bpermute_b32 v5, v8, v3
	v_cmp_ne_u32_e64 s[0:1], 63, v10
	s_waitcnt lgkmcnt(0)
	v_add_f64 v[2:3], v[2:3], v[4:5]
	v_addc_co_u32_e64 v4, s[0:1], 0, v9, s[0:1]
	v_lshlrev_b32_e32 v9, 2, v4
	ds_bpermute_b32 v4, v9, v2
	ds_bpermute_b32 v5, v9, v3
	v_cmp_eq_u32_e64 s[0:1], 0, v6
	s_and_saveexec_b64 s[2:3], s[0:1]
	s_cbranch_execz .LBB592_8
; %bb.7:
	s_waitcnt lgkmcnt(0)
	v_add_f64 v[2:3], v[2:3], v[4:5]
	v_lshrrev_b32_e32 v4, 3, v0
	v_and_b32_e32 v4, 56, v4
	ds_write_b64 v4, v[2:3]
.LBB592_8:
	s_or_b64 exec, exec, s[2:3]
	v_cmp_gt_u32_e64 s[0:1], 8, v0
	v_pk_mov_b32 v[2:3], 0, 0
	s_waitcnt lgkmcnt(0)
	s_barrier
	s_and_saveexec_b64 s[2:3], s[0:1]
	s_cbranch_execnz .LBB592_12
; %bb.9:
	s_or_b64 exec, exec, s[2:3]
	s_and_saveexec_b64 s[0:1], vcc
	s_cbranch_execnz .LBB592_13
.LBB592_10:
	s_or_b64 exec, exec, s[0:1]
	v_cmp_eq_u32_e32 vcc, 0, v0
	s_and_saveexec_b64 s[0:1], vcc
	s_cbranch_execnz .LBB592_14
.LBB592_11:
	s_endpgm
.LBB592_12:
	ds_read_b64 v[2:3], v1
	s_or_b64 exec, exec, s[2:3]
	s_and_saveexec_b64 s[0:1], vcc
	s_cbranch_execz .LBB592_10
.LBB592_13:
	s_waitcnt lgkmcnt(0)
	ds_bpermute_b32 v4, v7, v2
	ds_bpermute_b32 v5, v7, v3
	s_waitcnt lgkmcnt(0)
	v_add_f64 v[2:3], v[2:3], v[4:5]
	ds_bpermute_b32 v4, v8, v2
	ds_bpermute_b32 v5, v8, v3
	s_waitcnt lgkmcnt(0)
	v_add_f64 v[2:3], v[2:3], v[4:5]
	;; [unrolled: 4-line block ×3, first 2 shown]
	s_or_b64 exec, exec, s[0:1]
	v_cmp_eq_u32_e32 vcc, 0, v0
	s_and_saveexec_b64 s[0:1], vcc
	s_cbranch_execz .LBB592_11
.LBB592_14:
	s_cmp_lg_u32 s16, 1
	s_cbranch_scc0 .LBB592_16
; %bb.15:
	s_load_dwordx2 s[0:1], s[4:5], 0x50
	s_mul_hi_u32 s3, s16, s12
	s_mul_i32 s2, s16, s12
	s_lshl_b64 s[2:3], s[2:3], 3
	s_mov_b32 s7, 0
	s_waitcnt lgkmcnt(0)
	s_add_u32 s2, s0, s2
	s_addc_u32 s3, s1, s3
	s_lshl_b64 s[0:1], s[6:7], 3
	s_add_u32 s0, s2, s0
	s_addc_u32 s1, s3, s1
	s_cbranch_execz .LBB592_17
	s_branch .LBB592_18
.LBB592_16:
                                        ; implicit-def: $sgpr0_sgpr1
.LBB592_17:
	s_load_dwordx2 s[0:1], s[4:5], 0x58
	s_lshl_b64 s[2:3], s[12:13], 3
	s_waitcnt lgkmcnt(0)
	s_add_u32 s0, s0, s2
	s_addc_u32 s1, s1, s3
.LBB592_18:
	v_mov_b32_e32 v0, 0
	s_waitcnt lgkmcnt(0)
	global_store_dwordx2 v0, v[2:3], s[0:1]
	s_endpgm
	.section	.rodata,"a",@progbits
	.p2align	6, 0x0
	.amdhsa_kernel _ZL18rocblas_dot_kernelIlLb0ELi512ELi2ELb1EdPKPKfdEviT5_lT_lS4_lS5_liPT6_PT4_
		.amdhsa_group_segment_fixed_size 512
		.amdhsa_private_segment_fixed_size 0
		.amdhsa_kernarg_size 352
		.amdhsa_user_sgpr_count 6
		.amdhsa_user_sgpr_private_segment_buffer 1
		.amdhsa_user_sgpr_dispatch_ptr 0
		.amdhsa_user_sgpr_queue_ptr 0
		.amdhsa_user_sgpr_kernarg_segment_ptr 1
		.amdhsa_user_sgpr_dispatch_id 0
		.amdhsa_user_sgpr_flat_scratch_init 0
		.amdhsa_user_sgpr_kernarg_preload_length 0
		.amdhsa_user_sgpr_kernarg_preload_offset 0
		.amdhsa_user_sgpr_private_segment_size 0
		.amdhsa_uses_dynamic_stack 0
		.amdhsa_system_sgpr_private_segment_wavefront_offset 0
		.amdhsa_system_sgpr_workgroup_id_x 1
		.amdhsa_system_sgpr_workgroup_id_y 0
		.amdhsa_system_sgpr_workgroup_id_z 1
		.amdhsa_system_sgpr_workgroup_info 0
		.amdhsa_system_vgpr_workitem_id 0
		.amdhsa_next_free_vgpr 11
		.amdhsa_next_free_sgpr 24
		.amdhsa_accum_offset 12
		.amdhsa_reserve_vcc 1
		.amdhsa_reserve_flat_scratch 0
		.amdhsa_float_round_mode_32 0
		.amdhsa_float_round_mode_16_64 0
		.amdhsa_float_denorm_mode_32 3
		.amdhsa_float_denorm_mode_16_64 3
		.amdhsa_dx10_clamp 1
		.amdhsa_ieee_mode 1
		.amdhsa_fp16_overflow 0
		.amdhsa_tg_split 0
		.amdhsa_exception_fp_ieee_invalid_op 0
		.amdhsa_exception_fp_denorm_src 0
		.amdhsa_exception_fp_ieee_div_zero 0
		.amdhsa_exception_fp_ieee_overflow 0
		.amdhsa_exception_fp_ieee_underflow 0
		.amdhsa_exception_fp_ieee_inexact 0
		.amdhsa_exception_int_div_zero 0
	.end_amdhsa_kernel
	.section	.text._ZL18rocblas_dot_kernelIlLb0ELi512ELi2ELb1EdPKPKfdEviT5_lT_lS4_lS5_liPT6_PT4_,"axG",@progbits,_ZL18rocblas_dot_kernelIlLb0ELi512ELi2ELb1EdPKPKfdEviT5_lT_lS4_lS5_liPT6_PT4_,comdat
.Lfunc_end592:
	.size	_ZL18rocblas_dot_kernelIlLb0ELi512ELi2ELb1EdPKPKfdEviT5_lT_lS4_lS5_liPT6_PT4_, .Lfunc_end592-_ZL18rocblas_dot_kernelIlLb0ELi512ELi2ELb1EdPKPKfdEviT5_lT_lS4_lS5_liPT6_PT4_
                                        ; -- End function
	.section	.AMDGPU.csdata,"",@progbits
; Kernel info:
; codeLenInByte = 1208
; NumSgprs: 28
; NumVgprs: 11
; NumAgprs: 0
; TotalNumVgprs: 11
; ScratchSize: 0
; MemoryBound: 0
; FloatMode: 240
; IeeeMode: 1
; LDSByteSize: 512 bytes/workgroup (compile time only)
; SGPRBlocks: 3
; VGPRBlocks: 1
; NumSGPRsForWavesPerEU: 28
; NumVGPRsForWavesPerEU: 11
; AccumOffset: 12
; Occupancy: 8
; WaveLimiterHint : 1
; COMPUTE_PGM_RSRC2:SCRATCH_EN: 0
; COMPUTE_PGM_RSRC2:USER_SGPR: 6
; COMPUTE_PGM_RSRC2:TRAP_HANDLER: 0
; COMPUTE_PGM_RSRC2:TGID_X_EN: 1
; COMPUTE_PGM_RSRC2:TGID_Y_EN: 0
; COMPUTE_PGM_RSRC2:TGID_Z_EN: 1
; COMPUTE_PGM_RSRC2:TIDIG_COMP_CNT: 0
; COMPUTE_PGM_RSRC3_GFX90A:ACCUM_OFFSET: 2
; COMPUTE_PGM_RSRC3_GFX90A:TG_SPLIT: 0
	.section	.text._ZL24rocblas_dot_kernel_magsqIlLb0ELi512ELi2ELb1EdPKPKfdEviT5_lT_liPT6_PT4_,"axG",@progbits,_ZL24rocblas_dot_kernel_magsqIlLb0ELi512ELi2ELb1EdPKPKfdEviT5_lT_liPT6_PT4_,comdat
	.globl	_ZL24rocblas_dot_kernel_magsqIlLb0ELi512ELi2ELb1EdPKPKfdEviT5_lT_liPT6_PT4_ ; -- Begin function _ZL24rocblas_dot_kernel_magsqIlLb0ELi512ELi2ELb1EdPKPKfdEviT5_lT_liPT6_PT4_
	.p2align	8
	.type	_ZL24rocblas_dot_kernel_magsqIlLb0ELi512ELi2ELb1EdPKPKfdEviT5_lT_liPT6_PT4_,@function
_ZL24rocblas_dot_kernel_magsqIlLb0ELi512ELi2ELb1EdPKPKfdEviT5_lT_liPT6_PT4_: ; @_ZL24rocblas_dot_kernel_magsqIlLb0ELi512ELi2ELb1EdPKPKfdEviT5_lT_liPT6_PT4_
; %bb.0:
	s_mov_b32 s8, s7
	s_load_dword s7, s[4:5], 0x0
	s_load_dword s12, s[4:5], 0x40
	v_lshl_or_b32 v1, s6, 9, v0
	s_mov_b32 s9, 0
	v_pk_mov_b32 v[2:3], 0, 0
	s_waitcnt lgkmcnt(0)
	v_cmp_gt_i32_e32 vcc, s7, v1
	s_and_saveexec_b64 s[10:11], vcc
	s_cbranch_execz .LBB593_4
; %bb.1:
	s_load_dwordx2 s[14:15], s[4:5], 0x8
	s_load_dwordx4 s[0:3], s[4:5], 0x10
	s_lshl_b64 s[16:17], s[8:9], 3
	v_ashrrev_i32_e32 v2, 31, v1
	s_waitcnt lgkmcnt(0)
	s_add_u32 s14, s14, s16
	s_addc_u32 s15, s15, s17
	s_load_dwordx2 s[14:15], s[14:15], 0x0
	v_mul_lo_u32 v4, v1, s3
	v_mul_lo_u32 v5, v2, s2
	v_mad_u64_u32 v[2:3], s[16:17], v1, s2, 0
	s_lshl_b64 s[0:1], s[0:1], 2
	s_waitcnt lgkmcnt(0)
	s_add_u32 s13, s14, s0
	v_add3_u32 v3, v3, v4, v5
	s_addc_u32 s14, s15, s1
	v_lshlrev_b64 v[2:3], 2, v[2:3]
	v_mov_b32_e32 v1, s14
	v_add_co_u32_e32 v2, vcc, s13, v2
	v_addc_co_u32_e32 v3, vcc, v1, v3, vcc
	global_load_dword v2, v[2:3], off
	s_add_i32 s0, s6, s12
	v_lshl_or_b32 v1, s0, 9, v0
	v_cmp_gt_i32_e32 vcc, s7, v1
	s_waitcnt vmcnt(0)
	v_cvt_f64_f32_e32 v[2:3], v2
	v_mul_f64 v[2:3], v[2:3], v[2:3]
	s_and_saveexec_b64 s[0:1], vcc
	s_cbranch_execz .LBB593_3
; %bb.2:
	v_ashrrev_i32_e32 v4, 31, v1
	v_mul_lo_u32 v6, v1, s3
	v_mul_lo_u32 v7, v4, s2
	v_mad_u64_u32 v[4:5], s[2:3], v1, s2, 0
	v_add3_u32 v5, v5, v6, v7
	v_lshlrev_b64 v[4:5], 2, v[4:5]
	v_mov_b32_e32 v1, s14
	v_add_co_u32_e32 v4, vcc, s13, v4
	v_addc_co_u32_e32 v5, vcc, v1, v5, vcc
	global_load_dword v1, v[4:5], off
	s_waitcnt vmcnt(0)
	v_cvt_f64_f32_e32 v[4:5], v1
	v_fmac_f64_e32 v[2:3], v[4:5], v[4:5]
.LBB593_3:
	s_or_b64 exec, exec, s[0:1]
.LBB593_4:
	s_or_b64 exec, exec, s[10:11]
	v_and_b32_e32 v6, 63, v0
	v_cmp_gt_u32_e32 vcc, 64, v0
	v_lshlrev_b32_e32 v1, 3, v6
	s_and_saveexec_b64 s[0:1], vcc
	s_cbranch_execz .LBB593_6
; %bb.5:
	v_mov_b32_e32 v4, 0
	v_mov_b32_e32 v5, v4
	ds_write_b64 v1, v[4:5]
.LBB593_6:
	s_or_b64 exec, exec, s[0:1]
	v_mbcnt_lo_u32_b32 v4, -1, 0
	v_mbcnt_hi_u32_b32 v9, -1, v4
	v_and_b32_e32 v10, 63, v9
	v_cmp_gt_u32_e64 s[0:1], 32, v10
	v_cndmask_b32_e64 v4, 0, 1, s[0:1]
	v_lshlrev_b32_e32 v4, 5, v4
	v_add_lshl_u32 v5, v4, v9, 2
	ds_bpermute_b32 v4, v5, v2
	ds_bpermute_b32 v5, v5, v3
	v_cmp_gt_u32_e64 s[0:1], 48, v10
	v_cndmask_b32_e64 v7, 0, 1, s[0:1]
	v_cmp_gt_u32_e64 s[0:1], 56, v10
	s_waitcnt lgkmcnt(0)
	v_add_f64 v[2:3], v[2:3], v[4:5]
	v_lshlrev_b32_e32 v4, 4, v7
	v_add_lshl_u32 v5, v4, v9, 2
	ds_bpermute_b32 v4, v5, v2
	ds_bpermute_b32 v5, v5, v3
	s_barrier
	s_waitcnt lgkmcnt(0)
	v_add_f64 v[2:3], v[2:3], v[4:5]
	v_cndmask_b32_e64 v4, 0, 1, s[0:1]
	v_lshlrev_b32_e32 v4, 3, v4
	v_add_lshl_u32 v5, v4, v9, 2
	ds_bpermute_b32 v4, v5, v2
	ds_bpermute_b32 v5, v5, v3
	v_cmp_gt_u32_e64 s[0:1], 60, v10
	s_waitcnt lgkmcnt(0)
	v_add_f64 v[2:3], v[2:3], v[4:5]
	v_cndmask_b32_e64 v4, 0, 1, s[0:1]
	v_lshlrev_b32_e32 v4, 2, v4
	v_add_lshl_u32 v7, v4, v9, 2
	ds_bpermute_b32 v4, v7, v2
	ds_bpermute_b32 v5, v7, v3
	v_cmp_gt_u32_e64 s[0:1], 62, v10
	s_waitcnt lgkmcnt(0)
	v_add_f64 v[2:3], v[2:3], v[4:5]
	v_cndmask_b32_e64 v4, 0, 1, s[0:1]
	v_lshlrev_b32_e32 v4, 1, v4
	v_add_lshl_u32 v8, v4, v9, 2
	ds_bpermute_b32 v4, v8, v2
	ds_bpermute_b32 v5, v8, v3
	v_cmp_ne_u32_e64 s[0:1], 63, v10
	s_waitcnt lgkmcnt(0)
	v_add_f64 v[2:3], v[2:3], v[4:5]
	v_addc_co_u32_e64 v4, s[0:1], 0, v9, s[0:1]
	v_lshlrev_b32_e32 v9, 2, v4
	ds_bpermute_b32 v4, v9, v2
	ds_bpermute_b32 v5, v9, v3
	v_cmp_eq_u32_e64 s[0:1], 0, v6
	s_and_saveexec_b64 s[2:3], s[0:1]
	s_cbranch_execz .LBB593_8
; %bb.7:
	s_waitcnt lgkmcnt(0)
	v_add_f64 v[2:3], v[2:3], v[4:5]
	v_lshrrev_b32_e32 v4, 3, v0
	v_and_b32_e32 v4, 56, v4
	ds_write_b64 v4, v[2:3]
.LBB593_8:
	s_or_b64 exec, exec, s[2:3]
	v_cmp_gt_u32_e64 s[0:1], 8, v0
	v_pk_mov_b32 v[2:3], 0, 0
	s_waitcnt lgkmcnt(0)
	s_barrier
	s_and_saveexec_b64 s[2:3], s[0:1]
	s_cbranch_execnz .LBB593_12
; %bb.9:
	s_or_b64 exec, exec, s[2:3]
	s_and_saveexec_b64 s[0:1], vcc
	s_cbranch_execnz .LBB593_13
.LBB593_10:
	s_or_b64 exec, exec, s[0:1]
	v_cmp_eq_u32_e32 vcc, 0, v0
	s_and_saveexec_b64 s[0:1], vcc
	s_cbranch_execnz .LBB593_14
.LBB593_11:
	s_endpgm
.LBB593_12:
	ds_read_b64 v[2:3], v1
	s_or_b64 exec, exec, s[2:3]
	s_and_saveexec_b64 s[0:1], vcc
	s_cbranch_execz .LBB593_10
.LBB593_13:
	s_waitcnt lgkmcnt(0)
	ds_bpermute_b32 v4, v7, v2
	ds_bpermute_b32 v5, v7, v3
	s_waitcnt lgkmcnt(0)
	v_add_f64 v[2:3], v[2:3], v[4:5]
	ds_bpermute_b32 v4, v8, v2
	ds_bpermute_b32 v5, v8, v3
	s_waitcnt lgkmcnt(0)
	v_add_f64 v[2:3], v[2:3], v[4:5]
	;; [unrolled: 4-line block ×3, first 2 shown]
	s_or_b64 exec, exec, s[0:1]
	v_cmp_eq_u32_e32 vcc, 0, v0
	s_and_saveexec_b64 s[0:1], vcc
	s_cbranch_execz .LBB593_11
.LBB593_14:
	s_cmp_lg_u32 s12, 1
	s_cbranch_scc0 .LBB593_16
; %bb.15:
	s_load_dwordx2 s[0:1], s[4:5], 0x30
	s_mul_hi_u32 s3, s12, s8
	s_mul_i32 s2, s12, s8
	s_lshl_b64 s[2:3], s[2:3], 3
	s_mov_b32 s7, 0
	s_waitcnt lgkmcnt(0)
	s_add_u32 s2, s0, s2
	s_addc_u32 s3, s1, s3
	s_lshl_b64 s[0:1], s[6:7], 3
	s_add_u32 s0, s2, s0
	s_addc_u32 s1, s3, s1
	s_cbranch_execz .LBB593_17
	s_branch .LBB593_18
.LBB593_16:
                                        ; implicit-def: $sgpr0_sgpr1
.LBB593_17:
	s_load_dwordx2 s[0:1], s[4:5], 0x38
	s_lshl_b64 s[2:3], s[8:9], 3
	s_waitcnt lgkmcnt(0)
	s_add_u32 s0, s0, s2
	s_addc_u32 s1, s1, s3
.LBB593_18:
	v_mov_b32_e32 v0, 0
	s_waitcnt lgkmcnt(0)
	global_store_dwordx2 v0, v[2:3], s[0:1]
	s_endpgm
	.section	.rodata,"a",@progbits
	.p2align	6, 0x0
	.amdhsa_kernel _ZL24rocblas_dot_kernel_magsqIlLb0ELi512ELi2ELb1EdPKPKfdEviT5_lT_liPT6_PT4_
		.amdhsa_group_segment_fixed_size 512
		.amdhsa_private_segment_fixed_size 0
		.amdhsa_kernarg_size 320
		.amdhsa_user_sgpr_count 6
		.amdhsa_user_sgpr_private_segment_buffer 1
		.amdhsa_user_sgpr_dispatch_ptr 0
		.amdhsa_user_sgpr_queue_ptr 0
		.amdhsa_user_sgpr_kernarg_segment_ptr 1
		.amdhsa_user_sgpr_dispatch_id 0
		.amdhsa_user_sgpr_flat_scratch_init 0
		.amdhsa_user_sgpr_kernarg_preload_length 0
		.amdhsa_user_sgpr_kernarg_preload_offset 0
		.amdhsa_user_sgpr_private_segment_size 0
		.amdhsa_uses_dynamic_stack 0
		.amdhsa_system_sgpr_private_segment_wavefront_offset 0
		.amdhsa_system_sgpr_workgroup_id_x 1
		.amdhsa_system_sgpr_workgroup_id_y 0
		.amdhsa_system_sgpr_workgroup_id_z 1
		.amdhsa_system_sgpr_workgroup_info 0
		.amdhsa_system_vgpr_workitem_id 0
		.amdhsa_next_free_vgpr 11
		.amdhsa_next_free_sgpr 18
		.amdhsa_accum_offset 12
		.amdhsa_reserve_vcc 1
		.amdhsa_reserve_flat_scratch 0
		.amdhsa_float_round_mode_32 0
		.amdhsa_float_round_mode_16_64 0
		.amdhsa_float_denorm_mode_32 3
		.amdhsa_float_denorm_mode_16_64 3
		.amdhsa_dx10_clamp 1
		.amdhsa_ieee_mode 1
		.amdhsa_fp16_overflow 0
		.amdhsa_tg_split 0
		.amdhsa_exception_fp_ieee_invalid_op 0
		.amdhsa_exception_fp_denorm_src 0
		.amdhsa_exception_fp_ieee_div_zero 0
		.amdhsa_exception_fp_ieee_overflow 0
		.amdhsa_exception_fp_ieee_underflow 0
		.amdhsa_exception_fp_ieee_inexact 0
		.amdhsa_exception_int_div_zero 0
	.end_amdhsa_kernel
	.section	.text._ZL24rocblas_dot_kernel_magsqIlLb0ELi512ELi2ELb1EdPKPKfdEviT5_lT_liPT6_PT4_,"axG",@progbits,_ZL24rocblas_dot_kernel_magsqIlLb0ELi512ELi2ELb1EdPKPKfdEviT5_lT_liPT6_PT4_,comdat
.Lfunc_end593:
	.size	_ZL24rocblas_dot_kernel_magsqIlLb0ELi512ELi2ELb1EdPKPKfdEviT5_lT_liPT6_PT4_, .Lfunc_end593-_ZL24rocblas_dot_kernel_magsqIlLb0ELi512ELi2ELb1EdPKPKfdEviT5_lT_liPT6_PT4_
                                        ; -- End function
	.section	.AMDGPU.csdata,"",@progbits
; Kernel info:
; codeLenInByte = 1024
; NumSgprs: 22
; NumVgprs: 11
; NumAgprs: 0
; TotalNumVgprs: 11
; ScratchSize: 0
; MemoryBound: 0
; FloatMode: 240
; IeeeMode: 1
; LDSByteSize: 512 bytes/workgroup (compile time only)
; SGPRBlocks: 2
; VGPRBlocks: 1
; NumSGPRsForWavesPerEU: 22
; NumVGPRsForWavesPerEU: 11
; AccumOffset: 12
; Occupancy: 8
; WaveLimiterHint : 1
; COMPUTE_PGM_RSRC2:SCRATCH_EN: 0
; COMPUTE_PGM_RSRC2:USER_SGPR: 6
; COMPUTE_PGM_RSRC2:TRAP_HANDLER: 0
; COMPUTE_PGM_RSRC2:TGID_X_EN: 1
; COMPUTE_PGM_RSRC2:TGID_Y_EN: 0
; COMPUTE_PGM_RSRC2:TGID_Z_EN: 1
; COMPUTE_PGM_RSRC2:TIDIG_COMP_CNT: 0
; COMPUTE_PGM_RSRC3_GFX90A:ACCUM_OFFSET: 2
; COMPUTE_PGM_RSRC3_GFX90A:TG_SPLIT: 0
	.section	.text._ZL28rocblas_dot_batched_4_kernelIiLi32ELi4ELb1EffPKfEviT5_lT_lS2_lS3_liPT4_,"axG",@progbits,_ZL28rocblas_dot_batched_4_kernelIiLi32ELi4ELb1EffPKfEviT5_lT_lS2_lS3_liPT4_,comdat
	.globl	_ZL28rocblas_dot_batched_4_kernelIiLi32ELi4ELb1EffPKfEviT5_lT_lS2_lS3_liPT4_ ; -- Begin function _ZL28rocblas_dot_batched_4_kernelIiLi32ELi4ELb1EffPKfEviT5_lT_lS2_lS3_liPT4_
	.p2align	8
	.type	_ZL28rocblas_dot_batched_4_kernelIiLi32ELi4ELb1EffPKfEviT5_lT_lS2_lS3_liPT4_,@function
_ZL28rocblas_dot_batched_4_kernelIiLi32ELi4ELb1EffPKfEviT5_lT_lS2_lS3_liPT4_: ; @_ZL28rocblas_dot_batched_4_kernelIiLi32ELi4ELb1EffPKfEviT5_lT_lS2_lS3_liPT4_
; %bb.0:
	s_load_dword s0, s[4:5], 0x48
	v_bfe_u32 v1, v0, 10, 10
	v_lshl_add_u32 v2, s6, 2, v1
	s_waitcnt lgkmcnt(0)
	v_cmp_gt_u32_e32 vcc, s0, v2
	s_and_saveexec_b64 s[0:1], vcc
	s_cbranch_execz .LBB594_7
; %bb.1:
	s_load_dword s10, s[4:5], 0x0
	s_load_dwordx2 s[0:1], s[4:5], 0x50
	v_mov_b32_e32 v3, 0
	v_and_b32_e32 v6, 0x3ff, v0
	v_mov_b32_e32 v7, v3
	s_waitcnt lgkmcnt(0)
	v_cmp_gt_i32_e32 vcc, s10, v6
	s_and_saveexec_b64 s[2:3], vcc
	s_cbranch_execz .LBB594_5
; %bb.2:
	s_load_dwordx4 s[12:15], s[4:5], 0x8
	s_load_dword s6, s[4:5], 0x18
	s_load_dword s8, s[4:5], 0x38
	s_load_dwordx4 s[16:19], s[4:5], 0x20
	s_load_dwordx2 s[20:21], s[4:5], 0x30
	s_load_dwordx2 s[22:23], s[4:5], 0x40
	s_waitcnt lgkmcnt(0)
	v_mad_i64_i32 v[0:1], s[4:5], s6, v6, 0
	v_mad_u64_u32 v[4:5], s[4:5], s16, v2, 0
	v_mov_b32_e32 v8, v5
	v_mad_u64_u32 v[8:9], s[4:5], s17, v2, v[8:9]
	v_mov_b32_e32 v5, v8
	s_ashr_i32 s7, s6, 31
	s_ashr_i32 s9, s8, 31
	v_lshlrev_b64 v[0:1], 2, v[0:1]
	v_lshlrev_b64 v[4:5], 2, v[4:5]
	s_lshl_b64 s[4:5], s[14:15], 2
	v_add_co_u32_e32 v0, vcc, v0, v4
	s_add_u32 s4, s12, s4
	v_addc_co_u32_e32 v1, vcc, v1, v5, vcc
	s_addc_u32 s5, s13, s5
	v_mov_b32_e32 v4, s5
	v_add_co_u32_e32 v0, vcc, s4, v0
	s_lshl_b64 s[4:5], s[6:7], 7
	v_mad_u64_u32 v[8:9], s[6:7], s22, v2, 0
	v_mov_b32_e32 v10, v9
	v_mad_u64_u32 v[10:11], s[6:7], s23, v2, v[10:11]
	v_addc_co_u32_e32 v1, vcc, v4, v1, vcc
	v_mad_i64_i32 v[4:5], s[6:7], s8, v6, 0
	v_mov_b32_e32 v9, v10
	v_lshlrev_b64 v[4:5], 2, v[4:5]
	v_lshlrev_b64 v[8:9], 2, v[8:9]
	s_lshl_b64 s[6:7], s[20:21], 2
	v_add_co_u32_e32 v4, vcc, v4, v8
	s_add_u32 s6, s18, s6
	v_addc_co_u32_e32 v5, vcc, v5, v9, vcc
	s_addc_u32 s7, s19, s7
	v_mov_b32_e32 v7, s7
	v_add_co_u32_e32 v4, vcc, s6, v4
	s_lshl_b64 s[8:9], s[8:9], 7
	v_addc_co_u32_e32 v5, vcc, v7, v5, vcc
	s_mov_b64 s[6:7], 0
	v_mov_b32_e32 v7, 0
	v_mov_b32_e32 v8, s5
	;; [unrolled: 1-line block ×4, first 2 shown]
.LBB594_3:                              ; =>This Inner Loop Header: Depth=1
	global_load_dword v11, v[0:1], off
	global_load_dword v12, v[4:5], off
	v_add_co_u32_e32 v0, vcc, s4, v0
	v_addc_co_u32_e32 v1, vcc, v1, v8, vcc
	v_add_co_u32_e32 v4, vcc, s8, v4
	v_add_u32_e32 v10, 32, v10
	v_addc_co_u32_e32 v5, vcc, v5, v9, vcc
	v_cmp_le_i32_e32 vcc, s10, v10
	s_or_b64 s[6:7], vcc, s[6:7]
	s_waitcnt vmcnt(0)
	v_fmac_f32_e32 v7, v11, v12
	s_andn2_b64 exec, exec, s[6:7]
	s_cbranch_execnz .LBB594_3
; %bb.4:
	s_or_b64 exec, exec, s[6:7]
.LBB594_5:
	s_or_b64 exec, exec, s[2:3]
	v_mbcnt_lo_u32_b32 v0, -1, 0
	v_mbcnt_hi_u32_b32 v0, -1, v0
	v_and_b32_e32 v1, 63, v0
	v_cmp_gt_u32_e32 vcc, 48, v1
	v_cndmask_b32_e64 v4, 0, 1, vcc
	v_lshlrev_b32_e32 v4, 4, v4
	v_add_lshl_u32 v4, v4, v0, 2
	ds_bpermute_b32 v4, v4, v7
	v_cmp_gt_u32_e32 vcc, 56, v1
	v_cndmask_b32_e64 v5, 0, 1, vcc
	v_lshlrev_b32_e32 v5, 3, v5
	v_add_lshl_u32 v5, v5, v0, 2
	s_waitcnt lgkmcnt(0)
	v_add_f32_e32 v4, v7, v4
	ds_bpermute_b32 v5, v5, v4
	v_cmp_gt_u32_e32 vcc, 60, v1
	v_cndmask_b32_e64 v7, 0, 1, vcc
	v_lshlrev_b32_e32 v7, 2, v7
	v_cmp_gt_u32_e32 vcc, 62, v1
	s_waitcnt lgkmcnt(0)
	v_add_f32_e32 v4, v4, v5
	v_add_lshl_u32 v5, v7, v0, 2
	ds_bpermute_b32 v5, v5, v4
	v_cndmask_b32_e64 v7, 0, 1, vcc
	v_lshlrev_b32_e32 v7, 1, v7
	v_cmp_ne_u32_e32 vcc, 63, v1
	v_addc_co_u32_e32 v1, vcc, 0, v0, vcc
	s_waitcnt lgkmcnt(0)
	v_add_f32_e32 v4, v4, v5
	v_add_lshl_u32 v5, v7, v0, 2
	ds_bpermute_b32 v5, v5, v4
	v_lshlrev_b32_e32 v1, 2, v1
	v_cmp_eq_u32_e32 vcc, 0, v6
	s_waitcnt lgkmcnt(0)
	s_barrier
	v_add_f32_e32 v0, v4, v5
	ds_bpermute_b32 v1, v1, v0
	s_waitcnt lgkmcnt(0)
	s_and_b64 exec, exec, vcc
	s_cbranch_execz .LBB594_7
; %bb.6:
	v_lshlrev_b64 v[2:3], 2, v[2:3]
	v_mov_b32_e32 v4, s1
	v_add_co_u32_e32 v2, vcc, s0, v2
	v_addc_co_u32_e32 v3, vcc, v4, v3, vcc
	v_add_f32_e32 v0, v0, v1
	global_store_dword v[2:3], v0, off
.LBB594_7:
	s_endpgm
	.section	.rodata,"a",@progbits
	.p2align	6, 0x0
	.amdhsa_kernel _ZL28rocblas_dot_batched_4_kernelIiLi32ELi4ELb1EffPKfEviT5_lT_lS2_lS3_liPT4_
		.amdhsa_group_segment_fixed_size 0
		.amdhsa_private_segment_fixed_size 0
		.amdhsa_kernarg_size 88
		.amdhsa_user_sgpr_count 6
		.amdhsa_user_sgpr_private_segment_buffer 1
		.amdhsa_user_sgpr_dispatch_ptr 0
		.amdhsa_user_sgpr_queue_ptr 0
		.amdhsa_user_sgpr_kernarg_segment_ptr 1
		.amdhsa_user_sgpr_dispatch_id 0
		.amdhsa_user_sgpr_flat_scratch_init 0
		.amdhsa_user_sgpr_kernarg_preload_length 0
		.amdhsa_user_sgpr_kernarg_preload_offset 0
		.amdhsa_user_sgpr_private_segment_size 0
		.amdhsa_uses_dynamic_stack 0
		.amdhsa_system_sgpr_private_segment_wavefront_offset 0
		.amdhsa_system_sgpr_workgroup_id_x 1
		.amdhsa_system_sgpr_workgroup_id_y 0
		.amdhsa_system_sgpr_workgroup_id_z 0
		.amdhsa_system_sgpr_workgroup_info 0
		.amdhsa_system_vgpr_workitem_id 1
		.amdhsa_next_free_vgpr 13
		.amdhsa_next_free_sgpr 24
		.amdhsa_accum_offset 16
		.amdhsa_reserve_vcc 1
		.amdhsa_reserve_flat_scratch 0
		.amdhsa_float_round_mode_32 0
		.amdhsa_float_round_mode_16_64 0
		.amdhsa_float_denorm_mode_32 3
		.amdhsa_float_denorm_mode_16_64 3
		.amdhsa_dx10_clamp 1
		.amdhsa_ieee_mode 1
		.amdhsa_fp16_overflow 0
		.amdhsa_tg_split 0
		.amdhsa_exception_fp_ieee_invalid_op 0
		.amdhsa_exception_fp_denorm_src 0
		.amdhsa_exception_fp_ieee_div_zero 0
		.amdhsa_exception_fp_ieee_overflow 0
		.amdhsa_exception_fp_ieee_underflow 0
		.amdhsa_exception_fp_ieee_inexact 0
		.amdhsa_exception_int_div_zero 0
	.end_amdhsa_kernel
	.section	.text._ZL28rocblas_dot_batched_4_kernelIiLi32ELi4ELb1EffPKfEviT5_lT_lS2_lS3_liPT4_,"axG",@progbits,_ZL28rocblas_dot_batched_4_kernelIiLi32ELi4ELb1EffPKfEviT5_lT_lS2_lS3_liPT4_,comdat
.Lfunc_end594:
	.size	_ZL28rocblas_dot_batched_4_kernelIiLi32ELi4ELb1EffPKfEviT5_lT_lS2_lS3_liPT4_, .Lfunc_end594-_ZL28rocblas_dot_batched_4_kernelIiLi32ELi4ELb1EffPKfEviT5_lT_lS2_lS3_liPT4_
                                        ; -- End function
	.section	.AMDGPU.csdata,"",@progbits
; Kernel info:
; codeLenInByte = 660
; NumSgprs: 28
; NumVgprs: 13
; NumAgprs: 0
; TotalNumVgprs: 13
; ScratchSize: 0
; MemoryBound: 0
; FloatMode: 240
; IeeeMode: 1
; LDSByteSize: 0 bytes/workgroup (compile time only)
; SGPRBlocks: 3
; VGPRBlocks: 1
; NumSGPRsForWavesPerEU: 28
; NumVGPRsForWavesPerEU: 13
; AccumOffset: 16
; Occupancy: 8
; WaveLimiterHint : 0
; COMPUTE_PGM_RSRC2:SCRATCH_EN: 0
; COMPUTE_PGM_RSRC2:USER_SGPR: 6
; COMPUTE_PGM_RSRC2:TRAP_HANDLER: 0
; COMPUTE_PGM_RSRC2:TGID_X_EN: 1
; COMPUTE_PGM_RSRC2:TGID_Y_EN: 0
; COMPUTE_PGM_RSRC2:TGID_Z_EN: 0
; COMPUTE_PGM_RSRC2:TIDIG_COMP_CNT: 1
; COMPUTE_PGM_RSRC3_GFX90A:ACCUM_OFFSET: 3
; COMPUTE_PGM_RSRC3_GFX90A:TG_SPLIT: 0
	.section	.text._ZL28rocblas_dot_batched_4_kernelIiLi64ELi4ELb1EffPKfEviT5_lT_lS2_lS3_liPT4_,"axG",@progbits,_ZL28rocblas_dot_batched_4_kernelIiLi64ELi4ELb1EffPKfEviT5_lT_lS2_lS3_liPT4_,comdat
	.globl	_ZL28rocblas_dot_batched_4_kernelIiLi64ELi4ELb1EffPKfEviT5_lT_lS2_lS3_liPT4_ ; -- Begin function _ZL28rocblas_dot_batched_4_kernelIiLi64ELi4ELb1EffPKfEviT5_lT_lS2_lS3_liPT4_
	.p2align	8
	.type	_ZL28rocblas_dot_batched_4_kernelIiLi64ELi4ELb1EffPKfEviT5_lT_lS2_lS3_liPT4_,@function
_ZL28rocblas_dot_batched_4_kernelIiLi64ELi4ELb1EffPKfEviT5_lT_lS2_lS3_liPT4_: ; @_ZL28rocblas_dot_batched_4_kernelIiLi64ELi4ELb1EffPKfEviT5_lT_lS2_lS3_liPT4_
; %bb.0:
	s_load_dword s0, s[4:5], 0x48
	v_bfe_u32 v1, v0, 10, 10
	v_lshl_add_u32 v2, s6, 2, v1
	s_waitcnt lgkmcnt(0)
	v_cmp_gt_u32_e32 vcc, s0, v2
	s_and_saveexec_b64 s[0:1], vcc
	s_cbranch_execz .LBB595_7
; %bb.1:
	s_load_dword s10, s[4:5], 0x0
	s_load_dwordx2 s[0:1], s[4:5], 0x50
	v_mov_b32_e32 v3, 0
	v_and_b32_e32 v6, 0x3ff, v0
	v_mov_b32_e32 v7, v3
	s_waitcnt lgkmcnt(0)
	v_cmp_gt_i32_e32 vcc, s10, v6
	s_and_saveexec_b64 s[2:3], vcc
	s_cbranch_execz .LBB595_5
; %bb.2:
	s_load_dwordx4 s[12:15], s[4:5], 0x8
	s_load_dword s6, s[4:5], 0x18
	s_load_dword s8, s[4:5], 0x38
	s_load_dwordx4 s[16:19], s[4:5], 0x20
	s_load_dwordx2 s[20:21], s[4:5], 0x30
	s_load_dwordx2 s[22:23], s[4:5], 0x40
	s_waitcnt lgkmcnt(0)
	v_mad_i64_i32 v[0:1], s[4:5], s6, v6, 0
	v_mad_u64_u32 v[4:5], s[4:5], s16, v2, 0
	v_mov_b32_e32 v8, v5
	v_mad_u64_u32 v[8:9], s[4:5], s17, v2, v[8:9]
	v_mov_b32_e32 v5, v8
	s_ashr_i32 s7, s6, 31
	s_ashr_i32 s9, s8, 31
	v_lshlrev_b64 v[0:1], 2, v[0:1]
	v_lshlrev_b64 v[4:5], 2, v[4:5]
	s_lshl_b64 s[4:5], s[14:15], 2
	v_add_co_u32_e32 v0, vcc, v0, v4
	s_add_u32 s4, s12, s4
	v_addc_co_u32_e32 v1, vcc, v1, v5, vcc
	s_addc_u32 s5, s13, s5
	v_mov_b32_e32 v4, s5
	v_add_co_u32_e32 v0, vcc, s4, v0
	s_lshl_b64 s[4:5], s[6:7], 8
	v_mad_u64_u32 v[8:9], s[6:7], s22, v2, 0
	v_mov_b32_e32 v10, v9
	v_mad_u64_u32 v[10:11], s[6:7], s23, v2, v[10:11]
	v_addc_co_u32_e32 v1, vcc, v4, v1, vcc
	v_mad_i64_i32 v[4:5], s[6:7], s8, v6, 0
	v_mov_b32_e32 v9, v10
	v_lshlrev_b64 v[4:5], 2, v[4:5]
	v_lshlrev_b64 v[8:9], 2, v[8:9]
	s_lshl_b64 s[6:7], s[20:21], 2
	v_add_co_u32_e32 v4, vcc, v4, v8
	s_add_u32 s6, s18, s6
	v_addc_co_u32_e32 v5, vcc, v5, v9, vcc
	s_addc_u32 s7, s19, s7
	v_mov_b32_e32 v7, s7
	v_add_co_u32_e32 v4, vcc, s6, v4
	s_lshl_b64 s[8:9], s[8:9], 8
	v_addc_co_u32_e32 v5, vcc, v7, v5, vcc
	s_mov_b64 s[6:7], 0
	v_mov_b32_e32 v7, 0
	v_mov_b32_e32 v8, s5
	;; [unrolled: 1-line block ×4, first 2 shown]
.LBB595_3:                              ; =>This Inner Loop Header: Depth=1
	global_load_dword v11, v[0:1], off
	global_load_dword v12, v[4:5], off
	v_add_co_u32_e32 v0, vcc, s4, v0
	v_addc_co_u32_e32 v1, vcc, v1, v8, vcc
	v_add_co_u32_e32 v4, vcc, s8, v4
	v_add_u32_e32 v10, 64, v10
	v_addc_co_u32_e32 v5, vcc, v5, v9, vcc
	v_cmp_le_i32_e32 vcc, s10, v10
	s_or_b64 s[6:7], vcc, s[6:7]
	s_waitcnt vmcnt(0)
	v_fmac_f32_e32 v7, v11, v12
	s_andn2_b64 exec, exec, s[6:7]
	s_cbranch_execnz .LBB595_3
; %bb.4:
	s_or_b64 exec, exec, s[6:7]
.LBB595_5:
	s_or_b64 exec, exec, s[2:3]
	v_mbcnt_lo_u32_b32 v0, -1, 0
	v_mbcnt_hi_u32_b32 v0, -1, v0
	v_and_b32_e32 v1, 63, v0
	v_cmp_gt_u32_e32 vcc, 32, v1
	v_cndmask_b32_e64 v4, 0, 1, vcc
	v_lshlrev_b32_e32 v4, 5, v4
	v_add_lshl_u32 v4, v4, v0, 2
	ds_bpermute_b32 v4, v4, v7
	v_cmp_gt_u32_e32 vcc, 48, v1
	v_cndmask_b32_e64 v5, 0, 1, vcc
	v_lshlrev_b32_e32 v5, 4, v5
	v_add_lshl_u32 v5, v5, v0, 2
	s_waitcnt lgkmcnt(0)
	v_add_f32_e32 v4, v7, v4
	ds_bpermute_b32 v5, v5, v4
	v_cmp_gt_u32_e32 vcc, 56, v1
	v_cndmask_b32_e64 v7, 0, 1, vcc
	v_lshlrev_b32_e32 v7, 3, v7
	v_cmp_gt_u32_e32 vcc, 60, v1
	s_waitcnt lgkmcnt(0)
	v_add_f32_e32 v4, v4, v5
	v_add_lshl_u32 v5, v7, v0, 2
	ds_bpermute_b32 v5, v5, v4
	v_cndmask_b32_e64 v7, 0, 1, vcc
	v_lshlrev_b32_e32 v7, 2, v7
	v_cmp_gt_u32_e32 vcc, 62, v1
	s_waitcnt lgkmcnt(0)
	v_add_f32_e32 v4, v4, v5
	v_add_lshl_u32 v5, v7, v0, 2
	ds_bpermute_b32 v5, v5, v4
	v_cndmask_b32_e64 v7, 0, 1, vcc
	v_lshlrev_b32_e32 v7, 1, v7
	v_cmp_ne_u32_e32 vcc, 63, v1
	v_addc_co_u32_e32 v1, vcc, 0, v0, vcc
	s_waitcnt lgkmcnt(0)
	v_add_f32_e32 v4, v4, v5
	v_add_lshl_u32 v5, v7, v0, 2
	ds_bpermute_b32 v5, v5, v4
	v_lshlrev_b32_e32 v1, 2, v1
	v_cmp_eq_u32_e32 vcc, 0, v6
	s_barrier
	s_waitcnt lgkmcnt(0)
	v_add_f32_e32 v0, v4, v5
	ds_bpermute_b32 v1, v1, v0
	s_and_b64 exec, exec, vcc
	s_cbranch_execz .LBB595_7
; %bb.6:
	v_lshlrev_b64 v[2:3], 2, v[2:3]
	v_mov_b32_e32 v4, s1
	v_add_co_u32_e32 v2, vcc, s0, v2
	v_addc_co_u32_e32 v3, vcc, v4, v3, vcc
	s_waitcnt lgkmcnt(0)
	v_add_f32_e32 v0, v0, v1
	global_store_dword v[2:3], v0, off
.LBB595_7:
	s_endpgm
	.section	.rodata,"a",@progbits
	.p2align	6, 0x0
	.amdhsa_kernel _ZL28rocblas_dot_batched_4_kernelIiLi64ELi4ELb1EffPKfEviT5_lT_lS2_lS3_liPT4_
		.amdhsa_group_segment_fixed_size 0
		.amdhsa_private_segment_fixed_size 0
		.amdhsa_kernarg_size 88
		.amdhsa_user_sgpr_count 6
		.amdhsa_user_sgpr_private_segment_buffer 1
		.amdhsa_user_sgpr_dispatch_ptr 0
		.amdhsa_user_sgpr_queue_ptr 0
		.amdhsa_user_sgpr_kernarg_segment_ptr 1
		.amdhsa_user_sgpr_dispatch_id 0
		.amdhsa_user_sgpr_flat_scratch_init 0
		.amdhsa_user_sgpr_kernarg_preload_length 0
		.amdhsa_user_sgpr_kernarg_preload_offset 0
		.amdhsa_user_sgpr_private_segment_size 0
		.amdhsa_uses_dynamic_stack 0
		.amdhsa_system_sgpr_private_segment_wavefront_offset 0
		.amdhsa_system_sgpr_workgroup_id_x 1
		.amdhsa_system_sgpr_workgroup_id_y 0
		.amdhsa_system_sgpr_workgroup_id_z 0
		.amdhsa_system_sgpr_workgroup_info 0
		.amdhsa_system_vgpr_workitem_id 1
		.amdhsa_next_free_vgpr 13
		.amdhsa_next_free_sgpr 24
		.amdhsa_accum_offset 16
		.amdhsa_reserve_vcc 1
		.amdhsa_reserve_flat_scratch 0
		.amdhsa_float_round_mode_32 0
		.amdhsa_float_round_mode_16_64 0
		.amdhsa_float_denorm_mode_32 3
		.amdhsa_float_denorm_mode_16_64 3
		.amdhsa_dx10_clamp 1
		.amdhsa_ieee_mode 1
		.amdhsa_fp16_overflow 0
		.amdhsa_tg_split 0
		.amdhsa_exception_fp_ieee_invalid_op 0
		.amdhsa_exception_fp_denorm_src 0
		.amdhsa_exception_fp_ieee_div_zero 0
		.amdhsa_exception_fp_ieee_overflow 0
		.amdhsa_exception_fp_ieee_underflow 0
		.amdhsa_exception_fp_ieee_inexact 0
		.amdhsa_exception_int_div_zero 0
	.end_amdhsa_kernel
	.section	.text._ZL28rocblas_dot_batched_4_kernelIiLi64ELi4ELb1EffPKfEviT5_lT_lS2_lS3_liPT4_,"axG",@progbits,_ZL28rocblas_dot_batched_4_kernelIiLi64ELi4ELb1EffPKfEviT5_lT_lS2_lS3_liPT4_,comdat
.Lfunc_end595:
	.size	_ZL28rocblas_dot_batched_4_kernelIiLi64ELi4ELb1EffPKfEviT5_lT_lS2_lS3_liPT4_, .Lfunc_end595-_ZL28rocblas_dot_batched_4_kernelIiLi64ELi4ELb1EffPKfEviT5_lT_lS2_lS3_liPT4_
                                        ; -- End function
	.section	.AMDGPU.csdata,"",@progbits
; Kernel info:
; codeLenInByte = 700
; NumSgprs: 28
; NumVgprs: 13
; NumAgprs: 0
; TotalNumVgprs: 13
; ScratchSize: 0
; MemoryBound: 0
; FloatMode: 240
; IeeeMode: 1
; LDSByteSize: 0 bytes/workgroup (compile time only)
; SGPRBlocks: 3
; VGPRBlocks: 1
; NumSGPRsForWavesPerEU: 28
; NumVGPRsForWavesPerEU: 13
; AccumOffset: 16
; Occupancy: 8
; WaveLimiterHint : 0
; COMPUTE_PGM_RSRC2:SCRATCH_EN: 0
; COMPUTE_PGM_RSRC2:USER_SGPR: 6
; COMPUTE_PGM_RSRC2:TRAP_HANDLER: 0
; COMPUTE_PGM_RSRC2:TGID_X_EN: 1
; COMPUTE_PGM_RSRC2:TGID_Y_EN: 0
; COMPUTE_PGM_RSRC2:TGID_Z_EN: 0
; COMPUTE_PGM_RSRC2:TIDIG_COMP_CNT: 1
; COMPUTE_PGM_RSRC3_GFX90A:ACCUM_OFFSET: 3
; COMPUTE_PGM_RSRC3_GFX90A:TG_SPLIT: 0
	.section	.text._ZL26rocblas_dot_kernel_inc1by2ILb1ELi1024ELi32ELb1EfPKffEviT4_llS2_lliPT5_PT3_,"axG",@progbits,_ZL26rocblas_dot_kernel_inc1by2ILb1ELi1024ELi32ELb1EfPKffEviT4_llS2_lliPT5_PT3_,comdat
	.globl	_ZL26rocblas_dot_kernel_inc1by2ILb1ELi1024ELi32ELb1EfPKffEviT4_llS2_lliPT5_PT3_ ; -- Begin function _ZL26rocblas_dot_kernel_inc1by2ILb1ELi1024ELi32ELb1EfPKffEviT4_llS2_lliPT5_PT3_
	.p2align	8
	.type	_ZL26rocblas_dot_kernel_inc1by2ILb1ELi1024ELi32ELb1EfPKffEviT4_llS2_lliPT5_PT3_,@function
_ZL26rocblas_dot_kernel_inc1by2ILb1ELi1024ELi32ELb1EfPKffEviT4_llS2_lliPT5_PT3_: ; @_ZL26rocblas_dot_kernel_inc1by2ILb1ELi1024ELi32ELb1EfPKffEviT4_llS2_lliPT5_PT3_
; %bb.0:
	s_mov_b32 s2, s7
	s_load_dword s24, s[4:5], 0x0
	s_load_dwordx2 s[18:19], s[4:5], 0x8
	s_load_dwordx4 s[12:15], s[4:5], 0x10
	s_load_dwordx2 s[16:17], s[4:5], 0x20
	s_load_dwordx2 s[6:7], s[4:5], 0x48
	s_load_dwordx4 s[8:11], s[4:5], 0x28
	v_lshlrev_b32_e32 v6, 1, v0
	s_waitcnt lgkmcnt(0)
	s_mul_i32 s0, s2, s15
	s_mul_hi_u32 s1, s2, s14
	s_add_i32 s15, s1, s0
	s_mul_i32 s0, s2, s11
	s_mul_hi_u32 s1, s2, s10
	s_add_i32 s4, s24, -1
	s_mov_b32 s3, 0
	s_mul_i32 s14, s2, s14
	s_add_i32 s11, s1, s0
	s_mul_i32 s10, s2, s10
	v_cmp_gt_i32_e32 vcc, s4, v6
	v_mov_b32_e32 v1, 0
	s_and_saveexec_b64 s[20:21], vcc
	s_cbranch_execz .LBB596_4
; %bb.1:
	s_lshl_b64 s[0:1], s[10:11], 2
	s_lshl_b64 s[22:23], s[8:9], 2
	s_add_u32 s5, s16, s22
	s_addc_u32 s22, s17, s23
	s_add_u32 s0, s5, s0
	v_lshlrev_b32_e32 v4, 3, v0
	s_addc_u32 s1, s22, s1
	v_mov_b32_e32 v3, s1
	v_add_co_u32_e32 v2, vcc, s0, v4
	s_lshl_b64 s[0:1], s[14:15], 2
	s_lshl_b64 s[22:23], s[12:13], 2
	s_add_u32 s5, s18, s22
	s_addc_u32 s22, s19, s23
	s_add_u32 s0, s5, s0
	v_addc_co_u32_e32 v3, vcc, 0, v3, vcc
	s_addc_u32 s1, s22, s1
	v_mov_b32_e32 v5, s1
	v_add_co_u32_e32 v4, vcc, s0, v4
	v_mov_b32_e32 v1, 0
	v_addc_co_u32_e32 v5, vcc, 0, v5, vcc
	s_mov_b64 s[22:23], 0
	s_mov_b32 s5, s3
.LBB596_2:                              ; =>This Inner Loop Header: Depth=1
	global_load_dwordx2 v[8:9], v[2:3], off
	global_load_dwordx2 v[10:11], v[4:5], off
	s_add_i32 s25, s5, 1
	v_add_u32_e32 v6, 0x800, v6
	s_cmp_gt_u32 s5, 30
	v_add_co_u32_e32 v2, vcc, 0x2000, v2
	v_cmp_le_i32_e64 s[0:1], s4, v6
	s_cselect_b64 s[26:27], -1, 0
	v_addc_co_u32_e32 v3, vcc, 0, v3, vcc
	s_or_b64 s[0:1], s[26:27], s[0:1]
	v_add_co_u32_e32 v4, vcc, 0x2000, v4
	s_and_b64 s[0:1], exec, s[0:1]
	s_mov_b32 s5, s25
	v_addc_co_u32_e32 v5, vcc, 0, v5, vcc
	s_or_b64 s[22:23], s[0:1], s[22:23]
	s_waitcnt vmcnt(0)
	v_pk_mul_f32 v[8:9], v[8:9], v[10:11]
	v_add_f32_e32 v1, v1, v8
	v_add_f32_e32 v1, v1, v9
	s_andn2_b64 exec, exec, s[22:23]
	s_cbranch_execnz .LBB596_2
; %bb.3:
	s_or_b64 exec, exec, s[22:23]
.LBB596_4:
	s_or_b64 exec, exec, s[20:21]
	s_bitcmp1_b32 s24, 0
	s_cselect_b64 s[0:1], -1, 0
	v_cmp_eq_u32_e32 vcc, s4, v6
	s_and_b64 s[20:21], s[0:1], vcc
	s_and_saveexec_b64 s[0:1], s[20:21]
	s_cbranch_execz .LBB596_6
; %bb.5:
	s_lshl_b64 s[14:15], s[14:15], 2
	s_add_u32 s5, s18, s14
	s_addc_u32 s14, s19, s15
	s_lshl_b64 s[12:13], s[12:13], 2
	s_add_u32 s12, s5, s12
	s_addc_u32 s13, s14, s13
	s_lshl_b64 s[10:11], s[10:11], 2
	s_add_u32 s5, s16, s10
	s_addc_u32 s10, s17, s11
	s_lshl_b64 s[8:9], s[8:9], 2
	s_add_u32 s11, s5, s8
	s_mov_b32 s5, 0
	s_addc_u32 s10, s10, s9
	s_lshl_b64 s[4:5], s[4:5], 2
	s_add_u32 s8, s12, s4
	s_addc_u32 s9, s13, s5
	s_add_u32 s4, s11, s4
	s_addc_u32 s5, s10, s5
	s_load_dword s10, s[8:9], 0x0
	s_load_dword s11, s[4:5], 0x0
	s_waitcnt lgkmcnt(0)
	v_mov_b32_e32 v2, s10
	v_fmac_f32_e32 v1, s11, v2
.LBB596_6:
	s_or_b64 exec, exec, s[0:1]
	v_and_b32_e32 v3, 63, v0
	v_cmp_gt_u32_e32 vcc, 64, v0
	v_lshlrev_b32_e32 v2, 2, v3
	s_and_saveexec_b64 s[0:1], vcc
	s_cbranch_execz .LBB596_8
; %bb.7:
	v_mov_b32_e32 v4, 0
	ds_write_b32 v2, v4
.LBB596_8:
	s_or_b64 exec, exec, s[0:1]
	v_mbcnt_lo_u32_b32 v4, -1, 0
	v_mbcnt_hi_u32_b32 v6, -1, v4
	v_and_b32_e32 v7, 63, v6
	v_cmp_gt_u32_e64 s[0:1], 32, v7
	v_cndmask_b32_e64 v4, 0, 1, s[0:1]
	v_lshlrev_b32_e32 v4, 5, v4
	v_add_lshl_u32 v4, v4, v6, 2
	ds_bpermute_b32 v4, v4, v1
	v_cmp_gt_u32_e64 s[0:1], 48, v7
	v_cndmask_b32_e64 v5, 0, 1, s[0:1]
	v_lshlrev_b32_e32 v5, 4, v5
	v_cmp_gt_u32_e64 s[0:1], 56, v7
	s_waitcnt lgkmcnt(0)
	v_add_f32_e32 v1, v1, v4
	v_add_lshl_u32 v4, v5, v6, 2
	ds_bpermute_b32 v4, v4, v1
	v_cndmask_b32_e64 v5, 0, 1, s[0:1]
	v_lshlrev_b32_e32 v5, 3, v5
	v_cmp_gt_u32_e64 s[0:1], 60, v7
	v_cndmask_b32_e64 v8, 0, 1, s[0:1]
	s_waitcnt lgkmcnt(0)
	v_add_f32_e32 v4, v1, v4
	v_add_lshl_u32 v1, v5, v6, 2
	ds_bpermute_b32 v5, v1, v4
	v_lshlrev_b32_e32 v8, 2, v8
	v_cmp_gt_u32_e64 s[0:1], 62, v7
	v_cndmask_b32_e64 v9, 0, 1, s[0:1]
	v_lshlrev_b32_e32 v9, 1, v9
	s_waitcnt lgkmcnt(0)
	v_add_f32_e32 v5, v4, v5
	v_add_lshl_u32 v4, v8, v6, 2
	ds_bpermute_b32 v8, v4, v5
	v_cmp_ne_u32_e64 s[0:1], 63, v7
	s_waitcnt lgkmcnt(0)
	s_barrier
	v_add_f32_e32 v8, v5, v8
	v_add_lshl_u32 v5, v9, v6, 2
	ds_bpermute_b32 v9, v5, v8
	v_addc_co_u32_e64 v6, s[0:1], 0, v6, s[0:1]
	v_lshlrev_b32_e32 v6, 2, v6
	v_cmp_eq_u32_e64 s[0:1], 0, v3
	s_waitcnt lgkmcnt(0)
	v_add_f32_e32 v7, v8, v9
	ds_bpermute_b32 v8, v6, v7
	s_and_saveexec_b64 s[4:5], s[0:1]
	s_cbranch_execz .LBB596_10
; %bb.9:
	s_waitcnt lgkmcnt(0)
	v_add_f32_e32 v3, v7, v8
	v_lshrrev_b32_e32 v7, 4, v0
	v_and_b32_e32 v7, 60, v7
	ds_write_b32 v7, v3
.LBB596_10:
	s_or_b64 exec, exec, s[4:5]
	v_cmp_gt_u32_e64 s[0:1], 16, v0
	v_mov_b32_e32 v3, 0
	s_waitcnt lgkmcnt(0)
	s_barrier
	s_and_saveexec_b64 s[4:5], s[0:1]
	s_cbranch_execnz .LBB596_14
; %bb.11:
	s_or_b64 exec, exec, s[4:5]
	s_and_saveexec_b64 s[0:1], vcc
	s_cbranch_execnz .LBB596_15
.LBB596_12:
	s_or_b64 exec, exec, s[0:1]
	v_cmp_eq_u32_e32 vcc, 0, v0
	s_and_saveexec_b64 s[0:1], vcc
	s_cbranch_execnz .LBB596_16
.LBB596_13:
	s_endpgm
.LBB596_14:
	ds_read_b32 v3, v2
	s_or_b64 exec, exec, s[4:5]
	s_and_saveexec_b64 s[0:1], vcc
	s_cbranch_execz .LBB596_12
.LBB596_15:
	s_waitcnt lgkmcnt(0)
	ds_bpermute_b32 v1, v1, v3
	s_waitcnt lgkmcnt(0)
	v_add_f32_e32 v1, v3, v1
	ds_bpermute_b32 v2, v4, v1
	s_waitcnt lgkmcnt(0)
	v_add_f32_e32 v1, v1, v2
	;; [unrolled: 3-line block ×4, first 2 shown]
	s_or_b64 exec, exec, s[0:1]
	v_cmp_eq_u32_e32 vcc, 0, v0
	s_and_saveexec_b64 s[0:1], vcc
	s_cbranch_execz .LBB596_13
.LBB596_16:
	s_lshl_b64 s[0:1], s[2:3], 2
	s_add_u32 s0, s6, s0
	s_addc_u32 s1, s7, s1
	v_mov_b32_e32 v0, 0
	s_waitcnt lgkmcnt(0)
	global_store_dword v0, v3, s[0:1]
	s_endpgm
	.section	.rodata,"a",@progbits
	.p2align	6, 0x0
	.amdhsa_kernel _ZL26rocblas_dot_kernel_inc1by2ILb1ELi1024ELi32ELb1EfPKffEviT4_llS2_lliPT5_PT3_
		.amdhsa_group_segment_fixed_size 256
		.amdhsa_private_segment_fixed_size 0
		.amdhsa_kernarg_size 80
		.amdhsa_user_sgpr_count 6
		.amdhsa_user_sgpr_private_segment_buffer 1
		.amdhsa_user_sgpr_dispatch_ptr 0
		.amdhsa_user_sgpr_queue_ptr 0
		.amdhsa_user_sgpr_kernarg_segment_ptr 1
		.amdhsa_user_sgpr_dispatch_id 0
		.amdhsa_user_sgpr_flat_scratch_init 0
		.amdhsa_user_sgpr_kernarg_preload_length 0
		.amdhsa_user_sgpr_kernarg_preload_offset 0
		.amdhsa_user_sgpr_private_segment_size 0
		.amdhsa_uses_dynamic_stack 0
		.amdhsa_system_sgpr_private_segment_wavefront_offset 0
		.amdhsa_system_sgpr_workgroup_id_x 1
		.amdhsa_system_sgpr_workgroup_id_y 0
		.amdhsa_system_sgpr_workgroup_id_z 1
		.amdhsa_system_sgpr_workgroup_info 0
		.amdhsa_system_vgpr_workitem_id 0
		.amdhsa_next_free_vgpr 12
		.amdhsa_next_free_sgpr 28
		.amdhsa_accum_offset 12
		.amdhsa_reserve_vcc 1
		.amdhsa_reserve_flat_scratch 0
		.amdhsa_float_round_mode_32 0
		.amdhsa_float_round_mode_16_64 0
		.amdhsa_float_denorm_mode_32 3
		.amdhsa_float_denorm_mode_16_64 3
		.amdhsa_dx10_clamp 1
		.amdhsa_ieee_mode 1
		.amdhsa_fp16_overflow 0
		.amdhsa_tg_split 0
		.amdhsa_exception_fp_ieee_invalid_op 0
		.amdhsa_exception_fp_denorm_src 0
		.amdhsa_exception_fp_ieee_div_zero 0
		.amdhsa_exception_fp_ieee_overflow 0
		.amdhsa_exception_fp_ieee_underflow 0
		.amdhsa_exception_fp_ieee_inexact 0
		.amdhsa_exception_int_div_zero 0
	.end_amdhsa_kernel
	.section	.text._ZL26rocblas_dot_kernel_inc1by2ILb1ELi1024ELi32ELb1EfPKffEviT4_llS2_lliPT5_PT3_,"axG",@progbits,_ZL26rocblas_dot_kernel_inc1by2ILb1ELi1024ELi32ELb1EfPKffEviT4_llS2_lliPT5_PT3_,comdat
.Lfunc_end596:
	.size	_ZL26rocblas_dot_kernel_inc1by2ILb1ELi1024ELi32ELb1EfPKffEviT4_llS2_lliPT5_PT3_, .Lfunc_end596-_ZL26rocblas_dot_kernel_inc1by2ILb1ELi1024ELi32ELb1EfPKffEviT4_llS2_lliPT5_PT3_
                                        ; -- End function
	.section	.AMDGPU.csdata,"",@progbits
; Kernel info:
; codeLenInByte = 1000
; NumSgprs: 32
; NumVgprs: 12
; NumAgprs: 0
; TotalNumVgprs: 12
; ScratchSize: 0
; MemoryBound: 0
; FloatMode: 240
; IeeeMode: 1
; LDSByteSize: 256 bytes/workgroup (compile time only)
; SGPRBlocks: 3
; VGPRBlocks: 1
; NumSGPRsForWavesPerEU: 32
; NumVGPRsForWavesPerEU: 12
; AccumOffset: 12
; Occupancy: 8
; WaveLimiterHint : 0
; COMPUTE_PGM_RSRC2:SCRATCH_EN: 0
; COMPUTE_PGM_RSRC2:USER_SGPR: 6
; COMPUTE_PGM_RSRC2:TRAP_HANDLER: 0
; COMPUTE_PGM_RSRC2:TGID_X_EN: 1
; COMPUTE_PGM_RSRC2:TGID_Y_EN: 0
; COMPUTE_PGM_RSRC2:TGID_Z_EN: 1
; COMPUTE_PGM_RSRC2:TIDIG_COMP_CNT: 0
; COMPUTE_PGM_RSRC3_GFX90A:ACCUM_OFFSET: 2
; COMPUTE_PGM_RSRC3_GFX90A:TG_SPLIT: 0
	.section	.text._ZL18rocblas_dot_kernelIiLb1ELi1024ELi32ELb1EfPKffEviT5_lT_lS2_lS3_liPT6_PT4_,"axG",@progbits,_ZL18rocblas_dot_kernelIiLb1ELi1024ELi32ELb1EfPKffEviT5_lT_lS2_lS3_liPT6_PT4_,comdat
	.globl	_ZL18rocblas_dot_kernelIiLb1ELi1024ELi32ELb1EfPKffEviT5_lT_lS2_lS3_liPT6_PT4_ ; -- Begin function _ZL18rocblas_dot_kernelIiLb1ELi1024ELi32ELb1EfPKffEviT5_lT_lS2_lS3_liPT6_PT4_
	.p2align	8
	.type	_ZL18rocblas_dot_kernelIiLb1ELi1024ELi32ELb1EfPKffEviT5_lT_lS2_lS3_liPT6_PT4_,@function
_ZL18rocblas_dot_kernelIiLb1ELi1024ELi32ELb1EfPKffEviT5_lT_lS2_lS3_liPT6_PT4_: ; @_ZL18rocblas_dot_kernelIiLb1ELi1024ELi32ELb1EfPKffEviT5_lT_lS2_lS3_liPT6_PT4_
; %bb.0:
	s_load_dword s14, s[4:5], 0x0
	s_load_dwordx2 s[8:9], s[4:5], 0x58
	s_mov_b32 s6, s7
	s_mov_b32 s7, 0
	v_mov_b32_e32 v6, 0
	s_waitcnt lgkmcnt(0)
	v_cmp_gt_i32_e32 vcc, s14, v0
	s_and_saveexec_b64 s[10:11], vcc
	s_cbranch_execz .LBB597_4
; %bb.1:
	s_load_dword s22, s[4:5], 0x38
	s_load_dwordx2 s[12:13], s[4:5], 0x40
	s_load_dword s15, s[4:5], 0x60
	s_load_dwordx4 s[0:3], s[4:5], 0x20
	s_load_dwordx4 s[16:19], s[4:5], 0x8
	s_load_dword s23, s[4:5], 0x18
	s_load_dwordx2 s[20:21], s[4:5], 0x30
	s_waitcnt lgkmcnt(0)
	s_lshl_b32 s15, s15, 10
	s_mul_i32 s1, s1, s6
	s_mul_hi_u32 s4, s0, s6
	s_add_i32 s1, s4, s1
	s_mul_i32 s0, s0, s6
	v_mad_i64_i32 v[2:3], s[4:5], s23, v0, 0
	s_lshl_b64 s[0:1], s[0:1], 2
	s_lshl_b64 s[4:5], s[18:19], 2
	s_add_u32 s4, s16, s4
	s_addc_u32 s5, s17, s5
	s_add_u32 s0, s4, s0
	v_lshlrev_b64 v[2:3], 2, v[2:3]
	s_addc_u32 s1, s5, s1
	v_mov_b32_e32 v4, s1
	v_add_co_u32_e32 v2, vcc, s0, v2
	s_mul_hi_i32 s1, s23, s15
	s_mul_i32 s0, s23, s15
	s_lshl_b64 s[4:5], s[0:1], 2
	s_mul_i32 s0, s13, s6
	s_mul_hi_u32 s1, s12, s6
	v_addc_co_u32_e32 v3, vcc, v4, v3, vcc
	s_add_i32 s1, s1, s0
	s_mul_i32 s0, s12, s6
	v_mad_i64_i32 v[4:5], s[12:13], s22, v0, 0
	s_lshl_b64 s[0:1], s[0:1], 2
	s_lshl_b64 s[12:13], s[20:21], 2
	s_add_u32 s2, s2, s12
	s_addc_u32 s3, s3, s13
	s_add_u32 s0, s2, s0
	v_lshlrev_b64 v[4:5], 2, v[4:5]
	s_addc_u32 s1, s3, s1
	v_mov_b32_e32 v6, s1
	v_add_co_u32_e32 v4, vcc, s0, v4
	s_mul_hi_i32 s1, s22, s15
	s_mul_i32 s0, s22, s15
	s_lshl_b64 s[12:13], s[0:1], 2
	v_or_b32_e32 v1, s15, v0
	v_addc_co_u32_e32 v5, vcc, v6, v5, vcc
	s_mov_b64 s[2:3], 0
	v_mov_b32_e32 v6, 0
	v_mov_b32_e32 v7, s5
	;; [unrolled: 1-line block ×3, first 2 shown]
	s_mov_b32 s5, s7
.LBB597_2:                              ; =>This Inner Loop Header: Depth=1
	global_load_dword v9, v[4:5], off
	global_load_dword v10, v[2:3], off
	v_add_co_u32_e64 v2, s[0:1], s4, v2
	v_addc_co_u32_e64 v3, s[0:1], v3, v7, s[0:1]
	s_add_i32 s13, s5, 1
	v_add_co_u32_e64 v4, s[0:1], s12, v4
	v_addc_co_u32_e64 v5, s[0:1], v5, v8, s[0:1]
	s_cmp_gt_u32 s5, 30
	v_cmp_le_i32_e32 vcc, s14, v1
	s_cselect_b64 s[0:1], -1, 0
	s_or_b64 s[0:1], s[0:1], vcc
	s_and_b64 s[0:1], exec, s[0:1]
	v_add_u32_e32 v1, s15, v1
	s_mov_b32 s5, s13
	s_or_b64 s[2:3], s[0:1], s[2:3]
	s_waitcnt vmcnt(0)
	v_fmac_f32_e32 v6, v9, v10
	s_andn2_b64 exec, exec, s[2:3]
	s_cbranch_execnz .LBB597_2
; %bb.3:
	s_or_b64 exec, exec, s[2:3]
.LBB597_4:
	s_or_b64 exec, exec, s[10:11]
	v_and_b32_e32 v2, 63, v0
	v_cmp_gt_u32_e32 vcc, 64, v0
	v_lshlrev_b32_e32 v1, 2, v2
	s_and_saveexec_b64 s[0:1], vcc
	s_cbranch_execz .LBB597_6
; %bb.5:
	v_mov_b32_e32 v3, 0
	ds_write_b32 v1, v3
.LBB597_6:
	s_or_b64 exec, exec, s[0:1]
	v_mbcnt_lo_u32_b32 v3, -1, 0
	v_mbcnt_hi_u32_b32 v7, -1, v3
	v_and_b32_e32 v8, 63, v7
	v_cmp_gt_u32_e64 s[0:1], 32, v8
	v_cndmask_b32_e64 v3, 0, 1, s[0:1]
	v_lshlrev_b32_e32 v3, 5, v3
	v_add_lshl_u32 v3, v3, v7, 2
	ds_bpermute_b32 v3, v3, v6
	v_cmp_gt_u32_e64 s[0:1], 48, v8
	v_cndmask_b32_e64 v4, 0, 1, s[0:1]
	v_lshlrev_b32_e32 v4, 4, v4
	v_add_lshl_u32 v4, v4, v7, 2
	s_waitcnt lgkmcnt(0)
	v_add_f32_e32 v3, v6, v3
	ds_bpermute_b32 v4, v4, v3
	v_cmp_gt_u32_e64 s[0:1], 56, v8
	v_cndmask_b32_e64 v5, 0, 1, s[0:1]
	v_lshlrev_b32_e32 v5, 3, v5
	v_cmp_gt_u32_e64 s[0:1], 60, v8
	s_waitcnt lgkmcnt(0)
	v_add_f32_e32 v4, v3, v4
	v_add_lshl_u32 v3, v5, v7, 2
	ds_bpermute_b32 v5, v3, v4
	v_cndmask_b32_e64 v6, 0, 1, s[0:1]
	v_lshlrev_b32_e32 v6, 2, v6
	v_cmp_gt_u32_e64 s[0:1], 62, v8
	v_cndmask_b32_e64 v9, 0, 1, s[0:1]
	s_waitcnt lgkmcnt(0)
	v_add_f32_e32 v5, v4, v5
	v_add_lshl_u32 v4, v6, v7, 2
	ds_bpermute_b32 v6, v4, v5
	v_lshlrev_b32_e32 v9, 1, v9
	v_cmp_ne_u32_e64 s[0:1], 63, v8
	v_addc_co_u32_e64 v8, s[0:1], 0, v7, s[0:1]
	s_waitcnt lgkmcnt(0)
	v_add_f32_e32 v6, v5, v6
	v_add_lshl_u32 v5, v9, v7, 2
	ds_bpermute_b32 v9, v5, v6
	v_cmp_eq_u32_e64 s[0:1], 0, v2
	s_waitcnt lgkmcnt(0)
	s_barrier
	v_add_f32_e32 v7, v6, v9
	v_lshlrev_b32_e32 v6, 2, v8
	ds_bpermute_b32 v8, v6, v7
	s_and_saveexec_b64 s[2:3], s[0:1]
	s_cbranch_execz .LBB597_8
; %bb.7:
	s_waitcnt lgkmcnt(0)
	v_add_f32_e32 v2, v7, v8
	v_lshrrev_b32_e32 v7, 4, v0
	v_and_b32_e32 v7, 60, v7
	ds_write_b32 v7, v2
.LBB597_8:
	s_or_b64 exec, exec, s[2:3]
	v_cmp_gt_u32_e64 s[0:1], 16, v0
	v_mov_b32_e32 v2, 0
	s_waitcnt lgkmcnt(0)
	s_barrier
	s_and_saveexec_b64 s[2:3], s[0:1]
	s_cbranch_execnz .LBB597_12
; %bb.9:
	s_or_b64 exec, exec, s[2:3]
	s_and_saveexec_b64 s[0:1], vcc
	s_cbranch_execnz .LBB597_13
.LBB597_10:
	s_or_b64 exec, exec, s[0:1]
	v_cmp_eq_u32_e32 vcc, 0, v0
	s_and_saveexec_b64 s[0:1], vcc
	s_cbranch_execnz .LBB597_14
.LBB597_11:
	s_endpgm
.LBB597_12:
	ds_read_b32 v2, v1
	s_or_b64 exec, exec, s[2:3]
	s_and_saveexec_b64 s[0:1], vcc
	s_cbranch_execz .LBB597_10
.LBB597_13:
	s_waitcnt lgkmcnt(0)
	ds_bpermute_b32 v1, v3, v2
	s_waitcnt lgkmcnt(0)
	v_add_f32_e32 v1, v2, v1
	ds_bpermute_b32 v2, v4, v1
	s_waitcnt lgkmcnt(0)
	v_add_f32_e32 v1, v1, v2
	;; [unrolled: 3-line block ×4, first 2 shown]
	s_or_b64 exec, exec, s[0:1]
	v_cmp_eq_u32_e32 vcc, 0, v0
	s_and_saveexec_b64 s[0:1], vcc
	s_cbranch_execz .LBB597_11
.LBB597_14:
	s_lshl_b64 s[0:1], s[6:7], 2
	s_add_u32 s0, s8, s0
	s_addc_u32 s1, s9, s1
	v_mov_b32_e32 v0, 0
	s_waitcnt lgkmcnt(0)
	global_store_dword v0, v2, s[0:1]
	s_endpgm
	.section	.rodata,"a",@progbits
	.p2align	6, 0x0
	.amdhsa_kernel _ZL18rocblas_dot_kernelIiLb1ELi1024ELi32ELb1EfPKffEviT5_lT_lS2_lS3_liPT6_PT4_
		.amdhsa_group_segment_fixed_size 256
		.amdhsa_private_segment_fixed_size 0
		.amdhsa_kernarg_size 352
		.amdhsa_user_sgpr_count 6
		.amdhsa_user_sgpr_private_segment_buffer 1
		.amdhsa_user_sgpr_dispatch_ptr 0
		.amdhsa_user_sgpr_queue_ptr 0
		.amdhsa_user_sgpr_kernarg_segment_ptr 1
		.amdhsa_user_sgpr_dispatch_id 0
		.amdhsa_user_sgpr_flat_scratch_init 0
		.amdhsa_user_sgpr_kernarg_preload_length 0
		.amdhsa_user_sgpr_kernarg_preload_offset 0
		.amdhsa_user_sgpr_private_segment_size 0
		.amdhsa_uses_dynamic_stack 0
		.amdhsa_system_sgpr_private_segment_wavefront_offset 0
		.amdhsa_system_sgpr_workgroup_id_x 1
		.amdhsa_system_sgpr_workgroup_id_y 0
		.amdhsa_system_sgpr_workgroup_id_z 1
		.amdhsa_system_sgpr_workgroup_info 0
		.amdhsa_system_vgpr_workitem_id 0
		.amdhsa_next_free_vgpr 11
		.amdhsa_next_free_sgpr 24
		.amdhsa_accum_offset 12
		.amdhsa_reserve_vcc 1
		.amdhsa_reserve_flat_scratch 0
		.amdhsa_float_round_mode_32 0
		.amdhsa_float_round_mode_16_64 0
		.amdhsa_float_denorm_mode_32 3
		.amdhsa_float_denorm_mode_16_64 3
		.amdhsa_dx10_clamp 1
		.amdhsa_ieee_mode 1
		.amdhsa_fp16_overflow 0
		.amdhsa_tg_split 0
		.amdhsa_exception_fp_ieee_invalid_op 0
		.amdhsa_exception_fp_denorm_src 0
		.amdhsa_exception_fp_ieee_div_zero 0
		.amdhsa_exception_fp_ieee_overflow 0
		.amdhsa_exception_fp_ieee_underflow 0
		.amdhsa_exception_fp_ieee_inexact 0
		.amdhsa_exception_int_div_zero 0
	.end_amdhsa_kernel
	.section	.text._ZL18rocblas_dot_kernelIiLb1ELi1024ELi32ELb1EfPKffEviT5_lT_lS2_lS3_liPT6_PT4_,"axG",@progbits,_ZL18rocblas_dot_kernelIiLb1ELi1024ELi32ELb1EfPKffEviT5_lT_lS2_lS3_liPT6_PT4_,comdat
.Lfunc_end597:
	.size	_ZL18rocblas_dot_kernelIiLb1ELi1024ELi32ELb1EfPKffEviT5_lT_lS2_lS3_liPT6_PT4_, .Lfunc_end597-_ZL18rocblas_dot_kernelIiLb1ELi1024ELi32ELb1EfPKffEviT5_lT_lS2_lS3_liPT6_PT4_
                                        ; -- End function
	.section	.AMDGPU.csdata,"",@progbits
; Kernel info:
; codeLenInByte = 948
; NumSgprs: 28
; NumVgprs: 11
; NumAgprs: 0
; TotalNumVgprs: 11
; ScratchSize: 0
; MemoryBound: 0
; FloatMode: 240
; IeeeMode: 1
; LDSByteSize: 256 bytes/workgroup (compile time only)
; SGPRBlocks: 3
; VGPRBlocks: 1
; NumSGPRsForWavesPerEU: 28
; NumVGPRsForWavesPerEU: 11
; AccumOffset: 12
; Occupancy: 8
; WaveLimiterHint : 0
; COMPUTE_PGM_RSRC2:SCRATCH_EN: 0
; COMPUTE_PGM_RSRC2:USER_SGPR: 6
; COMPUTE_PGM_RSRC2:TRAP_HANDLER: 0
; COMPUTE_PGM_RSRC2:TGID_X_EN: 1
; COMPUTE_PGM_RSRC2:TGID_Y_EN: 0
; COMPUTE_PGM_RSRC2:TGID_Z_EN: 1
; COMPUTE_PGM_RSRC2:TIDIG_COMP_CNT: 0
; COMPUTE_PGM_RSRC3_GFX90A:ACCUM_OFFSET: 2
; COMPUTE_PGM_RSRC3_GFX90A:TG_SPLIT: 0
	.section	.text._ZL24rocblas_dot_kernel_magsqIiLb1ELi1024ELi32ELb1EfPKffEviT5_lT_liPT6_PT4_,"axG",@progbits,_ZL24rocblas_dot_kernel_magsqIiLb1ELi1024ELi32ELb1EfPKffEviT5_lT_liPT6_PT4_,comdat
	.globl	_ZL24rocblas_dot_kernel_magsqIiLb1ELi1024ELi32ELb1EfPKffEviT5_lT_liPT6_PT4_ ; -- Begin function _ZL24rocblas_dot_kernel_magsqIiLb1ELi1024ELi32ELb1EfPKffEviT5_lT_liPT6_PT4_
	.p2align	8
	.type	_ZL24rocblas_dot_kernel_magsqIiLb1ELi1024ELi32ELb1EfPKffEviT5_lT_liPT6_PT4_,@function
_ZL24rocblas_dot_kernel_magsqIiLb1ELi1024ELi32ELb1EfPKffEviT5_lT_liPT6_PT4_: ; @_ZL24rocblas_dot_kernel_magsqIiLb1ELi1024ELi32ELb1EfPKffEviT5_lT_liPT6_PT4_
; %bb.0:
	s_mov_b32 s2, s7
	s_load_dword s12, s[4:5], 0x0
	s_load_dwordx2 s[6:7], s[4:5], 0x38
	s_mov_b32 s3, 0
	v_mov_b32_e32 v1, 0
	s_waitcnt lgkmcnt(0)
	v_cmp_gt_i32_e32 vcc, s12, v0
	s_and_saveexec_b64 s[8:9], vcc
	s_cbranch_execz .LBB598_4
; %bb.1:
	s_load_dword s10, s[4:5], 0x40
	s_load_dwordx2 s[0:1], s[4:5], 0x20
	s_load_dwordx4 s[16:19], s[4:5], 0x8
	s_load_dword s11, s[4:5], 0x18
	s_waitcnt lgkmcnt(0)
	s_lshl_b32 s13, s10, 10
	s_mul_i32 s1, s1, s2
	s_mul_hi_u32 s4, s0, s2
	s_add_i32 s1, s4, s1
	s_mul_i32 s0, s0, s2
	v_mad_i64_i32 v[2:3], s[4:5], s11, v0, 0
	s_lshl_b64 s[0:1], s[0:1], 2
	s_lshl_b64 s[4:5], s[18:19], 2
	s_add_u32 s4, s16, s4
	s_addc_u32 s5, s17, s5
	s_add_u32 s0, s4, s0
	v_lshlrev_b64 v[2:3], 2, v[2:3]
	s_addc_u32 s1, s5, s1
	v_mov_b32_e32 v1, s1
	v_add_co_u32_e32 v2, vcc, s0, v2
	s_mul_hi_i32 s1, s11, s13
	s_mul_i32 s0, s11, s13
	s_lshl_b64 s[10:11], s[0:1], 2
	v_or_b32_e32 v4, s13, v0
	v_addc_co_u32_e32 v3, vcc, v1, v3, vcc
	s_mov_b64 s[4:5], 0
	v_mov_b32_e32 v1, 0
	v_mov_b32_e32 v5, s11
	s_mov_b32 s11, s3
.LBB598_2:                              ; =>This Inner Loop Header: Depth=1
	global_load_dword v6, v[2:3], off
	s_add_i32 s14, s11, 1
	v_add_co_u32_e64 v2, s[0:1], s10, v2
	v_addc_co_u32_e64 v3, s[0:1], v3, v5, s[0:1]
	s_cmp_gt_u32 s11, 30
	v_cmp_le_i32_e32 vcc, s12, v4
	s_cselect_b64 s[0:1], -1, 0
	s_or_b64 s[0:1], s[0:1], vcc
	s_and_b64 s[0:1], exec, s[0:1]
	v_add_u32_e32 v4, s13, v4
	s_mov_b32 s11, s14
	s_or_b64 s[4:5], s[0:1], s[4:5]
	s_waitcnt vmcnt(0)
	v_fmac_f32_e32 v1, v6, v6
	s_andn2_b64 exec, exec, s[4:5]
	s_cbranch_execnz .LBB598_2
; %bb.3:
	s_or_b64 exec, exec, s[4:5]
.LBB598_4:
	s_or_b64 exec, exec, s[8:9]
	v_and_b32_e32 v3, 63, v0
	v_cmp_gt_u32_e32 vcc, 64, v0
	v_lshlrev_b32_e32 v2, 2, v3
	s_and_saveexec_b64 s[0:1], vcc
	s_cbranch_execz .LBB598_6
; %bb.5:
	v_mov_b32_e32 v4, 0
	ds_write_b32 v2, v4
.LBB598_6:
	s_or_b64 exec, exec, s[0:1]
	v_mbcnt_lo_u32_b32 v4, -1, 0
	v_mbcnt_hi_u32_b32 v6, -1, v4
	v_and_b32_e32 v7, 63, v6
	v_cmp_gt_u32_e64 s[0:1], 32, v7
	v_cndmask_b32_e64 v4, 0, 1, s[0:1]
	v_lshlrev_b32_e32 v4, 5, v4
	v_add_lshl_u32 v4, v4, v6, 2
	ds_bpermute_b32 v4, v4, v1
	v_cmp_gt_u32_e64 s[0:1], 48, v7
	v_cndmask_b32_e64 v5, 0, 1, s[0:1]
	v_lshlrev_b32_e32 v5, 4, v5
	v_cmp_gt_u32_e64 s[0:1], 56, v7
	s_waitcnt lgkmcnt(0)
	v_add_f32_e32 v1, v1, v4
	v_add_lshl_u32 v4, v5, v6, 2
	ds_bpermute_b32 v4, v4, v1
	v_cndmask_b32_e64 v5, 0, 1, s[0:1]
	v_lshlrev_b32_e32 v5, 3, v5
	v_cmp_gt_u32_e64 s[0:1], 60, v7
	v_cndmask_b32_e64 v8, 0, 1, s[0:1]
	s_waitcnt lgkmcnt(0)
	v_add_f32_e32 v4, v1, v4
	v_add_lshl_u32 v1, v5, v6, 2
	ds_bpermute_b32 v5, v1, v4
	v_lshlrev_b32_e32 v8, 2, v8
	v_cmp_gt_u32_e64 s[0:1], 62, v7
	v_cndmask_b32_e64 v9, 0, 1, s[0:1]
	v_lshlrev_b32_e32 v9, 1, v9
	s_waitcnt lgkmcnt(0)
	v_add_f32_e32 v5, v4, v5
	v_add_lshl_u32 v4, v8, v6, 2
	ds_bpermute_b32 v8, v4, v5
	v_cmp_ne_u32_e64 s[0:1], 63, v7
	s_waitcnt lgkmcnt(0)
	s_barrier
	v_add_f32_e32 v8, v5, v8
	v_add_lshl_u32 v5, v9, v6, 2
	ds_bpermute_b32 v9, v5, v8
	v_addc_co_u32_e64 v6, s[0:1], 0, v6, s[0:1]
	v_lshlrev_b32_e32 v6, 2, v6
	v_cmp_eq_u32_e64 s[0:1], 0, v3
	s_waitcnt lgkmcnt(0)
	v_add_f32_e32 v7, v8, v9
	ds_bpermute_b32 v8, v6, v7
	s_and_saveexec_b64 s[4:5], s[0:1]
	s_cbranch_execz .LBB598_8
; %bb.7:
	s_waitcnt lgkmcnt(0)
	v_add_f32_e32 v3, v7, v8
	v_lshrrev_b32_e32 v7, 4, v0
	v_and_b32_e32 v7, 60, v7
	ds_write_b32 v7, v3
.LBB598_8:
	s_or_b64 exec, exec, s[4:5]
	v_cmp_gt_u32_e64 s[0:1], 16, v0
	v_mov_b32_e32 v3, 0
	s_waitcnt lgkmcnt(0)
	s_barrier
	s_and_saveexec_b64 s[4:5], s[0:1]
	s_cbranch_execnz .LBB598_12
; %bb.9:
	s_or_b64 exec, exec, s[4:5]
	s_and_saveexec_b64 s[0:1], vcc
	s_cbranch_execnz .LBB598_13
.LBB598_10:
	s_or_b64 exec, exec, s[0:1]
	v_cmp_eq_u32_e32 vcc, 0, v0
	s_and_saveexec_b64 s[0:1], vcc
	s_cbranch_execnz .LBB598_14
.LBB598_11:
	s_endpgm
.LBB598_12:
	ds_read_b32 v3, v2
	s_or_b64 exec, exec, s[4:5]
	s_and_saveexec_b64 s[0:1], vcc
	s_cbranch_execz .LBB598_10
.LBB598_13:
	s_waitcnt lgkmcnt(0)
	ds_bpermute_b32 v1, v1, v3
	s_waitcnt lgkmcnt(0)
	v_add_f32_e32 v1, v3, v1
	ds_bpermute_b32 v2, v4, v1
	s_waitcnt lgkmcnt(0)
	v_add_f32_e32 v1, v1, v2
	;; [unrolled: 3-line block ×4, first 2 shown]
	s_or_b64 exec, exec, s[0:1]
	v_cmp_eq_u32_e32 vcc, 0, v0
	s_and_saveexec_b64 s[0:1], vcc
	s_cbranch_execz .LBB598_11
.LBB598_14:
	s_lshl_b64 s[0:1], s[2:3], 2
	s_add_u32 s0, s6, s0
	s_addc_u32 s1, s7, s1
	v_mov_b32_e32 v0, 0
	s_waitcnt lgkmcnt(0)
	global_store_dword v0, v3, s[0:1]
	s_endpgm
	.section	.rodata,"a",@progbits
	.p2align	6, 0x0
	.amdhsa_kernel _ZL24rocblas_dot_kernel_magsqIiLb1ELi1024ELi32ELb1EfPKffEviT5_lT_liPT6_PT4_
		.amdhsa_group_segment_fixed_size 256
		.amdhsa_private_segment_fixed_size 0
		.amdhsa_kernarg_size 320
		.amdhsa_user_sgpr_count 6
		.amdhsa_user_sgpr_private_segment_buffer 1
		.amdhsa_user_sgpr_dispatch_ptr 0
		.amdhsa_user_sgpr_queue_ptr 0
		.amdhsa_user_sgpr_kernarg_segment_ptr 1
		.amdhsa_user_sgpr_dispatch_id 0
		.amdhsa_user_sgpr_flat_scratch_init 0
		.amdhsa_user_sgpr_kernarg_preload_length 0
		.amdhsa_user_sgpr_kernarg_preload_offset 0
		.amdhsa_user_sgpr_private_segment_size 0
		.amdhsa_uses_dynamic_stack 0
		.amdhsa_system_sgpr_private_segment_wavefront_offset 0
		.amdhsa_system_sgpr_workgroup_id_x 1
		.amdhsa_system_sgpr_workgroup_id_y 0
		.amdhsa_system_sgpr_workgroup_id_z 1
		.amdhsa_system_sgpr_workgroup_info 0
		.amdhsa_system_vgpr_workitem_id 0
		.amdhsa_next_free_vgpr 10
		.amdhsa_next_free_sgpr 20
		.amdhsa_accum_offset 12
		.amdhsa_reserve_vcc 1
		.amdhsa_reserve_flat_scratch 0
		.amdhsa_float_round_mode_32 0
		.amdhsa_float_round_mode_16_64 0
		.amdhsa_float_denorm_mode_32 3
		.amdhsa_float_denorm_mode_16_64 3
		.amdhsa_dx10_clamp 1
		.amdhsa_ieee_mode 1
		.amdhsa_fp16_overflow 0
		.amdhsa_tg_split 0
		.amdhsa_exception_fp_ieee_invalid_op 0
		.amdhsa_exception_fp_denorm_src 0
		.amdhsa_exception_fp_ieee_div_zero 0
		.amdhsa_exception_fp_ieee_overflow 0
		.amdhsa_exception_fp_ieee_underflow 0
		.amdhsa_exception_fp_ieee_inexact 0
		.amdhsa_exception_int_div_zero 0
	.end_amdhsa_kernel
	.section	.text._ZL24rocblas_dot_kernel_magsqIiLb1ELi1024ELi32ELb1EfPKffEviT5_lT_liPT6_PT4_,"axG",@progbits,_ZL24rocblas_dot_kernel_magsqIiLb1ELi1024ELi32ELb1EfPKffEviT5_lT_liPT6_PT4_,comdat
.Lfunc_end598:
	.size	_ZL24rocblas_dot_kernel_magsqIiLb1ELi1024ELi32ELb1EfPKffEviT5_lT_liPT6_PT4_, .Lfunc_end598-_ZL24rocblas_dot_kernel_magsqIiLb1ELi1024ELi32ELb1EfPKffEviT5_lT_liPT6_PT4_
                                        ; -- End function
	.section	.AMDGPU.csdata,"",@progbits
; Kernel info:
; codeLenInByte = 816
; NumSgprs: 24
; NumVgprs: 10
; NumAgprs: 0
; TotalNumVgprs: 10
; ScratchSize: 0
; MemoryBound: 0
; FloatMode: 240
; IeeeMode: 1
; LDSByteSize: 256 bytes/workgroup (compile time only)
; SGPRBlocks: 2
; VGPRBlocks: 1
; NumSGPRsForWavesPerEU: 24
; NumVGPRsForWavesPerEU: 10
; AccumOffset: 12
; Occupancy: 8
; WaveLimiterHint : 0
; COMPUTE_PGM_RSRC2:SCRATCH_EN: 0
; COMPUTE_PGM_RSRC2:USER_SGPR: 6
; COMPUTE_PGM_RSRC2:TRAP_HANDLER: 0
; COMPUTE_PGM_RSRC2:TGID_X_EN: 1
; COMPUTE_PGM_RSRC2:TGID_Y_EN: 0
; COMPUTE_PGM_RSRC2:TGID_Z_EN: 1
; COMPUTE_PGM_RSRC2:TIDIG_COMP_CNT: 0
; COMPUTE_PGM_RSRC3_GFX90A:ACCUM_OFFSET: 2
; COMPUTE_PGM_RSRC3_GFX90A:TG_SPLIT: 0
	.section	.text._ZL23rocblas_dot_kernel_inc1ILb0ELi512ELi4ELb1EfPKffEviT4_llS2_lliPT5_PT3_,"axG",@progbits,_ZL23rocblas_dot_kernel_inc1ILb0ELi512ELi4ELb1EfPKffEviT4_llS2_lliPT5_PT3_,comdat
	.globl	_ZL23rocblas_dot_kernel_inc1ILb0ELi512ELi4ELb1EfPKffEviT4_llS2_lliPT5_PT3_ ; -- Begin function _ZL23rocblas_dot_kernel_inc1ILb0ELi512ELi4ELb1EfPKffEviT4_llS2_lliPT5_PT3_
	.p2align	8
	.type	_ZL23rocblas_dot_kernel_inc1ILb0ELi512ELi4ELb1EfPKffEviT4_llS2_lliPT5_PT3_,@function
_ZL23rocblas_dot_kernel_inc1ILb0ELi512ELi4ELb1EfPKffEviT4_llS2_lliPT5_PT3_: ; @_ZL23rocblas_dot_kernel_inc1ILb0ELi512ELi4ELb1EfPKffEviT4_llS2_lliPT5_PT3_
; %bb.0:
	s_mov_b32 s2, s7
	s_load_dword s18, s[4:5], 0x50
	s_load_dword s7, s[4:5], 0x0
	s_load_dwordx4 s[8:11], s[4:5], 0x40
	v_lshl_or_b32 v2, s6, 9, v0
	s_mov_b32 s3, 0
	v_mov_b32_e32 v1, 0
	s_waitcnt lgkmcnt(0)
	v_cmp_gt_i32_e32 vcc, s7, v2
	s_and_saveexec_b64 s[12:13], vcc
	s_cbranch_execz .LBB599_4
; %bb.1:
	s_load_dwordx4 s[20:23], s[4:5], 0x10
	s_load_dwordx2 s[0:1], s[4:5], 0x8
	s_load_dwordx2 s[14:15], s[4:5], 0x20
	s_load_dwordx4 s[24:27], s[4:5], 0x28
	v_ashrrev_i32_e32 v3, 31, v2
	s_waitcnt lgkmcnt(0)
	s_mul_i32 s4, s2, s23
	s_mul_hi_u32 s5, s2, s22
	s_add_i32 s5, s5, s4
	s_mul_i32 s4, s2, s22
	s_lshl_b64 s[4:5], s[4:5], 2
	s_add_u32 s4, s0, s4
	s_addc_u32 s5, s1, s5
	s_lshl_b64 s[0:1], s[20:21], 2
	s_add_u32 s19, s4, s0
	s_addc_u32 s21, s5, s1
	s_mul_i32 s0, s2, s27
	s_mul_hi_u32 s1, s2, s26
	s_add_i32 s1, s1, s0
	s_mul_i32 s0, s2, s26
	s_lshl_b64 s[0:1], s[0:1], 2
	s_add_u32 s4, s14, s0
	s_addc_u32 s5, s15, s1
	s_lshl_b64 s[0:1], s[24:25], 2
	s_add_u32 s20, s4, s0
	s_addc_u32 s0, s5, s1
	s_lshl_b32 s4, s18, 9
	s_ashr_i32 s5, s4, 31
	s_lshl_b64 s[16:17], s[4:5], 2
	v_add_u32_e32 v4, s4, v2
	v_lshlrev_b64 v[2:3], 2, v[2:3]
	s_mov_b64 s[14:15], 0
	v_mov_b32_e32 v1, 0
	v_mov_b32_e32 v5, s0
	;; [unrolled: 1-line block ×4, first 2 shown]
	s_mov_b32 s5, s3
.LBB599_2:                              ; =>This Inner Loop Header: Depth=1
	v_add_co_u32_e32 v8, vcc, s20, v2
	v_addc_co_u32_e32 v9, vcc, v5, v3, vcc
	v_add_co_u32_e32 v10, vcc, s19, v2
	v_addc_co_u32_e32 v11, vcc, v6, v3, vcc
	global_load_dword v12, v[8:9], off
	global_load_dword v13, v[10:11], off
	s_add_i32 s17, s5, 1
	v_add_co_u32_e64 v2, s[0:1], s16, v2
	v_addc_co_u32_e64 v3, s[0:1], v3, v7, s[0:1]
	s_cmp_gt_u32 s5, 2
	v_cmp_le_i32_e32 vcc, s7, v4
	s_cselect_b64 s[0:1], -1, 0
	s_or_b64 s[0:1], s[0:1], vcc
	s_and_b64 s[0:1], exec, s[0:1]
	v_add_u32_e32 v4, s4, v4
	s_mov_b32 s5, s17
	s_or_b64 s[14:15], s[0:1], s[14:15]
	s_waitcnt vmcnt(0)
	v_fmac_f32_e32 v1, v12, v13
	s_andn2_b64 exec, exec, s[14:15]
	s_cbranch_execnz .LBB599_2
; %bb.3:
	s_or_b64 exec, exec, s[14:15]
.LBB599_4:
	s_or_b64 exec, exec, s[12:13]
	v_and_b32_e32 v3, 63, v0
	v_cmp_gt_u32_e32 vcc, 64, v0
	v_lshlrev_b32_e32 v2, 2, v3
	s_and_saveexec_b64 s[0:1], vcc
	s_cbranch_execz .LBB599_6
; %bb.5:
	v_mov_b32_e32 v4, 0
	ds_write_b32 v2, v4
.LBB599_6:
	s_or_b64 exec, exec, s[0:1]
	v_mbcnt_lo_u32_b32 v4, -1, 0
	v_mbcnt_hi_u32_b32 v6, -1, v4
	v_and_b32_e32 v7, 63, v6
	v_cmp_gt_u32_e64 s[0:1], 32, v7
	v_cndmask_b32_e64 v4, 0, 1, s[0:1]
	v_lshlrev_b32_e32 v4, 5, v4
	v_add_lshl_u32 v4, v4, v6, 2
	ds_bpermute_b32 v4, v4, v1
	v_cmp_gt_u32_e64 s[0:1], 48, v7
	v_cndmask_b32_e64 v5, 0, 1, s[0:1]
	v_lshlrev_b32_e32 v5, 4, v5
	v_cmp_gt_u32_e64 s[0:1], 56, v7
	s_waitcnt lgkmcnt(0)
	v_add_f32_e32 v1, v1, v4
	v_add_lshl_u32 v4, v5, v6, 2
	ds_bpermute_b32 v4, v4, v1
	v_cndmask_b32_e64 v5, 0, 1, s[0:1]
	v_lshlrev_b32_e32 v5, 3, v5
	v_cmp_gt_u32_e64 s[0:1], 60, v7
	s_waitcnt lgkmcnt(0)
	v_add_f32_e32 v1, v1, v4
	v_add_lshl_u32 v4, v5, v6, 2
	ds_bpermute_b32 v4, v4, v1
	v_cndmask_b32_e64 v5, 0, 1, s[0:1]
	v_lshlrev_b32_e32 v5, 2, v5
	v_cmp_gt_u32_e64 s[0:1], 62, v7
	v_cndmask_b32_e64 v8, 0, 1, s[0:1]
	s_waitcnt lgkmcnt(0)
	v_add_f32_e32 v1, v1, v4
	v_add_lshl_u32 v4, v5, v6, 2
	ds_bpermute_b32 v5, v4, v1
	v_lshlrev_b32_e32 v8, 1, v8
	v_cmp_ne_u32_e64 s[0:1], 63, v7
	s_barrier
	s_waitcnt lgkmcnt(0)
	v_add_f32_e32 v1, v1, v5
	v_add_lshl_u32 v5, v8, v6, 2
	ds_bpermute_b32 v8, v5, v1
	v_addc_co_u32_e64 v6, s[0:1], 0, v6, s[0:1]
	v_lshlrev_b32_e32 v6, 2, v6
	v_cmp_eq_u32_e64 s[0:1], 0, v3
	s_waitcnt lgkmcnt(0)
	v_add_f32_e32 v1, v1, v8
	ds_bpermute_b32 v7, v6, v1
	s_and_saveexec_b64 s[4:5], s[0:1]
	s_cbranch_execz .LBB599_8
; %bb.7:
	v_lshrrev_b32_e32 v3, 4, v0
	s_waitcnt lgkmcnt(0)
	v_add_f32_e32 v1, v1, v7
	v_and_b32_e32 v3, 28, v3
	ds_write_b32 v3, v1
.LBB599_8:
	s_or_b64 exec, exec, s[4:5]
	v_cmp_gt_u32_e64 s[0:1], 8, v0
	v_mov_b32_e32 v1, 0
	s_waitcnt lgkmcnt(0)
	s_barrier
	s_and_saveexec_b64 s[4:5], s[0:1]
	s_cbranch_execnz .LBB599_12
; %bb.9:
	s_or_b64 exec, exec, s[4:5]
	s_and_saveexec_b64 s[0:1], vcc
	s_cbranch_execnz .LBB599_13
.LBB599_10:
	s_or_b64 exec, exec, s[0:1]
	v_cmp_eq_u32_e32 vcc, 0, v0
	s_and_saveexec_b64 s[0:1], vcc
	s_cbranch_execnz .LBB599_14
.LBB599_11:
	s_endpgm
.LBB599_12:
	ds_read_b32 v1, v2
	s_or_b64 exec, exec, s[4:5]
	s_and_saveexec_b64 s[0:1], vcc
	s_cbranch_execz .LBB599_10
.LBB599_13:
	s_waitcnt lgkmcnt(0)
	ds_bpermute_b32 v2, v4, v1
	s_waitcnt lgkmcnt(0)
	v_add_f32_e32 v1, v1, v2
	ds_bpermute_b32 v2, v5, v1
	s_waitcnt lgkmcnt(0)
	v_add_f32_e32 v1, v1, v2
	;; [unrolled: 3-line block ×3, first 2 shown]
	s_or_b64 exec, exec, s[0:1]
	v_cmp_eq_u32_e32 vcc, 0, v0
	s_and_saveexec_b64 s[0:1], vcc
	s_cbranch_execz .LBB599_11
.LBB599_14:
	s_cmp_lg_u32 s18, 1
	s_cbranch_scc0 .LBB599_16
; %bb.15:
	s_mul_hi_u32 s1, s18, s2
	s_mul_i32 s0, s18, s2
	s_lshl_b64 s[0:1], s[0:1], 2
	s_mov_b32 s7, 0
	s_add_u32 s4, s8, s0
	s_addc_u32 s5, s9, s1
	s_lshl_b64 s[0:1], s[6:7], 2
	s_add_u32 s0, s4, s0
	s_addc_u32 s1, s5, s1
	s_cbranch_execz .LBB599_17
	s_branch .LBB599_18
.LBB599_16:
                                        ; implicit-def: $sgpr0_sgpr1
.LBB599_17:
	s_lshl_b64 s[0:1], s[2:3], 2
	s_add_u32 s0, s10, s0
	s_addc_u32 s1, s11, s1
.LBB599_18:
	v_mov_b32_e32 v0, 0
	s_waitcnt lgkmcnt(0)
	global_store_dword v0, v1, s[0:1]
	s_endpgm
	.section	.rodata,"a",@progbits
	.p2align	6, 0x0
	.amdhsa_kernel _ZL23rocblas_dot_kernel_inc1ILb0ELi512ELi4ELb1EfPKffEviT4_llS2_lliPT5_PT3_
		.amdhsa_group_segment_fixed_size 256
		.amdhsa_private_segment_fixed_size 0
		.amdhsa_kernarg_size 336
		.amdhsa_user_sgpr_count 6
		.amdhsa_user_sgpr_private_segment_buffer 1
		.amdhsa_user_sgpr_dispatch_ptr 0
		.amdhsa_user_sgpr_queue_ptr 0
		.amdhsa_user_sgpr_kernarg_segment_ptr 1
		.amdhsa_user_sgpr_dispatch_id 0
		.amdhsa_user_sgpr_flat_scratch_init 0
		.amdhsa_user_sgpr_kernarg_preload_length 0
		.amdhsa_user_sgpr_kernarg_preload_offset 0
		.amdhsa_user_sgpr_private_segment_size 0
		.amdhsa_uses_dynamic_stack 0
		.amdhsa_system_sgpr_private_segment_wavefront_offset 0
		.amdhsa_system_sgpr_workgroup_id_x 1
		.amdhsa_system_sgpr_workgroup_id_y 0
		.amdhsa_system_sgpr_workgroup_id_z 1
		.amdhsa_system_sgpr_workgroup_info 0
		.amdhsa_system_vgpr_workitem_id 0
		.amdhsa_next_free_vgpr 14
		.amdhsa_next_free_sgpr 28
		.amdhsa_accum_offset 16
		.amdhsa_reserve_vcc 1
		.amdhsa_reserve_flat_scratch 0
		.amdhsa_float_round_mode_32 0
		.amdhsa_float_round_mode_16_64 0
		.amdhsa_float_denorm_mode_32 3
		.amdhsa_float_denorm_mode_16_64 3
		.amdhsa_dx10_clamp 1
		.amdhsa_ieee_mode 1
		.amdhsa_fp16_overflow 0
		.amdhsa_tg_split 0
		.amdhsa_exception_fp_ieee_invalid_op 0
		.amdhsa_exception_fp_denorm_src 0
		.amdhsa_exception_fp_ieee_div_zero 0
		.amdhsa_exception_fp_ieee_overflow 0
		.amdhsa_exception_fp_ieee_underflow 0
		.amdhsa_exception_fp_ieee_inexact 0
		.amdhsa_exception_int_div_zero 0
	.end_amdhsa_kernel
	.section	.text._ZL23rocblas_dot_kernel_inc1ILb0ELi512ELi4ELb1EfPKffEviT4_llS2_lliPT5_PT3_,"axG",@progbits,_ZL23rocblas_dot_kernel_inc1ILb0ELi512ELi4ELb1EfPKffEviT4_llS2_lliPT5_PT3_,comdat
.Lfunc_end599:
	.size	_ZL23rocblas_dot_kernel_inc1ILb0ELi512ELi4ELb1EfPKffEviT4_llS2_lliPT5_PT3_, .Lfunc_end599-_ZL23rocblas_dot_kernel_inc1ILb0ELi512ELi4ELb1EfPKffEviT4_llS2_lliPT5_PT3_
                                        ; -- End function
	.section	.AMDGPU.csdata,"",@progbits
; Kernel info:
; codeLenInByte = 920
; NumSgprs: 32
; NumVgprs: 14
; NumAgprs: 0
; TotalNumVgprs: 14
; ScratchSize: 0
; MemoryBound: 0
; FloatMode: 240
; IeeeMode: 1
; LDSByteSize: 256 bytes/workgroup (compile time only)
; SGPRBlocks: 3
; VGPRBlocks: 1
; NumSGPRsForWavesPerEU: 32
; NumVGPRsForWavesPerEU: 14
; AccumOffset: 16
; Occupancy: 8
; WaveLimiterHint : 0
; COMPUTE_PGM_RSRC2:SCRATCH_EN: 0
; COMPUTE_PGM_RSRC2:USER_SGPR: 6
; COMPUTE_PGM_RSRC2:TRAP_HANDLER: 0
; COMPUTE_PGM_RSRC2:TGID_X_EN: 1
; COMPUTE_PGM_RSRC2:TGID_Y_EN: 0
; COMPUTE_PGM_RSRC2:TGID_Z_EN: 1
; COMPUTE_PGM_RSRC2:TIDIG_COMP_CNT: 0
; COMPUTE_PGM_RSRC3_GFX90A:ACCUM_OFFSET: 3
; COMPUTE_PGM_RSRC3_GFX90A:TG_SPLIT: 0
	.section	.text._ZL18rocblas_dot_kernelIiLb0ELi512ELi4ELb1EfPKffEviT5_lT_lS2_lS3_liPT6_PT4_,"axG",@progbits,_ZL18rocblas_dot_kernelIiLb0ELi512ELi4ELb1EfPKffEviT5_lT_lS2_lS3_liPT6_PT4_,comdat
	.globl	_ZL18rocblas_dot_kernelIiLb0ELi512ELi4ELb1EfPKffEviT5_lT_lS2_lS3_liPT6_PT4_ ; -- Begin function _ZL18rocblas_dot_kernelIiLb0ELi512ELi4ELb1EfPKffEviT5_lT_lS2_lS3_liPT6_PT4_
	.p2align	8
	.type	_ZL18rocblas_dot_kernelIiLb0ELi512ELi4ELb1EfPKffEviT5_lT_lS2_lS3_liPT6_PT4_,@function
_ZL18rocblas_dot_kernelIiLb0ELi512ELi4ELb1EfPKffEviT5_lT_lS2_lS3_liPT6_PT4_: ; @_ZL18rocblas_dot_kernelIiLb0ELi512ELi4ELb1EfPKffEviT5_lT_lS2_lS3_liPT6_PT4_
; %bb.0:
	s_mov_b32 s12, s7
	s_load_dword s18, s[4:5], 0x60
	s_load_dword s7, s[4:5], 0x0
	s_load_dwordx4 s[8:11], s[4:5], 0x50
	v_lshl_or_b32 v4, s6, 9, v0
	s_mov_b32 s13, 0
	v_mov_b32_e32 v6, 0
	s_waitcnt lgkmcnt(0)
	v_cmp_gt_i32_e32 vcc, s7, v4
	s_and_saveexec_b64 s[14:15], vcc
	s_cbranch_execz .LBB600_4
; %bb.1:
	s_load_dwordx4 s[20:23], s[4:5], 0x8
	s_load_dword s26, s[4:5], 0x18
	s_load_dwordx4 s[0:3], s[4:5], 0x20
	s_load_dwordx2 s[16:17], s[4:5], 0x30
	s_load_dword s27, s[4:5], 0x38
	s_load_dwordx2 s[24:25], s[4:5], 0x40
	s_waitcnt lgkmcnt(0)
	v_mad_i64_i32 v[2:3], s[4:5], s26, v4, 0
	s_mul_i32 s1, s1, s12
	s_mul_hi_u32 s4, s0, s12
	s_add_i32 s1, s4, s1
	s_mul_i32 s0, s0, s12
	s_lshl_b32 s19, s18, 9
	s_lshl_b64 s[0:1], s[0:1], 2
	s_lshl_b64 s[4:5], s[22:23], 2
	s_add_u32 s4, s20, s4
	s_addc_u32 s5, s21, s5
	s_add_u32 s0, s4, s0
	v_lshlrev_b64 v[2:3], 2, v[2:3]
	s_addc_u32 s1, s5, s1
	v_mov_b32_e32 v5, s1
	v_add_co_u32_e32 v2, vcc, s0, v2
	s_mul_hi_i32 s1, s26, s19
	s_mul_i32 s0, s26, s19
	v_add_u32_e32 v1, s19, v4
	v_addc_co_u32_e32 v3, vcc, v5, v3, vcc
	s_lshl_b64 s[4:5], s[0:1], 2
	v_mad_i64_i32 v[4:5], s[0:1], s27, v4, 0
	s_mul_i32 s0, s25, s12
	s_mul_hi_u32 s1, s24, s12
	s_add_i32 s1, s1, s0
	s_mul_i32 s0, s24, s12
	s_lshl_b64 s[0:1], s[0:1], 2
	s_lshl_b64 s[16:17], s[16:17], 2
	s_add_u32 s2, s2, s16
	s_addc_u32 s3, s3, s17
	s_add_u32 s0, s2, s0
	v_lshlrev_b64 v[4:5], 2, v[4:5]
	s_addc_u32 s1, s3, s1
	v_mov_b32_e32 v6, s1
	v_add_co_u32_e32 v4, vcc, s0, v4
	s_mul_hi_i32 s1, s27, s19
	s_mul_i32 s0, s27, s19
	s_lshl_b64 s[16:17], s[0:1], 2
	v_addc_co_u32_e32 v5, vcc, v6, v5, vcc
	s_mov_b64 s[2:3], 0
	v_mov_b32_e32 v6, 0
	v_mov_b32_e32 v7, s5
	;; [unrolled: 1-line block ×3, first 2 shown]
	s_mov_b32 s5, s13
.LBB600_2:                              ; =>This Inner Loop Header: Depth=1
	global_load_dword v9, v[4:5], off
	global_load_dword v10, v[2:3], off
	v_add_co_u32_e64 v2, s[0:1], s4, v2
	v_addc_co_u32_e64 v3, s[0:1], v3, v7, s[0:1]
	s_add_i32 s17, s5, 1
	v_add_co_u32_e64 v4, s[0:1], s16, v4
	v_addc_co_u32_e64 v5, s[0:1], v5, v8, s[0:1]
	s_cmp_gt_u32 s5, 2
	v_cmp_le_i32_e32 vcc, s7, v1
	s_cselect_b64 s[0:1], -1, 0
	s_or_b64 s[0:1], s[0:1], vcc
	s_and_b64 s[0:1], exec, s[0:1]
	v_add_u32_e32 v1, s19, v1
	s_mov_b32 s5, s17
	s_or_b64 s[2:3], s[0:1], s[2:3]
	s_waitcnt vmcnt(0)
	v_fmac_f32_e32 v6, v9, v10
	s_andn2_b64 exec, exec, s[2:3]
	s_cbranch_execnz .LBB600_2
; %bb.3:
	s_or_b64 exec, exec, s[2:3]
.LBB600_4:
	s_or_b64 exec, exec, s[14:15]
	v_and_b32_e32 v2, 63, v0
	v_cmp_gt_u32_e32 vcc, 64, v0
	v_lshlrev_b32_e32 v1, 2, v2
	s_and_saveexec_b64 s[0:1], vcc
	s_cbranch_execz .LBB600_6
; %bb.5:
	v_mov_b32_e32 v3, 0
	ds_write_b32 v1, v3
.LBB600_6:
	s_or_b64 exec, exec, s[0:1]
	v_mbcnt_lo_u32_b32 v3, -1, 0
	v_mbcnt_hi_u32_b32 v5, -1, v3
	v_and_b32_e32 v7, 63, v5
	v_cmp_gt_u32_e64 s[0:1], 32, v7
	v_cndmask_b32_e64 v3, 0, 1, s[0:1]
	v_lshlrev_b32_e32 v3, 5, v3
	v_add_lshl_u32 v3, v3, v5, 2
	ds_bpermute_b32 v3, v3, v6
	v_cmp_gt_u32_e64 s[0:1], 48, v7
	v_cndmask_b32_e64 v4, 0, 1, s[0:1]
	v_lshlrev_b32_e32 v4, 4, v4
	v_add_lshl_u32 v4, v4, v5, 2
	s_waitcnt lgkmcnt(0)
	v_add_f32_e32 v3, v6, v3
	ds_bpermute_b32 v4, v4, v3
	v_cmp_gt_u32_e64 s[0:1], 56, v7
	v_cndmask_b32_e64 v6, 0, 1, s[0:1]
	v_lshlrev_b32_e32 v6, 3, v6
	v_cmp_gt_u32_e64 s[0:1], 60, v7
	s_waitcnt lgkmcnt(0)
	v_add_f32_e32 v3, v3, v4
	v_add_lshl_u32 v4, v6, v5, 2
	ds_bpermute_b32 v4, v4, v3
	v_cndmask_b32_e64 v6, 0, 1, s[0:1]
	v_lshlrev_b32_e32 v6, 2, v6
	v_cmp_gt_u32_e64 s[0:1], 62, v7
	v_cndmask_b32_e64 v8, 0, 1, s[0:1]
	s_waitcnt lgkmcnt(0)
	v_add_f32_e32 v4, v3, v4
	v_add_lshl_u32 v3, v6, v5, 2
	ds_bpermute_b32 v6, v3, v4
	v_lshlrev_b32_e32 v8, 1, v8
	v_cmp_ne_u32_e64 s[0:1], 63, v7
	s_waitcnt lgkmcnt(0)
	s_barrier
	v_add_f32_e32 v6, v4, v6
	v_add_lshl_u32 v4, v8, v5, 2
	ds_bpermute_b32 v8, v4, v6
	v_addc_co_u32_e64 v5, s[0:1], 0, v5, s[0:1]
	v_lshlrev_b32_e32 v5, 2, v5
	v_cmp_eq_u32_e64 s[0:1], 0, v2
	s_waitcnt lgkmcnt(0)
	v_add_f32_e32 v6, v6, v8
	ds_bpermute_b32 v7, v5, v6
	s_waitcnt lgkmcnt(0)
	s_and_saveexec_b64 s[2:3], s[0:1]
	s_cbranch_execz .LBB600_8
; %bb.7:
	v_add_f32_e32 v2, v6, v7
	v_lshrrev_b32_e32 v6, 4, v0
	v_and_b32_e32 v6, 28, v6
	ds_write_b32 v6, v2
.LBB600_8:
	s_or_b64 exec, exec, s[2:3]
	v_cmp_gt_u32_e64 s[0:1], 8, v0
	v_mov_b32_e32 v2, 0
	s_waitcnt lgkmcnt(0)
	s_barrier
	s_and_saveexec_b64 s[2:3], s[0:1]
	s_cbranch_execnz .LBB600_12
; %bb.9:
	s_or_b64 exec, exec, s[2:3]
	s_and_saveexec_b64 s[0:1], vcc
	s_cbranch_execnz .LBB600_13
.LBB600_10:
	s_or_b64 exec, exec, s[0:1]
	v_cmp_eq_u32_e32 vcc, 0, v0
	s_and_saveexec_b64 s[0:1], vcc
	s_cbranch_execnz .LBB600_14
.LBB600_11:
	s_endpgm
.LBB600_12:
	ds_read_b32 v2, v1
	s_or_b64 exec, exec, s[2:3]
	s_and_saveexec_b64 s[0:1], vcc
	s_cbranch_execz .LBB600_10
.LBB600_13:
	s_waitcnt lgkmcnt(0)
	ds_bpermute_b32 v1, v3, v2
	s_waitcnt lgkmcnt(0)
	v_add_f32_e32 v1, v2, v1
	ds_bpermute_b32 v2, v4, v1
	s_waitcnt lgkmcnt(0)
	v_add_f32_e32 v1, v1, v2
	;; [unrolled: 3-line block ×3, first 2 shown]
	s_or_b64 exec, exec, s[0:1]
	v_cmp_eq_u32_e32 vcc, 0, v0
	s_and_saveexec_b64 s[0:1], vcc
	s_cbranch_execz .LBB600_11
.LBB600_14:
	s_cmp_lg_u32 s18, 1
	s_cbranch_scc0 .LBB600_16
; %bb.15:
	s_mul_hi_u32 s1, s18, s12
	s_mul_i32 s0, s18, s12
	s_lshl_b64 s[0:1], s[0:1], 2
	s_mov_b32 s7, 0
	s_add_u32 s2, s8, s0
	s_addc_u32 s3, s9, s1
	s_lshl_b64 s[0:1], s[6:7], 2
	s_add_u32 s0, s2, s0
	s_addc_u32 s1, s3, s1
	s_cbranch_execz .LBB600_17
	s_branch .LBB600_18
.LBB600_16:
                                        ; implicit-def: $sgpr0_sgpr1
.LBB600_17:
	s_lshl_b64 s[0:1], s[12:13], 2
	s_add_u32 s0, s10, s0
	s_addc_u32 s1, s11, s1
.LBB600_18:
	v_mov_b32_e32 v0, 0
	s_waitcnt lgkmcnt(0)
	global_store_dword v0, v2, s[0:1]
	s_endpgm
	.section	.rodata,"a",@progbits
	.p2align	6, 0x0
	.amdhsa_kernel _ZL18rocblas_dot_kernelIiLb0ELi512ELi4ELb1EfPKffEviT5_lT_lS2_lS3_liPT6_PT4_
		.amdhsa_group_segment_fixed_size 256
		.amdhsa_private_segment_fixed_size 0
		.amdhsa_kernarg_size 352
		.amdhsa_user_sgpr_count 6
		.amdhsa_user_sgpr_private_segment_buffer 1
		.amdhsa_user_sgpr_dispatch_ptr 0
		.amdhsa_user_sgpr_queue_ptr 0
		.amdhsa_user_sgpr_kernarg_segment_ptr 1
		.amdhsa_user_sgpr_dispatch_id 0
		.amdhsa_user_sgpr_flat_scratch_init 0
		.amdhsa_user_sgpr_kernarg_preload_length 0
		.amdhsa_user_sgpr_kernarg_preload_offset 0
		.amdhsa_user_sgpr_private_segment_size 0
		.amdhsa_uses_dynamic_stack 0
		.amdhsa_system_sgpr_private_segment_wavefront_offset 0
		.amdhsa_system_sgpr_workgroup_id_x 1
		.amdhsa_system_sgpr_workgroup_id_y 0
		.amdhsa_system_sgpr_workgroup_id_z 1
		.amdhsa_system_sgpr_workgroup_info 0
		.amdhsa_system_vgpr_workitem_id 0
		.amdhsa_next_free_vgpr 11
		.amdhsa_next_free_sgpr 28
		.amdhsa_accum_offset 12
		.amdhsa_reserve_vcc 1
		.amdhsa_reserve_flat_scratch 0
		.amdhsa_float_round_mode_32 0
		.amdhsa_float_round_mode_16_64 0
		.amdhsa_float_denorm_mode_32 3
		.amdhsa_float_denorm_mode_16_64 3
		.amdhsa_dx10_clamp 1
		.amdhsa_ieee_mode 1
		.amdhsa_fp16_overflow 0
		.amdhsa_tg_split 0
		.amdhsa_exception_fp_ieee_invalid_op 0
		.amdhsa_exception_fp_denorm_src 0
		.amdhsa_exception_fp_ieee_div_zero 0
		.amdhsa_exception_fp_ieee_overflow 0
		.amdhsa_exception_fp_ieee_underflow 0
		.amdhsa_exception_fp_ieee_inexact 0
		.amdhsa_exception_int_div_zero 0
	.end_amdhsa_kernel
	.section	.text._ZL18rocblas_dot_kernelIiLb0ELi512ELi4ELb1EfPKffEviT5_lT_lS2_lS3_liPT6_PT4_,"axG",@progbits,_ZL18rocblas_dot_kernelIiLb0ELi512ELi4ELb1EfPKffEviT5_lT_lS2_lS3_liPT6_PT4_,comdat
.Lfunc_end600:
	.size	_ZL18rocblas_dot_kernelIiLb0ELi512ELi4ELb1EfPKffEviT5_lT_lS2_lS3_liPT6_PT4_, .Lfunc_end600-_ZL18rocblas_dot_kernelIiLb0ELi512ELi4ELb1EfPKffEviT5_lT_lS2_lS3_liPT6_PT4_
                                        ; -- End function
	.section	.AMDGPU.csdata,"",@progbits
; Kernel info:
; codeLenInByte = 992
; NumSgprs: 32
; NumVgprs: 11
; NumAgprs: 0
; TotalNumVgprs: 11
; ScratchSize: 0
; MemoryBound: 0
; FloatMode: 240
; IeeeMode: 1
; LDSByteSize: 256 bytes/workgroup (compile time only)
; SGPRBlocks: 3
; VGPRBlocks: 1
; NumSGPRsForWavesPerEU: 32
; NumVGPRsForWavesPerEU: 11
; AccumOffset: 12
; Occupancy: 8
; WaveLimiterHint : 0
; COMPUTE_PGM_RSRC2:SCRATCH_EN: 0
; COMPUTE_PGM_RSRC2:USER_SGPR: 6
; COMPUTE_PGM_RSRC2:TRAP_HANDLER: 0
; COMPUTE_PGM_RSRC2:TGID_X_EN: 1
; COMPUTE_PGM_RSRC2:TGID_Y_EN: 0
; COMPUTE_PGM_RSRC2:TGID_Z_EN: 1
; COMPUTE_PGM_RSRC2:TIDIG_COMP_CNT: 0
; COMPUTE_PGM_RSRC3_GFX90A:ACCUM_OFFSET: 2
; COMPUTE_PGM_RSRC3_GFX90A:TG_SPLIT: 0
	.section	.text._ZL24rocblas_dot_kernel_magsqIiLb0ELi512ELi4ELb1EfPKffEviT5_lT_liPT6_PT4_,"axG",@progbits,_ZL24rocblas_dot_kernel_magsqIiLb0ELi512ELi4ELb1EfPKffEviT5_lT_liPT6_PT4_,comdat
	.globl	_ZL24rocblas_dot_kernel_magsqIiLb0ELi512ELi4ELb1EfPKffEviT5_lT_liPT6_PT4_ ; -- Begin function _ZL24rocblas_dot_kernel_magsqIiLb0ELi512ELi4ELb1EfPKffEviT5_lT_liPT6_PT4_
	.p2align	8
	.type	_ZL24rocblas_dot_kernel_magsqIiLb0ELi512ELi4ELb1EfPKffEviT5_lT_liPT6_PT4_,@function
_ZL24rocblas_dot_kernel_magsqIiLb0ELi512ELi4ELb1EfPKffEviT5_lT_liPT6_PT4_: ; @_ZL24rocblas_dot_kernel_magsqIiLb0ELi512ELi4ELb1EfPKffEviT5_lT_liPT6_PT4_
; %bb.0:
	s_mov_b32 s2, s7
	s_load_dword s7, s[4:5], 0x0
	s_load_dwordx4 s[8:11], s[4:5], 0x30
	s_load_dword s16, s[4:5], 0x40
	v_lshl_or_b32 v2, s6, 9, v0
	s_mov_b32 s3, 0
	s_waitcnt lgkmcnt(0)
	v_cmp_gt_i32_e32 vcc, s7, v2
	v_mov_b32_e32 v1, 0
	s_and_saveexec_b64 s[12:13], vcc
	s_cbranch_execz .LBB601_4
; %bb.1:
	s_load_dwordx4 s[20:23], s[4:5], 0x8
	s_load_dword s14, s[4:5], 0x18
	s_load_dwordx2 s[0:1], s[4:5], 0x20
	s_lshl_b32 s17, s16, 9
	v_add_u32_e32 v4, s17, v2
	s_waitcnt lgkmcnt(0)
	v_mad_i64_i32 v[2:3], s[4:5], s14, v2, 0
	s_mul_i32 s1, s1, s2
	s_mul_hi_u32 s4, s0, s2
	s_add_i32 s1, s4, s1
	s_mul_i32 s0, s0, s2
	s_lshl_b64 s[0:1], s[0:1], 2
	s_lshl_b64 s[4:5], s[22:23], 2
	s_add_u32 s4, s20, s4
	s_addc_u32 s5, s21, s5
	s_add_u32 s0, s4, s0
	v_lshlrev_b64 v[2:3], 2, v[2:3]
	s_addc_u32 s1, s5, s1
	v_mov_b32_e32 v1, s1
	v_add_co_u32_e32 v2, vcc, s0, v2
	s_mul_hi_i32 s1, s14, s17
	s_mul_i32 s0, s14, s17
	s_lshl_b64 s[14:15], s[0:1], 2
	v_addc_co_u32_e32 v3, vcc, v1, v3, vcc
	s_mov_b64 s[4:5], 0
	v_mov_b32_e32 v1, 0
	v_mov_b32_e32 v5, s15
	s_mov_b32 s15, s3
.LBB601_2:                              ; =>This Inner Loop Header: Depth=1
	global_load_dword v6, v[2:3], off
	s_add_i32 s18, s15, 1
	v_add_co_u32_e64 v2, s[0:1], s14, v2
	v_addc_co_u32_e64 v3, s[0:1], v3, v5, s[0:1]
	s_cmp_gt_u32 s15, 2
	v_cmp_le_i32_e32 vcc, s7, v4
	s_cselect_b64 s[0:1], -1, 0
	s_or_b64 s[0:1], s[0:1], vcc
	s_and_b64 s[0:1], exec, s[0:1]
	v_add_u32_e32 v4, s17, v4
	s_mov_b32 s15, s18
	s_or_b64 s[4:5], s[0:1], s[4:5]
	s_waitcnt vmcnt(0)
	v_fmac_f32_e32 v1, v6, v6
	s_andn2_b64 exec, exec, s[4:5]
	s_cbranch_execnz .LBB601_2
; %bb.3:
	s_or_b64 exec, exec, s[4:5]
.LBB601_4:
	s_or_b64 exec, exec, s[12:13]
	v_and_b32_e32 v3, 63, v0
	v_cmp_gt_u32_e32 vcc, 64, v0
	v_lshlrev_b32_e32 v2, 2, v3
	s_and_saveexec_b64 s[0:1], vcc
	s_cbranch_execz .LBB601_6
; %bb.5:
	v_mov_b32_e32 v4, 0
	ds_write_b32 v2, v4
.LBB601_6:
	s_or_b64 exec, exec, s[0:1]
	v_mbcnt_lo_u32_b32 v4, -1, 0
	v_mbcnt_hi_u32_b32 v6, -1, v4
	v_and_b32_e32 v7, 63, v6
	v_cmp_gt_u32_e64 s[0:1], 32, v7
	v_cndmask_b32_e64 v4, 0, 1, s[0:1]
	v_lshlrev_b32_e32 v4, 5, v4
	v_add_lshl_u32 v4, v4, v6, 2
	ds_bpermute_b32 v4, v4, v1
	v_cmp_gt_u32_e64 s[0:1], 48, v7
	v_cndmask_b32_e64 v5, 0, 1, s[0:1]
	v_lshlrev_b32_e32 v5, 4, v5
	v_cmp_gt_u32_e64 s[0:1], 56, v7
	s_waitcnt lgkmcnt(0)
	v_add_f32_e32 v1, v1, v4
	v_add_lshl_u32 v4, v5, v6, 2
	ds_bpermute_b32 v4, v4, v1
	v_cndmask_b32_e64 v5, 0, 1, s[0:1]
	v_lshlrev_b32_e32 v5, 3, v5
	v_cmp_gt_u32_e64 s[0:1], 60, v7
	s_waitcnt lgkmcnt(0)
	v_add_f32_e32 v1, v1, v4
	v_add_lshl_u32 v4, v5, v6, 2
	ds_bpermute_b32 v4, v4, v1
	v_cndmask_b32_e64 v5, 0, 1, s[0:1]
	v_lshlrev_b32_e32 v5, 2, v5
	v_cmp_gt_u32_e64 s[0:1], 62, v7
	v_cndmask_b32_e64 v8, 0, 1, s[0:1]
	s_waitcnt lgkmcnt(0)
	v_add_f32_e32 v1, v1, v4
	v_add_lshl_u32 v4, v5, v6, 2
	ds_bpermute_b32 v5, v4, v1
	v_lshlrev_b32_e32 v8, 1, v8
	v_cmp_ne_u32_e64 s[0:1], 63, v7
	s_barrier
	s_waitcnt lgkmcnt(0)
	v_add_f32_e32 v1, v1, v5
	v_add_lshl_u32 v5, v8, v6, 2
	ds_bpermute_b32 v8, v5, v1
	v_addc_co_u32_e64 v6, s[0:1], 0, v6, s[0:1]
	v_lshlrev_b32_e32 v6, 2, v6
	v_cmp_eq_u32_e64 s[0:1], 0, v3
	s_waitcnt lgkmcnt(0)
	v_add_f32_e32 v1, v1, v8
	ds_bpermute_b32 v7, v6, v1
	s_and_saveexec_b64 s[4:5], s[0:1]
	s_cbranch_execz .LBB601_8
; %bb.7:
	v_lshrrev_b32_e32 v3, 4, v0
	s_waitcnt lgkmcnt(0)
	v_add_f32_e32 v1, v1, v7
	v_and_b32_e32 v3, 28, v3
	ds_write_b32 v3, v1
.LBB601_8:
	s_or_b64 exec, exec, s[4:5]
	v_cmp_gt_u32_e64 s[0:1], 8, v0
	v_mov_b32_e32 v1, 0
	s_waitcnt lgkmcnt(0)
	s_barrier
	s_and_saveexec_b64 s[4:5], s[0:1]
	s_cbranch_execnz .LBB601_12
; %bb.9:
	s_or_b64 exec, exec, s[4:5]
	s_and_saveexec_b64 s[0:1], vcc
	s_cbranch_execnz .LBB601_13
.LBB601_10:
	s_or_b64 exec, exec, s[0:1]
	v_cmp_eq_u32_e32 vcc, 0, v0
	s_and_saveexec_b64 s[0:1], vcc
	s_cbranch_execnz .LBB601_14
.LBB601_11:
	s_endpgm
.LBB601_12:
	ds_read_b32 v1, v2
	s_or_b64 exec, exec, s[4:5]
	s_and_saveexec_b64 s[0:1], vcc
	s_cbranch_execz .LBB601_10
.LBB601_13:
	s_waitcnt lgkmcnt(0)
	ds_bpermute_b32 v2, v4, v1
	s_waitcnt lgkmcnt(0)
	v_add_f32_e32 v1, v1, v2
	ds_bpermute_b32 v2, v5, v1
	s_waitcnt lgkmcnt(0)
	v_add_f32_e32 v1, v1, v2
	;; [unrolled: 3-line block ×3, first 2 shown]
	s_or_b64 exec, exec, s[0:1]
	v_cmp_eq_u32_e32 vcc, 0, v0
	s_and_saveexec_b64 s[0:1], vcc
	s_cbranch_execz .LBB601_11
.LBB601_14:
	s_cmp_lg_u32 s16, 1
	s_cbranch_scc0 .LBB601_16
; %bb.15:
	s_mul_hi_u32 s1, s16, s2
	s_mul_i32 s0, s16, s2
	s_lshl_b64 s[0:1], s[0:1], 2
	s_mov_b32 s7, 0
	s_add_u32 s4, s8, s0
	s_addc_u32 s5, s9, s1
	s_lshl_b64 s[0:1], s[6:7], 2
	s_add_u32 s0, s4, s0
	s_addc_u32 s1, s5, s1
	s_cbranch_execz .LBB601_17
	s_branch .LBB601_18
.LBB601_16:
                                        ; implicit-def: $sgpr0_sgpr1
.LBB601_17:
	s_lshl_b64 s[0:1], s[2:3], 2
	s_add_u32 s0, s10, s0
	s_addc_u32 s1, s11, s1
.LBB601_18:
	v_mov_b32_e32 v0, 0
	s_waitcnt lgkmcnt(0)
	global_store_dword v0, v1, s[0:1]
	s_endpgm
	.section	.rodata,"a",@progbits
	.p2align	6, 0x0
	.amdhsa_kernel _ZL24rocblas_dot_kernel_magsqIiLb0ELi512ELi4ELb1EfPKffEviT5_lT_liPT6_PT4_
		.amdhsa_group_segment_fixed_size 256
		.amdhsa_private_segment_fixed_size 0
		.amdhsa_kernarg_size 320
		.amdhsa_user_sgpr_count 6
		.amdhsa_user_sgpr_private_segment_buffer 1
		.amdhsa_user_sgpr_dispatch_ptr 0
		.amdhsa_user_sgpr_queue_ptr 0
		.amdhsa_user_sgpr_kernarg_segment_ptr 1
		.amdhsa_user_sgpr_dispatch_id 0
		.amdhsa_user_sgpr_flat_scratch_init 0
		.amdhsa_user_sgpr_kernarg_preload_length 0
		.amdhsa_user_sgpr_kernarg_preload_offset 0
		.amdhsa_user_sgpr_private_segment_size 0
		.amdhsa_uses_dynamic_stack 0
		.amdhsa_system_sgpr_private_segment_wavefront_offset 0
		.amdhsa_system_sgpr_workgroup_id_x 1
		.amdhsa_system_sgpr_workgroup_id_y 0
		.amdhsa_system_sgpr_workgroup_id_z 1
		.amdhsa_system_sgpr_workgroup_info 0
		.amdhsa_system_vgpr_workitem_id 0
		.amdhsa_next_free_vgpr 9
		.amdhsa_next_free_sgpr 24
		.amdhsa_accum_offset 12
		.amdhsa_reserve_vcc 1
		.amdhsa_reserve_flat_scratch 0
		.amdhsa_float_round_mode_32 0
		.amdhsa_float_round_mode_16_64 0
		.amdhsa_float_denorm_mode_32 3
		.amdhsa_float_denorm_mode_16_64 3
		.amdhsa_dx10_clamp 1
		.amdhsa_ieee_mode 1
		.amdhsa_fp16_overflow 0
		.amdhsa_tg_split 0
		.amdhsa_exception_fp_ieee_invalid_op 0
		.amdhsa_exception_fp_denorm_src 0
		.amdhsa_exception_fp_ieee_div_zero 0
		.amdhsa_exception_fp_ieee_overflow 0
		.amdhsa_exception_fp_ieee_underflow 0
		.amdhsa_exception_fp_ieee_inexact 0
		.amdhsa_exception_int_div_zero 0
	.end_amdhsa_kernel
	.section	.text._ZL24rocblas_dot_kernel_magsqIiLb0ELi512ELi4ELb1EfPKffEviT5_lT_liPT6_PT4_,"axG",@progbits,_ZL24rocblas_dot_kernel_magsqIiLb0ELi512ELi4ELb1EfPKffEviT5_lT_liPT6_PT4_,comdat
.Lfunc_end601:
	.size	_ZL24rocblas_dot_kernel_magsqIiLb0ELi512ELi4ELb1EfPKffEviT5_lT_liPT6_PT4_, .Lfunc_end601-_ZL24rocblas_dot_kernel_magsqIiLb0ELi512ELi4ELb1EfPKffEviT5_lT_liPT6_PT4_
                                        ; -- End function
	.section	.AMDGPU.csdata,"",@progbits
; Kernel info:
; codeLenInByte = 860
; NumSgprs: 28
; NumVgprs: 9
; NumAgprs: 0
; TotalNumVgprs: 9
; ScratchSize: 0
; MemoryBound: 0
; FloatMode: 240
; IeeeMode: 1
; LDSByteSize: 256 bytes/workgroup (compile time only)
; SGPRBlocks: 3
; VGPRBlocks: 1
; NumSGPRsForWavesPerEU: 28
; NumVGPRsForWavesPerEU: 9
; AccumOffset: 12
; Occupancy: 8
; WaveLimiterHint : 0
; COMPUTE_PGM_RSRC2:SCRATCH_EN: 0
; COMPUTE_PGM_RSRC2:USER_SGPR: 6
; COMPUTE_PGM_RSRC2:TRAP_HANDLER: 0
; COMPUTE_PGM_RSRC2:TGID_X_EN: 1
; COMPUTE_PGM_RSRC2:TGID_Y_EN: 0
; COMPUTE_PGM_RSRC2:TGID_Z_EN: 1
; COMPUTE_PGM_RSRC2:TIDIG_COMP_CNT: 0
; COMPUTE_PGM_RSRC3_GFX90A:ACCUM_OFFSET: 2
; COMPUTE_PGM_RSRC3_GFX90A:TG_SPLIT: 0
	.section	.text._ZL28rocblas_dot_batched_4_kernelIlLi32ELi4ELb1EffPKfEviT5_lT_lS2_lS3_liPT4_,"axG",@progbits,_ZL28rocblas_dot_batched_4_kernelIlLi32ELi4ELb1EffPKfEviT5_lT_lS2_lS3_liPT4_,comdat
	.globl	_ZL28rocblas_dot_batched_4_kernelIlLi32ELi4ELb1EffPKfEviT5_lT_lS2_lS3_liPT4_ ; -- Begin function _ZL28rocblas_dot_batched_4_kernelIlLi32ELi4ELb1EffPKfEviT5_lT_lS2_lS3_liPT4_
	.p2align	8
	.type	_ZL28rocblas_dot_batched_4_kernelIlLi32ELi4ELb1EffPKfEviT5_lT_lS2_lS3_liPT4_,@function
_ZL28rocblas_dot_batched_4_kernelIlLi32ELi4ELb1EffPKfEviT5_lT_lS2_lS3_liPT4_: ; @_ZL28rocblas_dot_batched_4_kernelIlLi32ELi4ELb1EffPKfEviT5_lT_lS2_lS3_liPT4_
; %bb.0:
	s_load_dword s0, s[4:5], 0x48
	v_bfe_u32 v1, v0, 10, 10
	v_lshl_add_u32 v2, s6, 2, v1
	s_waitcnt lgkmcnt(0)
	v_cmp_gt_u32_e32 vcc, s0, v2
	s_and_saveexec_b64 s[0:1], vcc
	s_cbranch_execz .LBB602_7
; %bb.1:
	s_load_dword s16, s[4:5], 0x0
	s_load_dwordx2 s[0:1], s[4:5], 0x50
	v_mov_b32_e32 v3, 0
	v_and_b32_e32 v6, 0x3ff, v0
	v_mov_b32_e32 v7, v3
	s_waitcnt lgkmcnt(0)
	v_cmp_gt_i32_e32 vcc, s16, v6
	s_and_saveexec_b64 s[2:3], vcc
	s_cbranch_execz .LBB602_5
; %bb.2:
	s_load_dwordx4 s[20:23], s[4:5], 0x10
	s_load_dwordx2 s[6:7], s[4:5], 0x8
	s_load_dwordx8 s[8:15], s[4:5], 0x20
	s_load_dwordx2 s[18:19], s[4:5], 0x40
	s_waitcnt lgkmcnt(0)
	v_mad_u64_u32 v[0:1], s[4:5], s22, v6, 0
	v_mov_b32_e32 v4, v1
	v_mad_u64_u32 v[4:5], s[4:5], s23, v6, v[4:5]
	v_mov_b32_e32 v1, v4
	;; [unrolled: 2-line block ×4, first 2 shown]
	v_lshlrev_b64 v[0:1], 2, v[0:1]
	v_lshlrev_b64 v[4:5], 2, v[4:5]
	s_lshl_b64 s[4:5], s[20:21], 2
	v_add_co_u32_e32 v0, vcc, v0, v4
	s_add_u32 s4, s6, s4
	v_addc_co_u32_e32 v1, vcc, v1, v5, vcc
	s_addc_u32 s5, s7, s5
	v_mov_b32_e32 v4, s5
	v_add_co_u32_e32 v0, vcc, s4, v0
	v_addc_co_u32_e32 v1, vcc, v4, v1, vcc
	v_mad_u64_u32 v[4:5], s[6:7], s14, v6, 0
	v_mov_b32_e32 v8, v5
	v_mad_u64_u32 v[8:9], s[6:7], s15, v6, v[8:9]
	v_mov_b32_e32 v5, v8
	;; [unrolled: 2-line block ×4, first 2 shown]
	s_lshl_b64 s[4:5], s[22:23], 7
	v_lshlrev_b64 v[4:5], 2, v[4:5]
	v_lshlrev_b64 v[8:9], 2, v[8:9]
	s_lshl_b64 s[6:7], s[12:13], 2
	v_add_co_u32_e32 v4, vcc, v4, v8
	s_add_u32 s6, s10, s6
	v_addc_co_u32_e32 v5, vcc, v5, v9, vcc
	s_addc_u32 s7, s11, s7
	v_mov_b32_e32 v7, s7
	v_add_co_u32_e32 v4, vcc, s6, v4
	s_lshl_b64 s[8:9], s[14:15], 7
	v_addc_co_u32_e32 v5, vcc, v7, v5, vcc
	s_mov_b64 s[6:7], 0
	v_mov_b32_e32 v7, 0
	v_mov_b32_e32 v8, s5
	;; [unrolled: 1-line block ×4, first 2 shown]
.LBB602_3:                              ; =>This Inner Loop Header: Depth=1
	global_load_dword v11, v[0:1], off
	global_load_dword v12, v[4:5], off
	v_add_co_u32_e32 v0, vcc, s4, v0
	v_addc_co_u32_e32 v1, vcc, v1, v8, vcc
	v_add_co_u32_e32 v4, vcc, s8, v4
	v_add_u32_e32 v10, 32, v10
	v_addc_co_u32_e32 v5, vcc, v5, v9, vcc
	v_cmp_le_i32_e32 vcc, s16, v10
	s_or_b64 s[6:7], vcc, s[6:7]
	s_waitcnt vmcnt(0)
	v_fmac_f32_e32 v7, v11, v12
	s_andn2_b64 exec, exec, s[6:7]
	s_cbranch_execnz .LBB602_3
; %bb.4:
	s_or_b64 exec, exec, s[6:7]
.LBB602_5:
	s_or_b64 exec, exec, s[2:3]
	v_mbcnt_lo_u32_b32 v0, -1, 0
	v_mbcnt_hi_u32_b32 v0, -1, v0
	v_and_b32_e32 v1, 63, v0
	v_cmp_gt_u32_e32 vcc, 48, v1
	v_cndmask_b32_e64 v4, 0, 1, vcc
	v_lshlrev_b32_e32 v4, 4, v4
	v_add_lshl_u32 v4, v4, v0, 2
	ds_bpermute_b32 v4, v4, v7
	v_cmp_gt_u32_e32 vcc, 56, v1
	v_cndmask_b32_e64 v5, 0, 1, vcc
	v_lshlrev_b32_e32 v5, 3, v5
	v_add_lshl_u32 v5, v5, v0, 2
	s_waitcnt lgkmcnt(0)
	v_add_f32_e32 v4, v7, v4
	ds_bpermute_b32 v5, v5, v4
	v_cmp_gt_u32_e32 vcc, 60, v1
	v_cndmask_b32_e64 v7, 0, 1, vcc
	v_lshlrev_b32_e32 v7, 2, v7
	v_cmp_gt_u32_e32 vcc, 62, v1
	s_waitcnt lgkmcnt(0)
	v_add_f32_e32 v4, v4, v5
	v_add_lshl_u32 v5, v7, v0, 2
	ds_bpermute_b32 v5, v5, v4
	v_cndmask_b32_e64 v7, 0, 1, vcc
	v_lshlrev_b32_e32 v7, 1, v7
	v_cmp_ne_u32_e32 vcc, 63, v1
	v_addc_co_u32_e32 v1, vcc, 0, v0, vcc
	s_waitcnt lgkmcnt(0)
	v_add_f32_e32 v4, v4, v5
	v_add_lshl_u32 v5, v7, v0, 2
	ds_bpermute_b32 v5, v5, v4
	v_lshlrev_b32_e32 v1, 2, v1
	v_cmp_eq_u32_e32 vcc, 0, v6
	s_waitcnt lgkmcnt(0)
	s_barrier
	v_add_f32_e32 v0, v4, v5
	ds_bpermute_b32 v1, v1, v0
	s_waitcnt lgkmcnt(0)
	s_and_b64 exec, exec, vcc
	s_cbranch_execz .LBB602_7
; %bb.6:
	v_lshlrev_b64 v[2:3], 2, v[2:3]
	v_mov_b32_e32 v4, s1
	v_add_co_u32_e32 v2, vcc, s0, v2
	v_addc_co_u32_e32 v3, vcc, v4, v3, vcc
	v_add_f32_e32 v0, v0, v1
	global_store_dword v[2:3], v0, off
.LBB602_7:
	s_endpgm
	.section	.rodata,"a",@progbits
	.p2align	6, 0x0
	.amdhsa_kernel _ZL28rocblas_dot_batched_4_kernelIlLi32ELi4ELb1EffPKfEviT5_lT_lS2_lS3_liPT4_
		.amdhsa_group_segment_fixed_size 0
		.amdhsa_private_segment_fixed_size 0
		.amdhsa_kernarg_size 88
		.amdhsa_user_sgpr_count 6
		.amdhsa_user_sgpr_private_segment_buffer 1
		.amdhsa_user_sgpr_dispatch_ptr 0
		.amdhsa_user_sgpr_queue_ptr 0
		.amdhsa_user_sgpr_kernarg_segment_ptr 1
		.amdhsa_user_sgpr_dispatch_id 0
		.amdhsa_user_sgpr_flat_scratch_init 0
		.amdhsa_user_sgpr_kernarg_preload_length 0
		.amdhsa_user_sgpr_kernarg_preload_offset 0
		.amdhsa_user_sgpr_private_segment_size 0
		.amdhsa_uses_dynamic_stack 0
		.amdhsa_system_sgpr_private_segment_wavefront_offset 0
		.amdhsa_system_sgpr_workgroup_id_x 1
		.amdhsa_system_sgpr_workgroup_id_y 0
		.amdhsa_system_sgpr_workgroup_id_z 0
		.amdhsa_system_sgpr_workgroup_info 0
		.amdhsa_system_vgpr_workitem_id 1
		.amdhsa_next_free_vgpr 13
		.amdhsa_next_free_sgpr 24
		.amdhsa_accum_offset 16
		.amdhsa_reserve_vcc 1
		.amdhsa_reserve_flat_scratch 0
		.amdhsa_float_round_mode_32 0
		.amdhsa_float_round_mode_16_64 0
		.amdhsa_float_denorm_mode_32 3
		.amdhsa_float_denorm_mode_16_64 3
		.amdhsa_dx10_clamp 1
		.amdhsa_ieee_mode 1
		.amdhsa_fp16_overflow 0
		.amdhsa_tg_split 0
		.amdhsa_exception_fp_ieee_invalid_op 0
		.amdhsa_exception_fp_denorm_src 0
		.amdhsa_exception_fp_ieee_div_zero 0
		.amdhsa_exception_fp_ieee_overflow 0
		.amdhsa_exception_fp_ieee_underflow 0
		.amdhsa_exception_fp_ieee_inexact 0
		.amdhsa_exception_int_div_zero 0
	.end_amdhsa_kernel
	.section	.text._ZL28rocblas_dot_batched_4_kernelIlLi32ELi4ELb1EffPKfEviT5_lT_lS2_lS3_liPT4_,"axG",@progbits,_ZL28rocblas_dot_batched_4_kernelIlLi32ELi4ELb1EffPKfEviT5_lT_lS2_lS3_liPT4_,comdat
.Lfunc_end602:
	.size	_ZL28rocblas_dot_batched_4_kernelIlLi32ELi4ELb1EffPKfEviT5_lT_lS2_lS3_liPT4_, .Lfunc_end602-_ZL28rocblas_dot_batched_4_kernelIlLi32ELi4ELb1EffPKfEviT5_lT_lS2_lS3_liPT4_
                                        ; -- End function
	.section	.AMDGPU.csdata,"",@progbits
; Kernel info:
; codeLenInByte = 668
; NumSgprs: 28
; NumVgprs: 13
; NumAgprs: 0
; TotalNumVgprs: 13
; ScratchSize: 0
; MemoryBound: 0
; FloatMode: 240
; IeeeMode: 1
; LDSByteSize: 0 bytes/workgroup (compile time only)
; SGPRBlocks: 3
; VGPRBlocks: 1
; NumSGPRsForWavesPerEU: 28
; NumVGPRsForWavesPerEU: 13
; AccumOffset: 16
; Occupancy: 8
; WaveLimiterHint : 0
; COMPUTE_PGM_RSRC2:SCRATCH_EN: 0
; COMPUTE_PGM_RSRC2:USER_SGPR: 6
; COMPUTE_PGM_RSRC2:TRAP_HANDLER: 0
; COMPUTE_PGM_RSRC2:TGID_X_EN: 1
; COMPUTE_PGM_RSRC2:TGID_Y_EN: 0
; COMPUTE_PGM_RSRC2:TGID_Z_EN: 0
; COMPUTE_PGM_RSRC2:TIDIG_COMP_CNT: 1
; COMPUTE_PGM_RSRC3_GFX90A:ACCUM_OFFSET: 3
; COMPUTE_PGM_RSRC3_GFX90A:TG_SPLIT: 0
	.section	.text._ZL28rocblas_dot_batched_4_kernelIlLi64ELi4ELb1EffPKfEviT5_lT_lS2_lS3_liPT4_,"axG",@progbits,_ZL28rocblas_dot_batched_4_kernelIlLi64ELi4ELb1EffPKfEviT5_lT_lS2_lS3_liPT4_,comdat
	.globl	_ZL28rocblas_dot_batched_4_kernelIlLi64ELi4ELb1EffPKfEviT5_lT_lS2_lS3_liPT4_ ; -- Begin function _ZL28rocblas_dot_batched_4_kernelIlLi64ELi4ELb1EffPKfEviT5_lT_lS2_lS3_liPT4_
	.p2align	8
	.type	_ZL28rocblas_dot_batched_4_kernelIlLi64ELi4ELb1EffPKfEviT5_lT_lS2_lS3_liPT4_,@function
_ZL28rocblas_dot_batched_4_kernelIlLi64ELi4ELb1EffPKfEviT5_lT_lS2_lS3_liPT4_: ; @_ZL28rocblas_dot_batched_4_kernelIlLi64ELi4ELb1EffPKfEviT5_lT_lS2_lS3_liPT4_
; %bb.0:
	s_load_dword s0, s[4:5], 0x48
	v_bfe_u32 v1, v0, 10, 10
	v_lshl_add_u32 v2, s6, 2, v1
	s_waitcnt lgkmcnt(0)
	v_cmp_gt_u32_e32 vcc, s0, v2
	s_and_saveexec_b64 s[0:1], vcc
	s_cbranch_execz .LBB603_7
; %bb.1:
	s_load_dword s16, s[4:5], 0x0
	s_load_dwordx2 s[0:1], s[4:5], 0x50
	v_mov_b32_e32 v3, 0
	v_and_b32_e32 v6, 0x3ff, v0
	v_mov_b32_e32 v7, v3
	s_waitcnt lgkmcnt(0)
	v_cmp_gt_i32_e32 vcc, s16, v6
	s_and_saveexec_b64 s[2:3], vcc
	s_cbranch_execz .LBB603_5
; %bb.2:
	s_load_dwordx4 s[20:23], s[4:5], 0x10
	s_load_dwordx2 s[6:7], s[4:5], 0x8
	s_load_dwordx8 s[8:15], s[4:5], 0x20
	s_load_dwordx2 s[18:19], s[4:5], 0x40
	s_waitcnt lgkmcnt(0)
	v_mad_u64_u32 v[0:1], s[4:5], s22, v6, 0
	v_mov_b32_e32 v4, v1
	v_mad_u64_u32 v[4:5], s[4:5], s23, v6, v[4:5]
	v_mov_b32_e32 v1, v4
	;; [unrolled: 2-line block ×4, first 2 shown]
	v_lshlrev_b64 v[0:1], 2, v[0:1]
	v_lshlrev_b64 v[4:5], 2, v[4:5]
	s_lshl_b64 s[4:5], s[20:21], 2
	v_add_co_u32_e32 v0, vcc, v0, v4
	s_add_u32 s4, s6, s4
	v_addc_co_u32_e32 v1, vcc, v1, v5, vcc
	s_addc_u32 s5, s7, s5
	v_mov_b32_e32 v4, s5
	v_add_co_u32_e32 v0, vcc, s4, v0
	v_addc_co_u32_e32 v1, vcc, v4, v1, vcc
	v_mad_u64_u32 v[4:5], s[6:7], s14, v6, 0
	v_mov_b32_e32 v8, v5
	v_mad_u64_u32 v[8:9], s[6:7], s15, v6, v[8:9]
	v_mov_b32_e32 v5, v8
	;; [unrolled: 2-line block ×4, first 2 shown]
	s_lshl_b64 s[4:5], s[22:23], 8
	v_lshlrev_b64 v[4:5], 2, v[4:5]
	v_lshlrev_b64 v[8:9], 2, v[8:9]
	s_lshl_b64 s[6:7], s[12:13], 2
	v_add_co_u32_e32 v4, vcc, v4, v8
	s_add_u32 s6, s10, s6
	v_addc_co_u32_e32 v5, vcc, v5, v9, vcc
	s_addc_u32 s7, s11, s7
	v_mov_b32_e32 v7, s7
	v_add_co_u32_e32 v4, vcc, s6, v4
	s_lshl_b64 s[8:9], s[14:15], 8
	v_addc_co_u32_e32 v5, vcc, v7, v5, vcc
	s_mov_b64 s[6:7], 0
	v_mov_b32_e32 v7, 0
	v_mov_b32_e32 v8, s5
	v_mov_b32_e32 v9, s9
	v_mov_b32_e32 v10, v6
.LBB603_3:                              ; =>This Inner Loop Header: Depth=1
	global_load_dword v11, v[0:1], off
	global_load_dword v12, v[4:5], off
	v_add_co_u32_e32 v0, vcc, s4, v0
	v_addc_co_u32_e32 v1, vcc, v1, v8, vcc
	v_add_co_u32_e32 v4, vcc, s8, v4
	v_add_u32_e32 v10, 64, v10
	v_addc_co_u32_e32 v5, vcc, v5, v9, vcc
	v_cmp_le_i32_e32 vcc, s16, v10
	s_or_b64 s[6:7], vcc, s[6:7]
	s_waitcnt vmcnt(0)
	v_fmac_f32_e32 v7, v11, v12
	s_andn2_b64 exec, exec, s[6:7]
	s_cbranch_execnz .LBB603_3
; %bb.4:
	s_or_b64 exec, exec, s[6:7]
.LBB603_5:
	s_or_b64 exec, exec, s[2:3]
	v_mbcnt_lo_u32_b32 v0, -1, 0
	v_mbcnt_hi_u32_b32 v0, -1, v0
	v_and_b32_e32 v1, 63, v0
	v_cmp_gt_u32_e32 vcc, 32, v1
	v_cndmask_b32_e64 v4, 0, 1, vcc
	v_lshlrev_b32_e32 v4, 5, v4
	v_add_lshl_u32 v4, v4, v0, 2
	ds_bpermute_b32 v4, v4, v7
	v_cmp_gt_u32_e32 vcc, 48, v1
	v_cndmask_b32_e64 v5, 0, 1, vcc
	v_lshlrev_b32_e32 v5, 4, v5
	v_add_lshl_u32 v5, v5, v0, 2
	s_waitcnt lgkmcnt(0)
	v_add_f32_e32 v4, v7, v4
	ds_bpermute_b32 v5, v5, v4
	v_cmp_gt_u32_e32 vcc, 56, v1
	v_cndmask_b32_e64 v7, 0, 1, vcc
	v_lshlrev_b32_e32 v7, 3, v7
	v_cmp_gt_u32_e32 vcc, 60, v1
	s_waitcnt lgkmcnt(0)
	v_add_f32_e32 v4, v4, v5
	v_add_lshl_u32 v5, v7, v0, 2
	ds_bpermute_b32 v5, v5, v4
	v_cndmask_b32_e64 v7, 0, 1, vcc
	v_lshlrev_b32_e32 v7, 2, v7
	v_cmp_gt_u32_e32 vcc, 62, v1
	s_waitcnt lgkmcnt(0)
	v_add_f32_e32 v4, v4, v5
	v_add_lshl_u32 v5, v7, v0, 2
	ds_bpermute_b32 v5, v5, v4
	v_cndmask_b32_e64 v7, 0, 1, vcc
	v_lshlrev_b32_e32 v7, 1, v7
	v_cmp_ne_u32_e32 vcc, 63, v1
	v_addc_co_u32_e32 v1, vcc, 0, v0, vcc
	s_waitcnt lgkmcnt(0)
	v_add_f32_e32 v4, v4, v5
	v_add_lshl_u32 v5, v7, v0, 2
	ds_bpermute_b32 v5, v5, v4
	v_lshlrev_b32_e32 v1, 2, v1
	v_cmp_eq_u32_e32 vcc, 0, v6
	s_barrier
	s_waitcnt lgkmcnt(0)
	v_add_f32_e32 v0, v4, v5
	ds_bpermute_b32 v1, v1, v0
	s_and_b64 exec, exec, vcc
	s_cbranch_execz .LBB603_7
; %bb.6:
	v_lshlrev_b64 v[2:3], 2, v[2:3]
	v_mov_b32_e32 v4, s1
	v_add_co_u32_e32 v2, vcc, s0, v2
	v_addc_co_u32_e32 v3, vcc, v4, v3, vcc
	s_waitcnt lgkmcnt(0)
	v_add_f32_e32 v0, v0, v1
	global_store_dword v[2:3], v0, off
.LBB603_7:
	s_endpgm
	.section	.rodata,"a",@progbits
	.p2align	6, 0x0
	.amdhsa_kernel _ZL28rocblas_dot_batched_4_kernelIlLi64ELi4ELb1EffPKfEviT5_lT_lS2_lS3_liPT4_
		.amdhsa_group_segment_fixed_size 0
		.amdhsa_private_segment_fixed_size 0
		.amdhsa_kernarg_size 88
		.amdhsa_user_sgpr_count 6
		.amdhsa_user_sgpr_private_segment_buffer 1
		.amdhsa_user_sgpr_dispatch_ptr 0
		.amdhsa_user_sgpr_queue_ptr 0
		.amdhsa_user_sgpr_kernarg_segment_ptr 1
		.amdhsa_user_sgpr_dispatch_id 0
		.amdhsa_user_sgpr_flat_scratch_init 0
		.amdhsa_user_sgpr_kernarg_preload_length 0
		.amdhsa_user_sgpr_kernarg_preload_offset 0
		.amdhsa_user_sgpr_private_segment_size 0
		.amdhsa_uses_dynamic_stack 0
		.amdhsa_system_sgpr_private_segment_wavefront_offset 0
		.amdhsa_system_sgpr_workgroup_id_x 1
		.amdhsa_system_sgpr_workgroup_id_y 0
		.amdhsa_system_sgpr_workgroup_id_z 0
		.amdhsa_system_sgpr_workgroup_info 0
		.amdhsa_system_vgpr_workitem_id 1
		.amdhsa_next_free_vgpr 13
		.amdhsa_next_free_sgpr 24
		.amdhsa_accum_offset 16
		.amdhsa_reserve_vcc 1
		.amdhsa_reserve_flat_scratch 0
		.amdhsa_float_round_mode_32 0
		.amdhsa_float_round_mode_16_64 0
		.amdhsa_float_denorm_mode_32 3
		.amdhsa_float_denorm_mode_16_64 3
		.amdhsa_dx10_clamp 1
		.amdhsa_ieee_mode 1
		.amdhsa_fp16_overflow 0
		.amdhsa_tg_split 0
		.amdhsa_exception_fp_ieee_invalid_op 0
		.amdhsa_exception_fp_denorm_src 0
		.amdhsa_exception_fp_ieee_div_zero 0
		.amdhsa_exception_fp_ieee_overflow 0
		.amdhsa_exception_fp_ieee_underflow 0
		.amdhsa_exception_fp_ieee_inexact 0
		.amdhsa_exception_int_div_zero 0
	.end_amdhsa_kernel
	.section	.text._ZL28rocblas_dot_batched_4_kernelIlLi64ELi4ELb1EffPKfEviT5_lT_lS2_lS3_liPT4_,"axG",@progbits,_ZL28rocblas_dot_batched_4_kernelIlLi64ELi4ELb1EffPKfEviT5_lT_lS2_lS3_liPT4_,comdat
.Lfunc_end603:
	.size	_ZL28rocblas_dot_batched_4_kernelIlLi64ELi4ELb1EffPKfEviT5_lT_lS2_lS3_liPT4_, .Lfunc_end603-_ZL28rocblas_dot_batched_4_kernelIlLi64ELi4ELb1EffPKfEviT5_lT_lS2_lS3_liPT4_
                                        ; -- End function
	.section	.AMDGPU.csdata,"",@progbits
; Kernel info:
; codeLenInByte = 708
; NumSgprs: 28
; NumVgprs: 13
; NumAgprs: 0
; TotalNumVgprs: 13
; ScratchSize: 0
; MemoryBound: 0
; FloatMode: 240
; IeeeMode: 1
; LDSByteSize: 0 bytes/workgroup (compile time only)
; SGPRBlocks: 3
; VGPRBlocks: 1
; NumSGPRsForWavesPerEU: 28
; NumVGPRsForWavesPerEU: 13
; AccumOffset: 16
; Occupancy: 8
; WaveLimiterHint : 0
; COMPUTE_PGM_RSRC2:SCRATCH_EN: 0
; COMPUTE_PGM_RSRC2:USER_SGPR: 6
; COMPUTE_PGM_RSRC2:TRAP_HANDLER: 0
; COMPUTE_PGM_RSRC2:TGID_X_EN: 1
; COMPUTE_PGM_RSRC2:TGID_Y_EN: 0
; COMPUTE_PGM_RSRC2:TGID_Z_EN: 0
; COMPUTE_PGM_RSRC2:TIDIG_COMP_CNT: 1
; COMPUTE_PGM_RSRC3_GFX90A:ACCUM_OFFSET: 3
; COMPUTE_PGM_RSRC3_GFX90A:TG_SPLIT: 0
	.section	.text._ZL18rocblas_dot_kernelIlLb1ELi1024ELi32ELb1EfPKffEviT5_lT_lS2_lS3_liPT6_PT4_,"axG",@progbits,_ZL18rocblas_dot_kernelIlLb1ELi1024ELi32ELb1EfPKffEviT5_lT_lS2_lS3_liPT6_PT4_,comdat
	.globl	_ZL18rocblas_dot_kernelIlLb1ELi1024ELi32ELb1EfPKffEviT5_lT_lS2_lS3_liPT6_PT4_ ; -- Begin function _ZL18rocblas_dot_kernelIlLb1ELi1024ELi32ELb1EfPKffEviT5_lT_lS2_lS3_liPT6_PT4_
	.p2align	8
	.type	_ZL18rocblas_dot_kernelIlLb1ELi1024ELi32ELb1EfPKffEviT5_lT_lS2_lS3_liPT6_PT4_,@function
_ZL18rocblas_dot_kernelIlLb1ELi1024ELi32ELb1EfPKffEviT5_lT_lS2_lS3_liPT6_PT4_: ; @_ZL18rocblas_dot_kernelIlLb1ELi1024ELi32ELb1EfPKffEviT5_lT_lS2_lS3_liPT6_PT4_
; %bb.0:
	s_mov_b32 s2, s7
	s_load_dword s18, s[4:5], 0x0
	s_load_dwordx2 s[6:7], s[4:5], 0x58
	s_mov_b32 s3, 0
	v_mov_b32_e32 v6, 0
	s_waitcnt lgkmcnt(0)
	v_cmp_gt_i32_e32 vcc, s18, v0
	s_and_saveexec_b64 s[16:17], vcc
	s_cbranch_execz .LBB604_4
; %bb.1:
	s_load_dword s19, s[4:5], 0x60
	s_load_dwordx2 s[0:1], s[4:5], 0x40
	s_load_dwordx8 s[8:15], s[4:5], 0x20
	s_load_dwordx2 s[24:25], s[4:5], 0x8
	s_load_dwordx4 s[20:23], s[4:5], 0x10
	s_waitcnt lgkmcnt(0)
	s_lshl_b32 s19, s19, 10
	s_mul_i32 s1, s1, s2
	s_mul_i32 s4, s9, s2
	s_mul_hi_u32 s5, s8, s2
	s_add_i32 s5, s5, s4
	s_mul_i32 s4, s8, s2
	v_mad_u64_u32 v[2:3], s[8:9], s22, v0, 0
	v_mov_b32_e32 v4, v3
	v_mad_u64_u32 v[4:5], s[8:9], s23, v0, v[4:5]
	s_lshl_b64 s[4:5], s[4:5], 2
	s_lshl_b64 s[8:9], s[20:21], 2
	s_add_u32 s8, s24, s8
	s_addc_u32 s9, s25, s9
	v_mov_b32_e32 v3, v4
	s_add_u32 s4, s8, s4
	v_lshlrev_b64 v[2:3], 2, v[2:3]
	s_addc_u32 s5, s9, s5
	v_mov_b32_e32 v4, s5
	v_add_co_u32_e32 v2, vcc, s4, v2
	s_ashr_i32 s20, s19, 31
	s_mul_hi_u32 s8, s0, s2
	v_addc_co_u32_e32 v3, vcc, v4, v3, vcc
	s_mul_i32 s4, s22, s20
	s_mul_hi_u32 s5, s22, s19
	s_add_i32 s1, s8, s1
	v_mad_u64_u32 v[4:5], s[8:9], s14, v0, 0
	s_add_i32 s4, s5, s4
	s_mul_i32 s5, s23, s19
	v_mov_b32_e32 v6, v5
	s_add_i32 s5, s4, s5
	s_mul_i32 s4, s22, s19
	s_mul_i32 s0, s0, s2
	v_mad_u64_u32 v[6:7], s[8:9], s15, v0, v[6:7]
	s_lshl_b64 s[4:5], s[4:5], 2
	s_lshl_b64 s[0:1], s[0:1], 2
	;; [unrolled: 1-line block ×3, first 2 shown]
	s_add_u32 s8, s10, s8
	s_addc_u32 s9, s11, s9
	v_mov_b32_e32 v5, v6
	s_add_u32 s0, s8, s0
	v_lshlrev_b64 v[4:5], 2, v[4:5]
	s_addc_u32 s1, s9, s1
	v_mov_b32_e32 v6, s1
	v_add_co_u32_e32 v4, vcc, s0, v4
	s_mul_i32 s0, s14, s20
	s_mul_hi_u32 s1, s14, s19
	s_add_i32 s0, s1, s0
	s_mul_i32 s1, s15, s19
	s_add_i32 s1, s0, s1
	s_mul_i32 s0, s14, s19
	s_lshl_b64 s[10:11], s[0:1], 2
	v_or_b32_e32 v1, s19, v0
	v_addc_co_u32_e32 v5, vcc, v6, v5, vcc
	s_mov_b64 s[8:9], 0
	v_mov_b32_e32 v6, 0
	v_mov_b32_e32 v7, s5
	;; [unrolled: 1-line block ×3, first 2 shown]
	s_mov_b32 s5, s3
.LBB604_2:                              ; =>This Inner Loop Header: Depth=1
	global_load_dword v9, v[4:5], off
	global_load_dword v10, v[2:3], off
	v_add_co_u32_e64 v2, s[0:1], s4, v2
	v_addc_co_u32_e64 v3, s[0:1], v3, v7, s[0:1]
	s_add_i32 s11, s5, 1
	v_add_co_u32_e64 v4, s[0:1], s10, v4
	v_addc_co_u32_e64 v5, s[0:1], v5, v8, s[0:1]
	s_cmp_gt_u32 s5, 30
	v_cmp_le_i32_e32 vcc, s18, v1
	s_cselect_b64 s[0:1], -1, 0
	s_or_b64 s[0:1], s[0:1], vcc
	s_and_b64 s[0:1], exec, s[0:1]
	v_add_u32_e32 v1, s19, v1
	s_mov_b32 s5, s11
	s_or_b64 s[8:9], s[0:1], s[8:9]
	s_waitcnt vmcnt(0)
	v_fmac_f32_e32 v6, v9, v10
	s_andn2_b64 exec, exec, s[8:9]
	s_cbranch_execnz .LBB604_2
; %bb.3:
	s_or_b64 exec, exec, s[8:9]
.LBB604_4:
	s_or_b64 exec, exec, s[16:17]
	v_and_b32_e32 v2, 63, v0
	v_cmp_gt_u32_e32 vcc, 64, v0
	v_lshlrev_b32_e32 v1, 2, v2
	s_and_saveexec_b64 s[0:1], vcc
	s_cbranch_execz .LBB604_6
; %bb.5:
	v_mov_b32_e32 v3, 0
	ds_write_b32 v1, v3
.LBB604_6:
	s_or_b64 exec, exec, s[0:1]
	v_mbcnt_lo_u32_b32 v3, -1, 0
	v_mbcnt_hi_u32_b32 v7, -1, v3
	v_and_b32_e32 v8, 63, v7
	v_cmp_gt_u32_e64 s[0:1], 32, v8
	v_cndmask_b32_e64 v3, 0, 1, s[0:1]
	v_lshlrev_b32_e32 v3, 5, v3
	v_add_lshl_u32 v3, v3, v7, 2
	ds_bpermute_b32 v3, v3, v6
	v_cmp_gt_u32_e64 s[0:1], 48, v8
	v_cndmask_b32_e64 v4, 0, 1, s[0:1]
	v_lshlrev_b32_e32 v4, 4, v4
	v_add_lshl_u32 v4, v4, v7, 2
	s_waitcnt lgkmcnt(0)
	v_add_f32_e32 v3, v6, v3
	ds_bpermute_b32 v4, v4, v3
	v_cmp_gt_u32_e64 s[0:1], 56, v8
	v_cndmask_b32_e64 v5, 0, 1, s[0:1]
	v_lshlrev_b32_e32 v5, 3, v5
	v_cmp_gt_u32_e64 s[0:1], 60, v8
	s_waitcnt lgkmcnt(0)
	v_add_f32_e32 v4, v3, v4
	v_add_lshl_u32 v3, v5, v7, 2
	ds_bpermute_b32 v5, v3, v4
	v_cndmask_b32_e64 v6, 0, 1, s[0:1]
	v_lshlrev_b32_e32 v6, 2, v6
	v_cmp_gt_u32_e64 s[0:1], 62, v8
	v_cndmask_b32_e64 v9, 0, 1, s[0:1]
	s_waitcnt lgkmcnt(0)
	v_add_f32_e32 v5, v4, v5
	v_add_lshl_u32 v4, v6, v7, 2
	ds_bpermute_b32 v6, v4, v5
	v_lshlrev_b32_e32 v9, 1, v9
	v_cmp_ne_u32_e64 s[0:1], 63, v8
	v_addc_co_u32_e64 v8, s[0:1], 0, v7, s[0:1]
	s_waitcnt lgkmcnt(0)
	v_add_f32_e32 v6, v5, v6
	v_add_lshl_u32 v5, v9, v7, 2
	ds_bpermute_b32 v9, v5, v6
	v_cmp_eq_u32_e64 s[0:1], 0, v2
	s_waitcnt lgkmcnt(0)
	s_barrier
	v_add_f32_e32 v7, v6, v9
	v_lshlrev_b32_e32 v6, 2, v8
	ds_bpermute_b32 v8, v6, v7
	s_and_saveexec_b64 s[4:5], s[0:1]
	s_cbranch_execz .LBB604_8
; %bb.7:
	s_waitcnt lgkmcnt(0)
	v_add_f32_e32 v2, v7, v8
	v_lshrrev_b32_e32 v7, 4, v0
	v_and_b32_e32 v7, 60, v7
	ds_write_b32 v7, v2
.LBB604_8:
	s_or_b64 exec, exec, s[4:5]
	v_cmp_gt_u32_e64 s[0:1], 16, v0
	v_mov_b32_e32 v2, 0
	s_waitcnt lgkmcnt(0)
	s_barrier
	s_and_saveexec_b64 s[4:5], s[0:1]
	s_cbranch_execnz .LBB604_12
; %bb.9:
	s_or_b64 exec, exec, s[4:5]
	s_and_saveexec_b64 s[0:1], vcc
	s_cbranch_execnz .LBB604_13
.LBB604_10:
	s_or_b64 exec, exec, s[0:1]
	v_cmp_eq_u32_e32 vcc, 0, v0
	s_and_saveexec_b64 s[0:1], vcc
	s_cbranch_execnz .LBB604_14
.LBB604_11:
	s_endpgm
.LBB604_12:
	ds_read_b32 v2, v1
	s_or_b64 exec, exec, s[4:5]
	s_and_saveexec_b64 s[0:1], vcc
	s_cbranch_execz .LBB604_10
.LBB604_13:
	s_waitcnt lgkmcnt(0)
	ds_bpermute_b32 v1, v3, v2
	s_waitcnt lgkmcnt(0)
	v_add_f32_e32 v1, v2, v1
	ds_bpermute_b32 v2, v4, v1
	s_waitcnt lgkmcnt(0)
	v_add_f32_e32 v1, v1, v2
	;; [unrolled: 3-line block ×4, first 2 shown]
	s_or_b64 exec, exec, s[0:1]
	v_cmp_eq_u32_e32 vcc, 0, v0
	s_and_saveexec_b64 s[0:1], vcc
	s_cbranch_execz .LBB604_11
.LBB604_14:
	s_lshl_b64 s[0:1], s[2:3], 2
	s_add_u32 s0, s6, s0
	s_addc_u32 s1, s7, s1
	v_mov_b32_e32 v0, 0
	s_waitcnt lgkmcnt(0)
	global_store_dword v0, v2, s[0:1]
	s_endpgm
	.section	.rodata,"a",@progbits
	.p2align	6, 0x0
	.amdhsa_kernel _ZL18rocblas_dot_kernelIlLb1ELi1024ELi32ELb1EfPKffEviT5_lT_lS2_lS3_liPT6_PT4_
		.amdhsa_group_segment_fixed_size 256
		.amdhsa_private_segment_fixed_size 0
		.amdhsa_kernarg_size 352
		.amdhsa_user_sgpr_count 6
		.amdhsa_user_sgpr_private_segment_buffer 1
		.amdhsa_user_sgpr_dispatch_ptr 0
		.amdhsa_user_sgpr_queue_ptr 0
		.amdhsa_user_sgpr_kernarg_segment_ptr 1
		.amdhsa_user_sgpr_dispatch_id 0
		.amdhsa_user_sgpr_flat_scratch_init 0
		.amdhsa_user_sgpr_kernarg_preload_length 0
		.amdhsa_user_sgpr_kernarg_preload_offset 0
		.amdhsa_user_sgpr_private_segment_size 0
		.amdhsa_uses_dynamic_stack 0
		.amdhsa_system_sgpr_private_segment_wavefront_offset 0
		.amdhsa_system_sgpr_workgroup_id_x 1
		.amdhsa_system_sgpr_workgroup_id_y 0
		.amdhsa_system_sgpr_workgroup_id_z 1
		.amdhsa_system_sgpr_workgroup_info 0
		.amdhsa_system_vgpr_workitem_id 0
		.amdhsa_next_free_vgpr 11
		.amdhsa_next_free_sgpr 26
		.amdhsa_accum_offset 12
		.amdhsa_reserve_vcc 1
		.amdhsa_reserve_flat_scratch 0
		.amdhsa_float_round_mode_32 0
		.amdhsa_float_round_mode_16_64 0
		.amdhsa_float_denorm_mode_32 3
		.amdhsa_float_denorm_mode_16_64 3
		.amdhsa_dx10_clamp 1
		.amdhsa_ieee_mode 1
		.amdhsa_fp16_overflow 0
		.amdhsa_tg_split 0
		.amdhsa_exception_fp_ieee_invalid_op 0
		.amdhsa_exception_fp_denorm_src 0
		.amdhsa_exception_fp_ieee_div_zero 0
		.amdhsa_exception_fp_ieee_overflow 0
		.amdhsa_exception_fp_ieee_underflow 0
		.amdhsa_exception_fp_ieee_inexact 0
		.amdhsa_exception_int_div_zero 0
	.end_amdhsa_kernel
	.section	.text._ZL18rocblas_dot_kernelIlLb1ELi1024ELi32ELb1EfPKffEviT5_lT_lS2_lS3_liPT6_PT4_,"axG",@progbits,_ZL18rocblas_dot_kernelIlLb1ELi1024ELi32ELb1EfPKffEviT5_lT_lS2_lS3_liPT6_PT4_,comdat
.Lfunc_end604:
	.size	_ZL18rocblas_dot_kernelIlLb1ELi1024ELi32ELb1EfPKffEviT5_lT_lS2_lS3_liPT6_PT4_, .Lfunc_end604-_ZL18rocblas_dot_kernelIlLb1ELi1024ELi32ELb1EfPKffEviT5_lT_lS2_lS3_liPT6_PT4_
                                        ; -- End function
	.section	.AMDGPU.csdata,"",@progbits
; Kernel info:
; codeLenInByte = 1000
; NumSgprs: 30
; NumVgprs: 11
; NumAgprs: 0
; TotalNumVgprs: 11
; ScratchSize: 0
; MemoryBound: 0
; FloatMode: 240
; IeeeMode: 1
; LDSByteSize: 256 bytes/workgroup (compile time only)
; SGPRBlocks: 3
; VGPRBlocks: 1
; NumSGPRsForWavesPerEU: 30
; NumVGPRsForWavesPerEU: 11
; AccumOffset: 12
; Occupancy: 8
; WaveLimiterHint : 0
; COMPUTE_PGM_RSRC2:SCRATCH_EN: 0
; COMPUTE_PGM_RSRC2:USER_SGPR: 6
; COMPUTE_PGM_RSRC2:TRAP_HANDLER: 0
; COMPUTE_PGM_RSRC2:TGID_X_EN: 1
; COMPUTE_PGM_RSRC2:TGID_Y_EN: 0
; COMPUTE_PGM_RSRC2:TGID_Z_EN: 1
; COMPUTE_PGM_RSRC2:TIDIG_COMP_CNT: 0
; COMPUTE_PGM_RSRC3_GFX90A:ACCUM_OFFSET: 2
; COMPUTE_PGM_RSRC3_GFX90A:TG_SPLIT: 0
	.section	.text._ZL24rocblas_dot_kernel_magsqIlLb1ELi1024ELi32ELb1EfPKffEviT5_lT_liPT6_PT4_,"axG",@progbits,_ZL24rocblas_dot_kernel_magsqIlLb1ELi1024ELi32ELb1EfPKffEviT5_lT_liPT6_PT4_,comdat
	.globl	_ZL24rocblas_dot_kernel_magsqIlLb1ELi1024ELi32ELb1EfPKffEviT5_lT_liPT6_PT4_ ; -- Begin function _ZL24rocblas_dot_kernel_magsqIlLb1ELi1024ELi32ELb1EfPKffEviT5_lT_liPT6_PT4_
	.p2align	8
	.type	_ZL24rocblas_dot_kernel_magsqIlLb1ELi1024ELi32ELb1EfPKffEviT5_lT_liPT6_PT4_,@function
_ZL24rocblas_dot_kernel_magsqIlLb1ELi1024ELi32ELb1EfPKffEviT5_lT_liPT6_PT4_: ; @_ZL24rocblas_dot_kernel_magsqIlLb1ELi1024ELi32ELb1EfPKffEviT5_lT_liPT6_PT4_
; %bb.0:
	s_mov_b32 s2, s7
	s_load_dword s12, s[4:5], 0x0
	s_load_dwordx2 s[6:7], s[4:5], 0x38
	s_mov_b32 s3, 0
	v_mov_b32_e32 v1, 0
	s_waitcnt lgkmcnt(0)
	v_cmp_gt_i32_e32 vcc, s12, v0
	s_and_saveexec_b64 s[8:9], vcc
	s_cbranch_execz .LBB605_4
; %bb.1:
	s_load_dword s13, s[4:5], 0x40
	s_load_dwordx2 s[0:1], s[4:5], 0x20
	s_load_dwordx2 s[10:11], s[4:5], 0x8
	s_load_dwordx4 s[16:19], s[4:5], 0x10
	s_waitcnt lgkmcnt(0)
	s_lshl_b32 s13, s13, 10
	s_mul_i32 s1, s1, s2
	s_mul_hi_u32 s4, s0, s2
	s_add_i32 s1, s4, s1
	v_mad_u64_u32 v[2:3], s[4:5], s18, v0, 0
	v_mov_b32_e32 v6, v3
	s_mul_i32 s0, s0, s2
	v_mad_u64_u32 v[6:7], s[4:5], s19, v0, v[6:7]
	s_lshl_b64 s[0:1], s[0:1], 2
	s_lshl_b64 s[4:5], s[16:17], 2
	s_add_u32 s4, s10, s4
	v_mov_b32_e32 v3, v6
	s_addc_u32 s5, s11, s5
	v_lshlrev_b64 v[2:3], 2, v[2:3]
	s_add_u32 s0, s4, s0
	s_addc_u32 s1, s5, s1
	v_add_co_u32_e32 v2, vcc, s0, v2
	s_ashr_i32 s0, s13, 31
	v_mov_b32_e32 v1, s1
	s_mul_i32 s0, s18, s0
	s_mul_hi_u32 s1, s18, s13
	s_add_i32 s0, s1, s0
	s_mul_i32 s1, s19, s13
	s_add_i32 s1, s0, s1
	s_mul_i32 s0, s18, s13
	s_lshl_b64 s[10:11], s[0:1], 2
	v_or_b32_e32 v4, s13, v0
	v_addc_co_u32_e32 v3, vcc, v1, v3, vcc
	s_mov_b64 s[4:5], 0
	v_mov_b32_e32 v1, 0
	v_mov_b32_e32 v5, s11
	s_mov_b32 s11, s3
.LBB605_2:                              ; =>This Inner Loop Header: Depth=1
	global_load_dword v6, v[2:3], off
	s_add_i32 s14, s11, 1
	v_add_co_u32_e64 v2, s[0:1], s10, v2
	v_addc_co_u32_e64 v3, s[0:1], v3, v5, s[0:1]
	s_cmp_gt_u32 s11, 30
	v_cmp_le_i32_e32 vcc, s12, v4
	s_cselect_b64 s[0:1], -1, 0
	s_or_b64 s[0:1], s[0:1], vcc
	s_and_b64 s[0:1], exec, s[0:1]
	v_add_u32_e32 v4, s13, v4
	s_mov_b32 s11, s14
	s_or_b64 s[4:5], s[0:1], s[4:5]
	s_waitcnt vmcnt(0)
	v_fmac_f32_e32 v1, v6, v6
	s_andn2_b64 exec, exec, s[4:5]
	s_cbranch_execnz .LBB605_2
; %bb.3:
	s_or_b64 exec, exec, s[4:5]
.LBB605_4:
	s_or_b64 exec, exec, s[8:9]
	v_and_b32_e32 v3, 63, v0
	v_cmp_gt_u32_e32 vcc, 64, v0
	v_lshlrev_b32_e32 v2, 2, v3
	s_and_saveexec_b64 s[0:1], vcc
	s_cbranch_execz .LBB605_6
; %bb.5:
	v_mov_b32_e32 v4, 0
	ds_write_b32 v2, v4
.LBB605_6:
	s_or_b64 exec, exec, s[0:1]
	v_mbcnt_lo_u32_b32 v4, -1, 0
	v_mbcnt_hi_u32_b32 v6, -1, v4
	v_and_b32_e32 v7, 63, v6
	v_cmp_gt_u32_e64 s[0:1], 32, v7
	v_cndmask_b32_e64 v4, 0, 1, s[0:1]
	v_lshlrev_b32_e32 v4, 5, v4
	v_add_lshl_u32 v4, v4, v6, 2
	ds_bpermute_b32 v4, v4, v1
	v_cmp_gt_u32_e64 s[0:1], 48, v7
	v_cndmask_b32_e64 v5, 0, 1, s[0:1]
	v_lshlrev_b32_e32 v5, 4, v5
	v_cmp_gt_u32_e64 s[0:1], 56, v7
	s_waitcnt lgkmcnt(0)
	v_add_f32_e32 v1, v1, v4
	v_add_lshl_u32 v4, v5, v6, 2
	ds_bpermute_b32 v4, v4, v1
	v_cndmask_b32_e64 v5, 0, 1, s[0:1]
	v_lshlrev_b32_e32 v5, 3, v5
	v_cmp_gt_u32_e64 s[0:1], 60, v7
	v_cndmask_b32_e64 v8, 0, 1, s[0:1]
	s_waitcnt lgkmcnt(0)
	v_add_f32_e32 v4, v1, v4
	v_add_lshl_u32 v1, v5, v6, 2
	ds_bpermute_b32 v5, v1, v4
	v_lshlrev_b32_e32 v8, 2, v8
	v_cmp_gt_u32_e64 s[0:1], 62, v7
	v_cndmask_b32_e64 v9, 0, 1, s[0:1]
	v_lshlrev_b32_e32 v9, 1, v9
	s_waitcnt lgkmcnt(0)
	v_add_f32_e32 v5, v4, v5
	v_add_lshl_u32 v4, v8, v6, 2
	ds_bpermute_b32 v8, v4, v5
	v_cmp_ne_u32_e64 s[0:1], 63, v7
	s_waitcnt lgkmcnt(0)
	s_barrier
	v_add_f32_e32 v8, v5, v8
	v_add_lshl_u32 v5, v9, v6, 2
	ds_bpermute_b32 v9, v5, v8
	v_addc_co_u32_e64 v6, s[0:1], 0, v6, s[0:1]
	v_lshlrev_b32_e32 v6, 2, v6
	v_cmp_eq_u32_e64 s[0:1], 0, v3
	s_waitcnt lgkmcnt(0)
	v_add_f32_e32 v7, v8, v9
	ds_bpermute_b32 v8, v6, v7
	s_and_saveexec_b64 s[4:5], s[0:1]
	s_cbranch_execz .LBB605_8
; %bb.7:
	s_waitcnt lgkmcnt(0)
	v_add_f32_e32 v3, v7, v8
	v_lshrrev_b32_e32 v7, 4, v0
	v_and_b32_e32 v7, 60, v7
	ds_write_b32 v7, v3
.LBB605_8:
	s_or_b64 exec, exec, s[4:5]
	v_cmp_gt_u32_e64 s[0:1], 16, v0
	v_mov_b32_e32 v3, 0
	s_waitcnt lgkmcnt(0)
	s_barrier
	s_and_saveexec_b64 s[4:5], s[0:1]
	s_cbranch_execnz .LBB605_12
; %bb.9:
	s_or_b64 exec, exec, s[4:5]
	s_and_saveexec_b64 s[0:1], vcc
	s_cbranch_execnz .LBB605_13
.LBB605_10:
	s_or_b64 exec, exec, s[0:1]
	v_cmp_eq_u32_e32 vcc, 0, v0
	s_and_saveexec_b64 s[0:1], vcc
	s_cbranch_execnz .LBB605_14
.LBB605_11:
	s_endpgm
.LBB605_12:
	ds_read_b32 v3, v2
	s_or_b64 exec, exec, s[4:5]
	s_and_saveexec_b64 s[0:1], vcc
	s_cbranch_execz .LBB605_10
.LBB605_13:
	s_waitcnt lgkmcnt(0)
	ds_bpermute_b32 v1, v1, v3
	s_waitcnt lgkmcnt(0)
	v_add_f32_e32 v1, v3, v1
	ds_bpermute_b32 v2, v4, v1
	s_waitcnt lgkmcnt(0)
	v_add_f32_e32 v1, v1, v2
	;; [unrolled: 3-line block ×4, first 2 shown]
	s_or_b64 exec, exec, s[0:1]
	v_cmp_eq_u32_e32 vcc, 0, v0
	s_and_saveexec_b64 s[0:1], vcc
	s_cbranch_execz .LBB605_11
.LBB605_14:
	s_lshl_b64 s[0:1], s[2:3], 2
	s_add_u32 s0, s6, s0
	s_addc_u32 s1, s7, s1
	v_mov_b32_e32 v0, 0
	s_waitcnt lgkmcnt(0)
	global_store_dword v0, v3, s[0:1]
	s_endpgm
	.section	.rodata,"a",@progbits
	.p2align	6, 0x0
	.amdhsa_kernel _ZL24rocblas_dot_kernel_magsqIlLb1ELi1024ELi32ELb1EfPKffEviT5_lT_liPT6_PT4_
		.amdhsa_group_segment_fixed_size 256
		.amdhsa_private_segment_fixed_size 0
		.amdhsa_kernarg_size 320
		.amdhsa_user_sgpr_count 6
		.amdhsa_user_sgpr_private_segment_buffer 1
		.amdhsa_user_sgpr_dispatch_ptr 0
		.amdhsa_user_sgpr_queue_ptr 0
		.amdhsa_user_sgpr_kernarg_segment_ptr 1
		.amdhsa_user_sgpr_dispatch_id 0
		.amdhsa_user_sgpr_flat_scratch_init 0
		.amdhsa_user_sgpr_kernarg_preload_length 0
		.amdhsa_user_sgpr_kernarg_preload_offset 0
		.amdhsa_user_sgpr_private_segment_size 0
		.amdhsa_uses_dynamic_stack 0
		.amdhsa_system_sgpr_private_segment_wavefront_offset 0
		.amdhsa_system_sgpr_workgroup_id_x 1
		.amdhsa_system_sgpr_workgroup_id_y 0
		.amdhsa_system_sgpr_workgroup_id_z 1
		.amdhsa_system_sgpr_workgroup_info 0
		.amdhsa_system_vgpr_workitem_id 0
		.amdhsa_next_free_vgpr 10
		.amdhsa_next_free_sgpr 20
		.amdhsa_accum_offset 12
		.amdhsa_reserve_vcc 1
		.amdhsa_reserve_flat_scratch 0
		.amdhsa_float_round_mode_32 0
		.amdhsa_float_round_mode_16_64 0
		.amdhsa_float_denorm_mode_32 3
		.amdhsa_float_denorm_mode_16_64 3
		.amdhsa_dx10_clamp 1
		.amdhsa_ieee_mode 1
		.amdhsa_fp16_overflow 0
		.amdhsa_tg_split 0
		.amdhsa_exception_fp_ieee_invalid_op 0
		.amdhsa_exception_fp_denorm_src 0
		.amdhsa_exception_fp_ieee_div_zero 0
		.amdhsa_exception_fp_ieee_overflow 0
		.amdhsa_exception_fp_ieee_underflow 0
		.amdhsa_exception_fp_ieee_inexact 0
		.amdhsa_exception_int_div_zero 0
	.end_amdhsa_kernel
	.section	.text._ZL24rocblas_dot_kernel_magsqIlLb1ELi1024ELi32ELb1EfPKffEviT5_lT_liPT6_PT4_,"axG",@progbits,_ZL24rocblas_dot_kernel_magsqIlLb1ELi1024ELi32ELb1EfPKffEviT5_lT_liPT6_PT4_,comdat
.Lfunc_end605:
	.size	_ZL24rocblas_dot_kernel_magsqIlLb1ELi1024ELi32ELb1EfPKffEviT5_lT_liPT6_PT4_, .Lfunc_end605-_ZL24rocblas_dot_kernel_magsqIlLb1ELi1024ELi32ELb1EfPKffEviT5_lT_liPT6_PT4_
                                        ; -- End function
	.section	.AMDGPU.csdata,"",@progbits
; Kernel info:
; codeLenInByte = 852
; NumSgprs: 24
; NumVgprs: 10
; NumAgprs: 0
; TotalNumVgprs: 10
; ScratchSize: 0
; MemoryBound: 0
; FloatMode: 240
; IeeeMode: 1
; LDSByteSize: 256 bytes/workgroup (compile time only)
; SGPRBlocks: 2
; VGPRBlocks: 1
; NumSGPRsForWavesPerEU: 24
; NumVGPRsForWavesPerEU: 10
; AccumOffset: 12
; Occupancy: 8
; WaveLimiterHint : 0
; COMPUTE_PGM_RSRC2:SCRATCH_EN: 0
; COMPUTE_PGM_RSRC2:USER_SGPR: 6
; COMPUTE_PGM_RSRC2:TRAP_HANDLER: 0
; COMPUTE_PGM_RSRC2:TGID_X_EN: 1
; COMPUTE_PGM_RSRC2:TGID_Y_EN: 0
; COMPUTE_PGM_RSRC2:TGID_Z_EN: 1
; COMPUTE_PGM_RSRC2:TIDIG_COMP_CNT: 0
; COMPUTE_PGM_RSRC3_GFX90A:ACCUM_OFFSET: 2
; COMPUTE_PGM_RSRC3_GFX90A:TG_SPLIT: 0
	.section	.text._ZL18rocblas_dot_kernelIlLb0ELi512ELi4ELb1EfPKffEviT5_lT_lS2_lS3_liPT6_PT4_,"axG",@progbits,_ZL18rocblas_dot_kernelIlLb0ELi512ELi4ELb1EfPKffEviT5_lT_lS2_lS3_liPT6_PT4_,comdat
	.globl	_ZL18rocblas_dot_kernelIlLb0ELi512ELi4ELb1EfPKffEviT5_lT_lS2_lS3_liPT6_PT4_ ; -- Begin function _ZL18rocblas_dot_kernelIlLb0ELi512ELi4ELb1EfPKffEviT5_lT_lS2_lS3_liPT6_PT4_
	.p2align	8
	.type	_ZL18rocblas_dot_kernelIlLb0ELi512ELi4ELb1EfPKffEviT5_lT_lS2_lS3_liPT6_PT4_,@function
_ZL18rocblas_dot_kernelIlLb0ELi512ELi4ELb1EfPKffEviT5_lT_lS2_lS3_liPT6_PT4_: ; @_ZL18rocblas_dot_kernelIlLb0ELi512ELi4ELb1EfPKffEviT5_lT_lS2_lS3_liPT6_PT4_
; %bb.0:
	s_mov_b32 s2, s7
	s_load_dword s22, s[4:5], 0x60
	s_load_dword s7, s[4:5], 0x0
	s_load_dwordx4 s[16:19], s[4:5], 0x50
	v_lshl_or_b32 v4, s6, 9, v0
	s_mov_b32 s3, 0
	v_mov_b32_e32 v6, 0
	s_waitcnt lgkmcnt(0)
	v_cmp_gt_i32_e32 vcc, s7, v4
	s_and_saveexec_b64 s[20:21], vcc
	s_cbranch_execz .LBB606_4
; %bb.1:
	s_load_dwordx8 s[8:15], s[4:5], 0x20
	s_load_dwordx2 s[0:1], s[4:5], 0x8
	s_load_dwordx4 s[24:27], s[4:5], 0x10
	s_load_dwordx2 s[28:29], s[4:5], 0x40
	s_lshl_b32 s23, s22, 9
	v_ashrrev_i32_e32 v5, 31, v4
	v_add_u32_e32 v1, s23, v4
	s_waitcnt lgkmcnt(0)
	v_mad_u64_u32 v[2:3], s[4:5], s26, v4, 0
	s_mul_i32 s4, s9, s2
	s_mul_hi_u32 s5, s8, s2
	s_add_i32 s5, s5, s4
	s_mul_i32 s4, s8, s2
	s_lshl_b64 s[4:5], s[4:5], 2
	s_lshl_b64 s[8:9], s[24:25], 2
	s_add_u32 s0, s0, s8
	v_mul_lo_u32 v6, s27, v4
	v_mul_lo_u32 v7, s26, v5
	s_addc_u32 s1, s1, s9
	v_add3_u32 v3, v3, v7, v6
	s_add_u32 s0, s0, s4
	v_lshlrev_b64 v[2:3], 2, v[2:3]
	s_addc_u32 s1, s1, s5
	s_ashr_i32 s24, s23, 31
	v_mov_b32_e32 v6, s1
	v_add_co_u32_e32 v2, vcc, s0, v2
	s_mul_i32 s0, s26, s24
	s_mul_hi_u32 s1, s26, s23
	s_add_i32 s0, s1, s0
	s_mul_i32 s1, s27, s23
	s_add_i32 s1, s0, s1
	s_mul_i32 s0, s26, s23
	v_addc_co_u32_e32 v3, vcc, v6, v3, vcc
	s_lshl_b64 s[4:5], s[0:1], 2
	v_mul_lo_u32 v6, s15, v4
	v_mul_lo_u32 v7, s14, v5
	v_mad_u64_u32 v[4:5], s[0:1], s14, v4, 0
	s_mul_i32 s0, s29, s2
	s_mul_hi_u32 s1, s28, s2
	s_add_i32 s1, s1, s0
	s_mul_i32 s0, s28, s2
	s_lshl_b64 s[0:1], s[0:1], 2
	s_lshl_b64 s[8:9], s[12:13], 2
	s_add_u32 s8, s10, s8
	s_addc_u32 s9, s11, s9
	v_add3_u32 v5, v5, v7, v6
	s_add_u32 s0, s8, s0
	v_lshlrev_b64 v[4:5], 2, v[4:5]
	s_addc_u32 s1, s9, s1
	v_mov_b32_e32 v6, s1
	v_add_co_u32_e32 v4, vcc, s0, v4
	s_mul_i32 s0, s14, s24
	s_mul_hi_u32 s1, s14, s23
	s_add_i32 s0, s1, s0
	s_mul_i32 s1, s15, s23
	s_add_i32 s1, s0, s1
	s_mul_i32 s0, s14, s23
	s_lshl_b64 s[10:11], s[0:1], 2
	v_addc_co_u32_e32 v5, vcc, v6, v5, vcc
	s_mov_b64 s[8:9], 0
	v_mov_b32_e32 v6, 0
	v_mov_b32_e32 v7, s5
	;; [unrolled: 1-line block ×3, first 2 shown]
	s_mov_b32 s5, s3
.LBB606_2:                              ; =>This Inner Loop Header: Depth=1
	global_load_dword v9, v[4:5], off
	global_load_dword v10, v[2:3], off
	v_add_co_u32_e64 v2, s[0:1], s4, v2
	v_addc_co_u32_e64 v3, s[0:1], v3, v7, s[0:1]
	s_add_i32 s11, s5, 1
	v_add_co_u32_e64 v4, s[0:1], s10, v4
	v_addc_co_u32_e64 v5, s[0:1], v5, v8, s[0:1]
	s_cmp_gt_u32 s5, 2
	v_cmp_le_i32_e32 vcc, s7, v1
	s_cselect_b64 s[0:1], -1, 0
	s_or_b64 s[0:1], s[0:1], vcc
	s_and_b64 s[0:1], exec, s[0:1]
	v_add_u32_e32 v1, s23, v1
	s_mov_b32 s5, s11
	s_or_b64 s[8:9], s[0:1], s[8:9]
	s_waitcnt vmcnt(0)
	v_fmac_f32_e32 v6, v9, v10
	s_andn2_b64 exec, exec, s[8:9]
	s_cbranch_execnz .LBB606_2
; %bb.3:
	s_or_b64 exec, exec, s[8:9]
.LBB606_4:
	s_or_b64 exec, exec, s[20:21]
	v_and_b32_e32 v2, 63, v0
	v_cmp_gt_u32_e32 vcc, 64, v0
	v_lshlrev_b32_e32 v1, 2, v2
	s_and_saveexec_b64 s[0:1], vcc
	s_cbranch_execz .LBB606_6
; %bb.5:
	v_mov_b32_e32 v3, 0
	ds_write_b32 v1, v3
.LBB606_6:
	s_or_b64 exec, exec, s[0:1]
	v_mbcnt_lo_u32_b32 v3, -1, 0
	v_mbcnt_hi_u32_b32 v5, -1, v3
	v_and_b32_e32 v7, 63, v5
	v_cmp_gt_u32_e64 s[0:1], 32, v7
	v_cndmask_b32_e64 v3, 0, 1, s[0:1]
	v_lshlrev_b32_e32 v3, 5, v3
	v_add_lshl_u32 v3, v3, v5, 2
	ds_bpermute_b32 v3, v3, v6
	v_cmp_gt_u32_e64 s[0:1], 48, v7
	v_cndmask_b32_e64 v4, 0, 1, s[0:1]
	v_lshlrev_b32_e32 v4, 4, v4
	v_add_lshl_u32 v4, v4, v5, 2
	s_waitcnt lgkmcnt(0)
	v_add_f32_e32 v3, v6, v3
	ds_bpermute_b32 v4, v4, v3
	v_cmp_gt_u32_e64 s[0:1], 56, v7
	v_cndmask_b32_e64 v6, 0, 1, s[0:1]
	v_lshlrev_b32_e32 v6, 3, v6
	v_cmp_gt_u32_e64 s[0:1], 60, v7
	s_waitcnt lgkmcnt(0)
	v_add_f32_e32 v3, v3, v4
	v_add_lshl_u32 v4, v6, v5, 2
	ds_bpermute_b32 v4, v4, v3
	v_cndmask_b32_e64 v6, 0, 1, s[0:1]
	v_lshlrev_b32_e32 v6, 2, v6
	v_cmp_gt_u32_e64 s[0:1], 62, v7
	v_cndmask_b32_e64 v8, 0, 1, s[0:1]
	s_waitcnt lgkmcnt(0)
	v_add_f32_e32 v4, v3, v4
	v_add_lshl_u32 v3, v6, v5, 2
	ds_bpermute_b32 v6, v3, v4
	v_lshlrev_b32_e32 v8, 1, v8
	v_cmp_ne_u32_e64 s[0:1], 63, v7
	s_waitcnt lgkmcnt(0)
	s_barrier
	v_add_f32_e32 v6, v4, v6
	v_add_lshl_u32 v4, v8, v5, 2
	ds_bpermute_b32 v8, v4, v6
	v_addc_co_u32_e64 v5, s[0:1], 0, v5, s[0:1]
	v_lshlrev_b32_e32 v5, 2, v5
	v_cmp_eq_u32_e64 s[0:1], 0, v2
	s_waitcnt lgkmcnt(0)
	v_add_f32_e32 v6, v6, v8
	ds_bpermute_b32 v7, v5, v6
	s_waitcnt lgkmcnt(0)
	s_and_saveexec_b64 s[4:5], s[0:1]
	s_cbranch_execz .LBB606_8
; %bb.7:
	v_add_f32_e32 v2, v6, v7
	v_lshrrev_b32_e32 v6, 4, v0
	v_and_b32_e32 v6, 28, v6
	ds_write_b32 v6, v2
.LBB606_8:
	s_or_b64 exec, exec, s[4:5]
	v_cmp_gt_u32_e64 s[0:1], 8, v0
	v_mov_b32_e32 v2, 0
	s_waitcnt lgkmcnt(0)
	s_barrier
	s_and_saveexec_b64 s[4:5], s[0:1]
	s_cbranch_execnz .LBB606_12
; %bb.9:
	s_or_b64 exec, exec, s[4:5]
	s_and_saveexec_b64 s[0:1], vcc
	s_cbranch_execnz .LBB606_13
.LBB606_10:
	s_or_b64 exec, exec, s[0:1]
	v_cmp_eq_u32_e32 vcc, 0, v0
	s_and_saveexec_b64 s[0:1], vcc
	s_cbranch_execnz .LBB606_14
.LBB606_11:
	s_endpgm
.LBB606_12:
	ds_read_b32 v2, v1
	s_or_b64 exec, exec, s[4:5]
	s_and_saveexec_b64 s[0:1], vcc
	s_cbranch_execz .LBB606_10
.LBB606_13:
	s_waitcnt lgkmcnt(0)
	ds_bpermute_b32 v1, v3, v2
	s_waitcnt lgkmcnt(0)
	v_add_f32_e32 v1, v2, v1
	ds_bpermute_b32 v2, v4, v1
	s_waitcnt lgkmcnt(0)
	v_add_f32_e32 v1, v1, v2
	;; [unrolled: 3-line block ×3, first 2 shown]
	s_or_b64 exec, exec, s[0:1]
	v_cmp_eq_u32_e32 vcc, 0, v0
	s_and_saveexec_b64 s[0:1], vcc
	s_cbranch_execz .LBB606_11
.LBB606_14:
	s_cmp_lg_u32 s22, 1
	s_cbranch_scc0 .LBB606_16
; %bb.15:
	s_mul_hi_u32 s1, s22, s2
	s_mul_i32 s0, s22, s2
	s_lshl_b64 s[0:1], s[0:1], 2
	s_mov_b32 s7, 0
	s_add_u32 s4, s16, s0
	s_addc_u32 s5, s17, s1
	s_lshl_b64 s[0:1], s[6:7], 2
	s_add_u32 s0, s4, s0
	s_addc_u32 s1, s5, s1
	s_cbranch_execz .LBB606_17
	s_branch .LBB606_18
.LBB606_16:
                                        ; implicit-def: $sgpr0_sgpr1
.LBB606_17:
	s_lshl_b64 s[0:1], s[2:3], 2
	s_add_u32 s0, s18, s0
	s_addc_u32 s1, s19, s1
.LBB606_18:
	v_mov_b32_e32 v0, 0
	s_waitcnt lgkmcnt(0)
	global_store_dword v0, v2, s[0:1]
	s_endpgm
	.section	.rodata,"a",@progbits
	.p2align	6, 0x0
	.amdhsa_kernel _ZL18rocblas_dot_kernelIlLb0ELi512ELi4ELb1EfPKffEviT5_lT_lS2_lS3_liPT6_PT4_
		.amdhsa_group_segment_fixed_size 256
		.amdhsa_private_segment_fixed_size 0
		.amdhsa_kernarg_size 352
		.amdhsa_user_sgpr_count 6
		.amdhsa_user_sgpr_private_segment_buffer 1
		.amdhsa_user_sgpr_dispatch_ptr 0
		.amdhsa_user_sgpr_queue_ptr 0
		.amdhsa_user_sgpr_kernarg_segment_ptr 1
		.amdhsa_user_sgpr_dispatch_id 0
		.amdhsa_user_sgpr_flat_scratch_init 0
		.amdhsa_user_sgpr_kernarg_preload_length 0
		.amdhsa_user_sgpr_kernarg_preload_offset 0
		.amdhsa_user_sgpr_private_segment_size 0
		.amdhsa_uses_dynamic_stack 0
		.amdhsa_system_sgpr_private_segment_wavefront_offset 0
		.amdhsa_system_sgpr_workgroup_id_x 1
		.amdhsa_system_sgpr_workgroup_id_y 0
		.amdhsa_system_sgpr_workgroup_id_z 1
		.amdhsa_system_sgpr_workgroup_info 0
		.amdhsa_system_vgpr_workitem_id 0
		.amdhsa_next_free_vgpr 11
		.amdhsa_next_free_sgpr 30
		.amdhsa_accum_offset 12
		.amdhsa_reserve_vcc 1
		.amdhsa_reserve_flat_scratch 0
		.amdhsa_float_round_mode_32 0
		.amdhsa_float_round_mode_16_64 0
		.amdhsa_float_denorm_mode_32 3
		.amdhsa_float_denorm_mode_16_64 3
		.amdhsa_dx10_clamp 1
		.amdhsa_ieee_mode 1
		.amdhsa_fp16_overflow 0
		.amdhsa_tg_split 0
		.amdhsa_exception_fp_ieee_invalid_op 0
		.amdhsa_exception_fp_denorm_src 0
		.amdhsa_exception_fp_ieee_div_zero 0
		.amdhsa_exception_fp_ieee_overflow 0
		.amdhsa_exception_fp_ieee_underflow 0
		.amdhsa_exception_fp_ieee_inexact 0
		.amdhsa_exception_int_div_zero 0
	.end_amdhsa_kernel
	.section	.text._ZL18rocblas_dot_kernelIlLb0ELi512ELi4ELb1EfPKffEviT5_lT_lS2_lS3_liPT6_PT4_,"axG",@progbits,_ZL18rocblas_dot_kernelIlLb0ELi512ELi4ELb1EfPKffEviT5_lT_lS2_lS3_liPT6_PT4_,comdat
.Lfunc_end606:
	.size	_ZL18rocblas_dot_kernelIlLb0ELi512ELi4ELb1EfPKffEviT5_lT_lS2_lS3_liPT6_PT4_, .Lfunc_end606-_ZL18rocblas_dot_kernelIlLb0ELi512ELi4ELb1EfPKffEviT5_lT_lS2_lS3_liPT6_PT4_
                                        ; -- End function
	.section	.AMDGPU.csdata,"",@progbits
; Kernel info:
; codeLenInByte = 1064
; NumSgprs: 34
; NumVgprs: 11
; NumAgprs: 0
; TotalNumVgprs: 11
; ScratchSize: 0
; MemoryBound: 0
; FloatMode: 240
; IeeeMode: 1
; LDSByteSize: 256 bytes/workgroup (compile time only)
; SGPRBlocks: 4
; VGPRBlocks: 1
; NumSGPRsForWavesPerEU: 34
; NumVGPRsForWavesPerEU: 11
; AccumOffset: 12
; Occupancy: 8
; WaveLimiterHint : 0
; COMPUTE_PGM_RSRC2:SCRATCH_EN: 0
; COMPUTE_PGM_RSRC2:USER_SGPR: 6
; COMPUTE_PGM_RSRC2:TRAP_HANDLER: 0
; COMPUTE_PGM_RSRC2:TGID_X_EN: 1
; COMPUTE_PGM_RSRC2:TGID_Y_EN: 0
; COMPUTE_PGM_RSRC2:TGID_Z_EN: 1
; COMPUTE_PGM_RSRC2:TIDIG_COMP_CNT: 0
; COMPUTE_PGM_RSRC3_GFX90A:ACCUM_OFFSET: 2
; COMPUTE_PGM_RSRC3_GFX90A:TG_SPLIT: 0
	.section	.text._ZL24rocblas_dot_kernel_magsqIlLb0ELi512ELi4ELb1EfPKffEviT5_lT_liPT6_PT4_,"axG",@progbits,_ZL24rocblas_dot_kernel_magsqIlLb0ELi512ELi4ELb1EfPKffEviT5_lT_liPT6_PT4_,comdat
	.globl	_ZL24rocblas_dot_kernel_magsqIlLb0ELi512ELi4ELb1EfPKffEviT5_lT_liPT6_PT4_ ; -- Begin function _ZL24rocblas_dot_kernel_magsqIlLb0ELi512ELi4ELb1EfPKffEviT5_lT_liPT6_PT4_
	.p2align	8
	.type	_ZL24rocblas_dot_kernel_magsqIlLb0ELi512ELi4ELb1EfPKffEviT5_lT_liPT6_PT4_,@function
_ZL24rocblas_dot_kernel_magsqIlLb0ELi512ELi4ELb1EfPKffEviT5_lT_liPT6_PT4_: ; @_ZL24rocblas_dot_kernel_magsqIlLb0ELi512ELi4ELb1EfPKffEviT5_lT_liPT6_PT4_
; %bb.0:
	s_mov_b32 s2, s7
	s_load_dword s7, s[4:5], 0x0
	s_load_dwordx4 s[8:11], s[4:5], 0x30
	s_load_dword s16, s[4:5], 0x40
	v_lshl_or_b32 v2, s6, 9, v0
	s_mov_b32 s3, 0
	s_waitcnt lgkmcnt(0)
	v_cmp_gt_i32_e32 vcc, s7, v2
	v_mov_b32_e32 v1, 0
	s_and_saveexec_b64 s[12:13], vcc
	s_cbranch_execz .LBB607_4
; %bb.1:
	s_load_dwordx2 s[0:1], s[4:5], 0x8
	s_load_dwordx4 s[20:23], s[4:5], 0x10
	s_load_dwordx2 s[14:15], s[4:5], 0x20
	s_lshl_b32 s17, s16, 9
	v_add_u32_e32 v4, s17, v2
	v_ashrrev_i32_e32 v1, 31, v2
	s_waitcnt lgkmcnt(0)
	v_mul_lo_u32 v5, s23, v2
	v_mad_u64_u32 v[2:3], s[4:5], s22, v2, 0
	s_mul_i32 s4, s15, s2
	s_mul_hi_u32 s5, s14, s2
	s_add_i32 s5, s5, s4
	s_mul_i32 s4, s14, s2
	s_lshl_b64 s[4:5], s[4:5], 2
	s_lshl_b64 s[14:15], s[20:21], 2
	v_mul_lo_u32 v1, s22, v1
	s_add_u32 s0, s0, s14
	v_add3_u32 v3, v3, v1, v5
	s_addc_u32 s1, s1, s15
	v_lshlrev_b64 v[2:3], 2, v[2:3]
	s_add_u32 s0, s0, s4
	s_addc_u32 s1, s1, s5
	v_add_co_u32_e32 v2, vcc, s0, v2
	s_ashr_i32 s0, s17, 31
	v_mov_b32_e32 v1, s1
	s_mul_i32 s0, s22, s0
	s_mul_hi_u32 s1, s22, s17
	s_add_i32 s0, s1, s0
	s_mul_i32 s1, s23, s17
	s_add_i32 s1, s0, s1
	s_mul_i32 s0, s22, s17
	s_lshl_b64 s[14:15], s[0:1], 2
	v_addc_co_u32_e32 v3, vcc, v1, v3, vcc
	s_mov_b64 s[4:5], 0
	v_mov_b32_e32 v1, 0
	v_mov_b32_e32 v5, s15
	s_mov_b32 s15, s3
.LBB607_2:                              ; =>This Inner Loop Header: Depth=1
	global_load_dword v6, v[2:3], off
	s_add_i32 s18, s15, 1
	v_add_co_u32_e64 v2, s[0:1], s14, v2
	v_addc_co_u32_e64 v3, s[0:1], v3, v5, s[0:1]
	s_cmp_gt_u32 s15, 2
	v_cmp_le_i32_e32 vcc, s7, v4
	s_cselect_b64 s[0:1], -1, 0
	s_or_b64 s[0:1], s[0:1], vcc
	s_and_b64 s[0:1], exec, s[0:1]
	v_add_u32_e32 v4, s17, v4
	s_mov_b32 s15, s18
	s_or_b64 s[4:5], s[0:1], s[4:5]
	s_waitcnt vmcnt(0)
	v_fmac_f32_e32 v1, v6, v6
	s_andn2_b64 exec, exec, s[4:5]
	s_cbranch_execnz .LBB607_2
; %bb.3:
	s_or_b64 exec, exec, s[4:5]
.LBB607_4:
	s_or_b64 exec, exec, s[12:13]
	v_and_b32_e32 v3, 63, v0
	v_cmp_gt_u32_e32 vcc, 64, v0
	v_lshlrev_b32_e32 v2, 2, v3
	s_and_saveexec_b64 s[0:1], vcc
	s_cbranch_execz .LBB607_6
; %bb.5:
	v_mov_b32_e32 v4, 0
	ds_write_b32 v2, v4
.LBB607_6:
	s_or_b64 exec, exec, s[0:1]
	v_mbcnt_lo_u32_b32 v4, -1, 0
	v_mbcnt_hi_u32_b32 v6, -1, v4
	v_and_b32_e32 v7, 63, v6
	v_cmp_gt_u32_e64 s[0:1], 32, v7
	v_cndmask_b32_e64 v4, 0, 1, s[0:1]
	v_lshlrev_b32_e32 v4, 5, v4
	v_add_lshl_u32 v4, v4, v6, 2
	ds_bpermute_b32 v4, v4, v1
	v_cmp_gt_u32_e64 s[0:1], 48, v7
	v_cndmask_b32_e64 v5, 0, 1, s[0:1]
	v_lshlrev_b32_e32 v5, 4, v5
	v_cmp_gt_u32_e64 s[0:1], 56, v7
	s_waitcnt lgkmcnt(0)
	v_add_f32_e32 v1, v1, v4
	v_add_lshl_u32 v4, v5, v6, 2
	ds_bpermute_b32 v4, v4, v1
	v_cndmask_b32_e64 v5, 0, 1, s[0:1]
	v_lshlrev_b32_e32 v5, 3, v5
	v_cmp_gt_u32_e64 s[0:1], 60, v7
	s_waitcnt lgkmcnt(0)
	v_add_f32_e32 v1, v1, v4
	v_add_lshl_u32 v4, v5, v6, 2
	ds_bpermute_b32 v4, v4, v1
	v_cndmask_b32_e64 v5, 0, 1, s[0:1]
	v_lshlrev_b32_e32 v5, 2, v5
	v_cmp_gt_u32_e64 s[0:1], 62, v7
	v_cndmask_b32_e64 v8, 0, 1, s[0:1]
	s_waitcnt lgkmcnt(0)
	v_add_f32_e32 v1, v1, v4
	v_add_lshl_u32 v4, v5, v6, 2
	ds_bpermute_b32 v5, v4, v1
	v_lshlrev_b32_e32 v8, 1, v8
	v_cmp_ne_u32_e64 s[0:1], 63, v7
	s_barrier
	s_waitcnt lgkmcnt(0)
	v_add_f32_e32 v1, v1, v5
	v_add_lshl_u32 v5, v8, v6, 2
	ds_bpermute_b32 v8, v5, v1
	v_addc_co_u32_e64 v6, s[0:1], 0, v6, s[0:1]
	v_lshlrev_b32_e32 v6, 2, v6
	v_cmp_eq_u32_e64 s[0:1], 0, v3
	s_waitcnt lgkmcnt(0)
	v_add_f32_e32 v1, v1, v8
	ds_bpermute_b32 v7, v6, v1
	s_and_saveexec_b64 s[4:5], s[0:1]
	s_cbranch_execz .LBB607_8
; %bb.7:
	v_lshrrev_b32_e32 v3, 4, v0
	s_waitcnt lgkmcnt(0)
	v_add_f32_e32 v1, v1, v7
	v_and_b32_e32 v3, 28, v3
	ds_write_b32 v3, v1
.LBB607_8:
	s_or_b64 exec, exec, s[4:5]
	v_cmp_gt_u32_e64 s[0:1], 8, v0
	v_mov_b32_e32 v1, 0
	s_waitcnt lgkmcnt(0)
	s_barrier
	s_and_saveexec_b64 s[4:5], s[0:1]
	s_cbranch_execnz .LBB607_12
; %bb.9:
	s_or_b64 exec, exec, s[4:5]
	s_and_saveexec_b64 s[0:1], vcc
	s_cbranch_execnz .LBB607_13
.LBB607_10:
	s_or_b64 exec, exec, s[0:1]
	v_cmp_eq_u32_e32 vcc, 0, v0
	s_and_saveexec_b64 s[0:1], vcc
	s_cbranch_execnz .LBB607_14
.LBB607_11:
	s_endpgm
.LBB607_12:
	ds_read_b32 v1, v2
	s_or_b64 exec, exec, s[4:5]
	s_and_saveexec_b64 s[0:1], vcc
	s_cbranch_execz .LBB607_10
.LBB607_13:
	s_waitcnt lgkmcnt(0)
	ds_bpermute_b32 v2, v4, v1
	s_waitcnt lgkmcnt(0)
	v_add_f32_e32 v1, v1, v2
	ds_bpermute_b32 v2, v5, v1
	s_waitcnt lgkmcnt(0)
	v_add_f32_e32 v1, v1, v2
	;; [unrolled: 3-line block ×3, first 2 shown]
	s_or_b64 exec, exec, s[0:1]
	v_cmp_eq_u32_e32 vcc, 0, v0
	s_and_saveexec_b64 s[0:1], vcc
	s_cbranch_execz .LBB607_11
.LBB607_14:
	s_cmp_lg_u32 s16, 1
	s_cbranch_scc0 .LBB607_16
; %bb.15:
	s_mul_hi_u32 s1, s16, s2
	s_mul_i32 s0, s16, s2
	s_lshl_b64 s[0:1], s[0:1], 2
	s_mov_b32 s7, 0
	s_add_u32 s4, s8, s0
	s_addc_u32 s5, s9, s1
	s_lshl_b64 s[0:1], s[6:7], 2
	s_add_u32 s0, s4, s0
	s_addc_u32 s1, s5, s1
	s_cbranch_execz .LBB607_17
	s_branch .LBB607_18
.LBB607_16:
                                        ; implicit-def: $sgpr0_sgpr1
.LBB607_17:
	s_lshl_b64 s[0:1], s[2:3], 2
	s_add_u32 s0, s10, s0
	s_addc_u32 s1, s11, s1
.LBB607_18:
	v_mov_b32_e32 v0, 0
	s_waitcnt lgkmcnt(0)
	global_store_dword v0, v1, s[0:1]
	s_endpgm
	.section	.rodata,"a",@progbits
	.p2align	6, 0x0
	.amdhsa_kernel _ZL24rocblas_dot_kernel_magsqIlLb0ELi512ELi4ELb1EfPKffEviT5_lT_liPT6_PT4_
		.amdhsa_group_segment_fixed_size 256
		.amdhsa_private_segment_fixed_size 0
		.amdhsa_kernarg_size 320
		.amdhsa_user_sgpr_count 6
		.amdhsa_user_sgpr_private_segment_buffer 1
		.amdhsa_user_sgpr_dispatch_ptr 0
		.amdhsa_user_sgpr_queue_ptr 0
		.amdhsa_user_sgpr_kernarg_segment_ptr 1
		.amdhsa_user_sgpr_dispatch_id 0
		.amdhsa_user_sgpr_flat_scratch_init 0
		.amdhsa_user_sgpr_kernarg_preload_length 0
		.amdhsa_user_sgpr_kernarg_preload_offset 0
		.amdhsa_user_sgpr_private_segment_size 0
		.amdhsa_uses_dynamic_stack 0
		.amdhsa_system_sgpr_private_segment_wavefront_offset 0
		.amdhsa_system_sgpr_workgroup_id_x 1
		.amdhsa_system_sgpr_workgroup_id_y 0
		.amdhsa_system_sgpr_workgroup_id_z 1
		.amdhsa_system_sgpr_workgroup_info 0
		.amdhsa_system_vgpr_workitem_id 0
		.amdhsa_next_free_vgpr 9
		.amdhsa_next_free_sgpr 24
		.amdhsa_accum_offset 12
		.amdhsa_reserve_vcc 1
		.amdhsa_reserve_flat_scratch 0
		.amdhsa_float_round_mode_32 0
		.amdhsa_float_round_mode_16_64 0
		.amdhsa_float_denorm_mode_32 3
		.amdhsa_float_denorm_mode_16_64 3
		.amdhsa_dx10_clamp 1
		.amdhsa_ieee_mode 1
		.amdhsa_fp16_overflow 0
		.amdhsa_tg_split 0
		.amdhsa_exception_fp_ieee_invalid_op 0
		.amdhsa_exception_fp_denorm_src 0
		.amdhsa_exception_fp_ieee_div_zero 0
		.amdhsa_exception_fp_ieee_overflow 0
		.amdhsa_exception_fp_ieee_underflow 0
		.amdhsa_exception_fp_ieee_inexact 0
		.amdhsa_exception_int_div_zero 0
	.end_amdhsa_kernel
	.section	.text._ZL24rocblas_dot_kernel_magsqIlLb0ELi512ELi4ELb1EfPKffEviT5_lT_liPT6_PT4_,"axG",@progbits,_ZL24rocblas_dot_kernel_magsqIlLb0ELi512ELi4ELb1EfPKffEviT5_lT_liPT6_PT4_,comdat
.Lfunc_end607:
	.size	_ZL24rocblas_dot_kernel_magsqIlLb0ELi512ELi4ELb1EfPKffEviT5_lT_liPT6_PT4_, .Lfunc_end607-_ZL24rocblas_dot_kernel_magsqIlLb0ELi512ELi4ELb1EfPKffEviT5_lT_liPT6_PT4_
                                        ; -- End function
	.section	.AMDGPU.csdata,"",@progbits
; Kernel info:
; codeLenInByte = 908
; NumSgprs: 28
; NumVgprs: 9
; NumAgprs: 0
; TotalNumVgprs: 9
; ScratchSize: 0
; MemoryBound: 0
; FloatMode: 240
; IeeeMode: 1
; LDSByteSize: 256 bytes/workgroup (compile time only)
; SGPRBlocks: 3
; VGPRBlocks: 1
; NumSGPRsForWavesPerEU: 28
; NumVGPRsForWavesPerEU: 9
; AccumOffset: 12
; Occupancy: 8
; WaveLimiterHint : 0
; COMPUTE_PGM_RSRC2:SCRATCH_EN: 0
; COMPUTE_PGM_RSRC2:USER_SGPR: 6
; COMPUTE_PGM_RSRC2:TRAP_HANDLER: 0
; COMPUTE_PGM_RSRC2:TGID_X_EN: 1
; COMPUTE_PGM_RSRC2:TGID_Y_EN: 0
; COMPUTE_PGM_RSRC2:TGID_Z_EN: 1
; COMPUTE_PGM_RSRC2:TIDIG_COMP_CNT: 0
; COMPUTE_PGM_RSRC3_GFX90A:ACCUM_OFFSET: 2
; COMPUTE_PGM_RSRC3_GFX90A:TG_SPLIT: 0
	.section	.text._ZL28rocblas_dot_batched_4_kernelIiLi32ELi4ELb1EffPKPKfEviT5_lT_lS4_lS5_liPT4_,"axG",@progbits,_ZL28rocblas_dot_batched_4_kernelIiLi32ELi4ELb1EffPKPKfEviT5_lT_lS4_lS5_liPT4_,comdat
	.globl	_ZL28rocblas_dot_batched_4_kernelIiLi32ELi4ELb1EffPKPKfEviT5_lT_lS4_lS5_liPT4_ ; -- Begin function _ZL28rocblas_dot_batched_4_kernelIiLi32ELi4ELb1EffPKPKfEviT5_lT_lS4_lS5_liPT4_
	.p2align	8
	.type	_ZL28rocblas_dot_batched_4_kernelIiLi32ELi4ELb1EffPKPKfEviT5_lT_lS4_lS5_liPT4_,@function
_ZL28rocblas_dot_batched_4_kernelIiLi32ELi4ELb1EffPKPKfEviT5_lT_lS4_lS5_liPT4_: ; @_ZL28rocblas_dot_batched_4_kernelIiLi32ELi4ELb1EffPKPKfEviT5_lT_lS4_lS5_liPT4_
; %bb.0:
	s_load_dword s0, s[4:5], 0x48
	v_bfe_u32 v1, v0, 10, 10
	v_lshl_add_u32 v2, s6, 2, v1
	s_waitcnt lgkmcnt(0)
	v_cmp_gt_u32_e32 vcc, s0, v2
	s_and_saveexec_b64 s[0:1], vcc
	s_cbranch_execz .LBB608_7
; %bb.1:
	s_load_dword s14, s[4:5], 0x0
	s_load_dwordx2 s[6:7], s[4:5], 0x50
	v_mov_b32_e32 v3, 0
	v_and_b32_e32 v6, 0x3ff, v0
	v_mov_b32_e32 v7, v3
	s_waitcnt lgkmcnt(0)
	v_cmp_gt_i32_e32 vcc, s14, v6
	s_and_saveexec_b64 s[12:13], vcc
	s_cbranch_execz .LBB608_5
; %bb.2:
	s_load_dwordx4 s[0:3], s[4:5], 0x8
	s_load_dwordx4 s[8:11], s[4:5], 0x28
	v_lshlrev_b64 v[0:1], 3, v[2:3]
	s_load_dword s16, s[4:5], 0x18
	s_waitcnt lgkmcnt(0)
	v_mov_b32_e32 v5, s1
	v_add_co_u32_e32 v4, vcc, s0, v0
	v_addc_co_u32_e32 v5, vcc, v5, v1, vcc
	global_load_dwordx2 v[4:5], v[4:5], off
	v_mov_b32_e32 v7, s9
	v_add_co_u32_e32 v0, vcc, s8, v0
	v_addc_co_u32_e32 v1, vcc, v7, v1, vcc
	global_load_dwordx2 v[10:11], v[0:1], off
	s_load_dword s4, s[4:5], 0x38
	v_mad_i64_i32 v[0:1], s[8:9], s16, v6, 0
	s_lshl_b64 s[8:9], s[2:3], 2
	v_lshlrev_b64 v[0:1], 2, v[0:1]
	s_waitcnt lgkmcnt(0)
	v_mad_i64_i32 v[8:9], s[2:3], s4, v6, 0
	v_mov_b32_e32 v12, s9
	v_add_co_u32_e32 v0, vcc, s8, v0
	s_lshl_b64 s[10:11], s[10:11], 2
	v_lshlrev_b64 v[8:9], 2, v[8:9]
	v_addc_co_u32_e32 v1, vcc, v1, v12, vcc
	v_mov_b32_e32 v13, s11
	v_add_co_u32_e32 v12, vcc, s10, v8
	v_addc_co_u32_e32 v13, vcc, v9, v13, vcc
	s_ashr_i32 s17, s16, 31
	s_ashr_i32 s5, s4, 31
	s_lshl_b64 s[2:3], s[16:17], 7
	s_lshl_b64 s[4:5], s[4:5], 7
	s_mov_b64 s[0:1], 0
	v_mov_b32_e32 v7, 0
	v_mov_b32_e32 v8, s3
	;; [unrolled: 1-line block ×3, first 2 shown]
	s_waitcnt vmcnt(1)
	v_add_co_u32_e32 v0, vcc, v4, v0
	v_addc_co_u32_e32 v1, vcc, v5, v1, vcc
	s_waitcnt vmcnt(0)
	v_add_co_u32_e32 v4, vcc, v10, v12
	v_addc_co_u32_e32 v5, vcc, v11, v13, vcc
	v_mov_b32_e32 v10, v6
.LBB608_3:                              ; =>This Inner Loop Header: Depth=1
	global_load_dword v11, v[0:1], off
	global_load_dword v12, v[4:5], off
	v_add_co_u32_e32 v0, vcc, s2, v0
	v_addc_co_u32_e32 v1, vcc, v1, v8, vcc
	v_add_co_u32_e32 v4, vcc, s4, v4
	v_add_u32_e32 v10, 32, v10
	v_addc_co_u32_e32 v5, vcc, v5, v9, vcc
	v_cmp_le_i32_e32 vcc, s14, v10
	s_or_b64 s[0:1], vcc, s[0:1]
	s_waitcnt vmcnt(0)
	v_fmac_f32_e32 v7, v11, v12
	s_andn2_b64 exec, exec, s[0:1]
	s_cbranch_execnz .LBB608_3
; %bb.4:
	s_or_b64 exec, exec, s[0:1]
.LBB608_5:
	s_or_b64 exec, exec, s[12:13]
	v_mbcnt_lo_u32_b32 v0, -1, 0
	v_mbcnt_hi_u32_b32 v0, -1, v0
	v_and_b32_e32 v1, 63, v0
	v_cmp_gt_u32_e32 vcc, 48, v1
	v_cndmask_b32_e64 v4, 0, 1, vcc
	v_lshlrev_b32_e32 v4, 4, v4
	v_add_lshl_u32 v4, v4, v0, 2
	ds_bpermute_b32 v4, v4, v7
	v_cmp_gt_u32_e32 vcc, 56, v1
	v_cndmask_b32_e64 v5, 0, 1, vcc
	v_lshlrev_b32_e32 v5, 3, v5
	v_add_lshl_u32 v5, v5, v0, 2
	s_waitcnt lgkmcnt(0)
	v_add_f32_e32 v4, v7, v4
	ds_bpermute_b32 v5, v5, v4
	v_cmp_gt_u32_e32 vcc, 60, v1
	v_cndmask_b32_e64 v7, 0, 1, vcc
	v_lshlrev_b32_e32 v7, 2, v7
	v_cmp_gt_u32_e32 vcc, 62, v1
	s_waitcnt lgkmcnt(0)
	v_add_f32_e32 v4, v4, v5
	v_add_lshl_u32 v5, v7, v0, 2
	ds_bpermute_b32 v5, v5, v4
	v_cndmask_b32_e64 v7, 0, 1, vcc
	v_lshlrev_b32_e32 v7, 1, v7
	v_cmp_ne_u32_e32 vcc, 63, v1
	v_addc_co_u32_e32 v1, vcc, 0, v0, vcc
	s_waitcnt lgkmcnt(0)
	v_add_f32_e32 v4, v4, v5
	v_add_lshl_u32 v5, v7, v0, 2
	ds_bpermute_b32 v5, v5, v4
	v_lshlrev_b32_e32 v1, 2, v1
	v_cmp_eq_u32_e32 vcc, 0, v6
	s_waitcnt lgkmcnt(0)
	s_barrier
	v_add_f32_e32 v0, v4, v5
	ds_bpermute_b32 v1, v1, v0
	s_waitcnt lgkmcnt(0)
	s_and_b64 exec, exec, vcc
	s_cbranch_execz .LBB608_7
; %bb.6:
	v_lshlrev_b64 v[2:3], 2, v[2:3]
	v_mov_b32_e32 v4, s7
	v_add_co_u32_e32 v2, vcc, s6, v2
	v_addc_co_u32_e32 v3, vcc, v4, v3, vcc
	v_add_f32_e32 v0, v0, v1
	global_store_dword v[2:3], v0, off
.LBB608_7:
	s_endpgm
	.section	.rodata,"a",@progbits
	.p2align	6, 0x0
	.amdhsa_kernel _ZL28rocblas_dot_batched_4_kernelIiLi32ELi4ELb1EffPKPKfEviT5_lT_lS4_lS5_liPT4_
		.amdhsa_group_segment_fixed_size 0
		.amdhsa_private_segment_fixed_size 0
		.amdhsa_kernarg_size 88
		.amdhsa_user_sgpr_count 6
		.amdhsa_user_sgpr_private_segment_buffer 1
		.amdhsa_user_sgpr_dispatch_ptr 0
		.amdhsa_user_sgpr_queue_ptr 0
		.amdhsa_user_sgpr_kernarg_segment_ptr 1
		.amdhsa_user_sgpr_dispatch_id 0
		.amdhsa_user_sgpr_flat_scratch_init 0
		.amdhsa_user_sgpr_kernarg_preload_length 0
		.amdhsa_user_sgpr_kernarg_preload_offset 0
		.amdhsa_user_sgpr_private_segment_size 0
		.amdhsa_uses_dynamic_stack 0
		.amdhsa_system_sgpr_private_segment_wavefront_offset 0
		.amdhsa_system_sgpr_workgroup_id_x 1
		.amdhsa_system_sgpr_workgroup_id_y 0
		.amdhsa_system_sgpr_workgroup_id_z 0
		.amdhsa_system_sgpr_workgroup_info 0
		.amdhsa_system_vgpr_workitem_id 1
		.amdhsa_next_free_vgpr 14
		.amdhsa_next_free_sgpr 18
		.amdhsa_accum_offset 16
		.amdhsa_reserve_vcc 1
		.amdhsa_reserve_flat_scratch 0
		.amdhsa_float_round_mode_32 0
		.amdhsa_float_round_mode_16_64 0
		.amdhsa_float_denorm_mode_32 3
		.amdhsa_float_denorm_mode_16_64 3
		.amdhsa_dx10_clamp 1
		.amdhsa_ieee_mode 1
		.amdhsa_fp16_overflow 0
		.amdhsa_tg_split 0
		.amdhsa_exception_fp_ieee_invalid_op 0
		.amdhsa_exception_fp_denorm_src 0
		.amdhsa_exception_fp_ieee_div_zero 0
		.amdhsa_exception_fp_ieee_overflow 0
		.amdhsa_exception_fp_ieee_underflow 0
		.amdhsa_exception_fp_ieee_inexact 0
		.amdhsa_exception_int_div_zero 0
	.end_amdhsa_kernel
	.section	.text._ZL28rocblas_dot_batched_4_kernelIiLi32ELi4ELb1EffPKPKfEviT5_lT_lS4_lS5_liPT4_,"axG",@progbits,_ZL28rocblas_dot_batched_4_kernelIiLi32ELi4ELb1EffPKPKfEviT5_lT_lS4_lS5_liPT4_,comdat
.Lfunc_end608:
	.size	_ZL28rocblas_dot_batched_4_kernelIiLi32ELi4ELb1EffPKPKfEviT5_lT_lS4_lS5_liPT4_, .Lfunc_end608-_ZL28rocblas_dot_batched_4_kernelIiLi32ELi4ELb1EffPKPKfEviT5_lT_lS4_lS5_liPT4_
                                        ; -- End function
	.section	.AMDGPU.csdata,"",@progbits
; Kernel info:
; codeLenInByte = 624
; NumSgprs: 22
; NumVgprs: 14
; NumAgprs: 0
; TotalNumVgprs: 14
; ScratchSize: 0
; MemoryBound: 0
; FloatMode: 240
; IeeeMode: 1
; LDSByteSize: 0 bytes/workgroup (compile time only)
; SGPRBlocks: 2
; VGPRBlocks: 1
; NumSGPRsForWavesPerEU: 22
; NumVGPRsForWavesPerEU: 14
; AccumOffset: 16
; Occupancy: 8
; WaveLimiterHint : 0
; COMPUTE_PGM_RSRC2:SCRATCH_EN: 0
; COMPUTE_PGM_RSRC2:USER_SGPR: 6
; COMPUTE_PGM_RSRC2:TRAP_HANDLER: 0
; COMPUTE_PGM_RSRC2:TGID_X_EN: 1
; COMPUTE_PGM_RSRC2:TGID_Y_EN: 0
; COMPUTE_PGM_RSRC2:TGID_Z_EN: 0
; COMPUTE_PGM_RSRC2:TIDIG_COMP_CNT: 1
; COMPUTE_PGM_RSRC3_GFX90A:ACCUM_OFFSET: 3
; COMPUTE_PGM_RSRC3_GFX90A:TG_SPLIT: 0
	.section	.text._ZL28rocblas_dot_batched_4_kernelIiLi64ELi4ELb1EffPKPKfEviT5_lT_lS4_lS5_liPT4_,"axG",@progbits,_ZL28rocblas_dot_batched_4_kernelIiLi64ELi4ELb1EffPKPKfEviT5_lT_lS4_lS5_liPT4_,comdat
	.globl	_ZL28rocblas_dot_batched_4_kernelIiLi64ELi4ELb1EffPKPKfEviT5_lT_lS4_lS5_liPT4_ ; -- Begin function _ZL28rocblas_dot_batched_4_kernelIiLi64ELi4ELb1EffPKPKfEviT5_lT_lS4_lS5_liPT4_
	.p2align	8
	.type	_ZL28rocblas_dot_batched_4_kernelIiLi64ELi4ELb1EffPKPKfEviT5_lT_lS4_lS5_liPT4_,@function
_ZL28rocblas_dot_batched_4_kernelIiLi64ELi4ELb1EffPKPKfEviT5_lT_lS4_lS5_liPT4_: ; @_ZL28rocblas_dot_batched_4_kernelIiLi64ELi4ELb1EffPKPKfEviT5_lT_lS4_lS5_liPT4_
; %bb.0:
	s_load_dword s0, s[4:5], 0x48
	v_bfe_u32 v1, v0, 10, 10
	v_lshl_add_u32 v2, s6, 2, v1
	s_waitcnt lgkmcnt(0)
	v_cmp_gt_u32_e32 vcc, s0, v2
	s_and_saveexec_b64 s[0:1], vcc
	s_cbranch_execz .LBB609_7
; %bb.1:
	s_load_dword s14, s[4:5], 0x0
	s_load_dwordx2 s[6:7], s[4:5], 0x50
	v_mov_b32_e32 v3, 0
	v_and_b32_e32 v6, 0x3ff, v0
	v_mov_b32_e32 v7, v3
	s_waitcnt lgkmcnt(0)
	v_cmp_gt_i32_e32 vcc, s14, v6
	s_and_saveexec_b64 s[12:13], vcc
	s_cbranch_execz .LBB609_5
; %bb.2:
	s_load_dwordx4 s[0:3], s[4:5], 0x8
	s_load_dwordx4 s[8:11], s[4:5], 0x28
	v_lshlrev_b64 v[0:1], 3, v[2:3]
	s_load_dword s16, s[4:5], 0x18
	s_waitcnt lgkmcnt(0)
	v_mov_b32_e32 v5, s1
	v_add_co_u32_e32 v4, vcc, s0, v0
	v_addc_co_u32_e32 v5, vcc, v5, v1, vcc
	global_load_dwordx2 v[4:5], v[4:5], off
	v_mov_b32_e32 v7, s9
	v_add_co_u32_e32 v0, vcc, s8, v0
	v_addc_co_u32_e32 v1, vcc, v7, v1, vcc
	global_load_dwordx2 v[10:11], v[0:1], off
	s_load_dword s4, s[4:5], 0x38
	v_mad_i64_i32 v[0:1], s[8:9], s16, v6, 0
	s_lshl_b64 s[8:9], s[2:3], 2
	v_lshlrev_b64 v[0:1], 2, v[0:1]
	s_waitcnt lgkmcnt(0)
	v_mad_i64_i32 v[8:9], s[2:3], s4, v6, 0
	v_mov_b32_e32 v12, s9
	v_add_co_u32_e32 v0, vcc, s8, v0
	s_lshl_b64 s[10:11], s[10:11], 2
	v_lshlrev_b64 v[8:9], 2, v[8:9]
	v_addc_co_u32_e32 v1, vcc, v1, v12, vcc
	v_mov_b32_e32 v13, s11
	v_add_co_u32_e32 v12, vcc, s10, v8
	v_addc_co_u32_e32 v13, vcc, v9, v13, vcc
	s_ashr_i32 s17, s16, 31
	s_ashr_i32 s5, s4, 31
	s_lshl_b64 s[2:3], s[16:17], 8
	s_lshl_b64 s[4:5], s[4:5], 8
	s_mov_b64 s[0:1], 0
	v_mov_b32_e32 v7, 0
	v_mov_b32_e32 v8, s3
	;; [unrolled: 1-line block ×3, first 2 shown]
	s_waitcnt vmcnt(1)
	v_add_co_u32_e32 v0, vcc, v4, v0
	v_addc_co_u32_e32 v1, vcc, v5, v1, vcc
	s_waitcnt vmcnt(0)
	v_add_co_u32_e32 v4, vcc, v10, v12
	v_addc_co_u32_e32 v5, vcc, v11, v13, vcc
	v_mov_b32_e32 v10, v6
.LBB609_3:                              ; =>This Inner Loop Header: Depth=1
	global_load_dword v11, v[0:1], off
	global_load_dword v12, v[4:5], off
	v_add_co_u32_e32 v0, vcc, s2, v0
	v_addc_co_u32_e32 v1, vcc, v1, v8, vcc
	v_add_co_u32_e32 v4, vcc, s4, v4
	v_add_u32_e32 v10, 64, v10
	v_addc_co_u32_e32 v5, vcc, v5, v9, vcc
	v_cmp_le_i32_e32 vcc, s14, v10
	s_or_b64 s[0:1], vcc, s[0:1]
	s_waitcnt vmcnt(0)
	v_fmac_f32_e32 v7, v11, v12
	s_andn2_b64 exec, exec, s[0:1]
	s_cbranch_execnz .LBB609_3
; %bb.4:
	s_or_b64 exec, exec, s[0:1]
.LBB609_5:
	s_or_b64 exec, exec, s[12:13]
	v_mbcnt_lo_u32_b32 v0, -1, 0
	v_mbcnt_hi_u32_b32 v0, -1, v0
	v_and_b32_e32 v1, 63, v0
	v_cmp_gt_u32_e32 vcc, 32, v1
	v_cndmask_b32_e64 v4, 0, 1, vcc
	v_lshlrev_b32_e32 v4, 5, v4
	v_add_lshl_u32 v4, v4, v0, 2
	ds_bpermute_b32 v4, v4, v7
	v_cmp_gt_u32_e32 vcc, 48, v1
	v_cndmask_b32_e64 v5, 0, 1, vcc
	v_lshlrev_b32_e32 v5, 4, v5
	v_add_lshl_u32 v5, v5, v0, 2
	s_waitcnt lgkmcnt(0)
	v_add_f32_e32 v4, v7, v4
	ds_bpermute_b32 v5, v5, v4
	v_cmp_gt_u32_e32 vcc, 56, v1
	v_cndmask_b32_e64 v7, 0, 1, vcc
	v_lshlrev_b32_e32 v7, 3, v7
	v_cmp_gt_u32_e32 vcc, 60, v1
	s_waitcnt lgkmcnt(0)
	v_add_f32_e32 v4, v4, v5
	v_add_lshl_u32 v5, v7, v0, 2
	ds_bpermute_b32 v5, v5, v4
	v_cndmask_b32_e64 v7, 0, 1, vcc
	v_lshlrev_b32_e32 v7, 2, v7
	v_cmp_gt_u32_e32 vcc, 62, v1
	s_waitcnt lgkmcnt(0)
	v_add_f32_e32 v4, v4, v5
	v_add_lshl_u32 v5, v7, v0, 2
	ds_bpermute_b32 v5, v5, v4
	v_cndmask_b32_e64 v7, 0, 1, vcc
	v_lshlrev_b32_e32 v7, 1, v7
	v_cmp_ne_u32_e32 vcc, 63, v1
	v_addc_co_u32_e32 v1, vcc, 0, v0, vcc
	s_waitcnt lgkmcnt(0)
	v_add_f32_e32 v4, v4, v5
	v_add_lshl_u32 v5, v7, v0, 2
	ds_bpermute_b32 v5, v5, v4
	v_lshlrev_b32_e32 v1, 2, v1
	v_cmp_eq_u32_e32 vcc, 0, v6
	s_barrier
	s_waitcnt lgkmcnt(0)
	v_add_f32_e32 v0, v4, v5
	ds_bpermute_b32 v1, v1, v0
	s_and_b64 exec, exec, vcc
	s_cbranch_execz .LBB609_7
; %bb.6:
	v_lshlrev_b64 v[2:3], 2, v[2:3]
	v_mov_b32_e32 v4, s7
	v_add_co_u32_e32 v2, vcc, s6, v2
	v_addc_co_u32_e32 v3, vcc, v4, v3, vcc
	s_waitcnt lgkmcnt(0)
	v_add_f32_e32 v0, v0, v1
	global_store_dword v[2:3], v0, off
.LBB609_7:
	s_endpgm
	.section	.rodata,"a",@progbits
	.p2align	6, 0x0
	.amdhsa_kernel _ZL28rocblas_dot_batched_4_kernelIiLi64ELi4ELb1EffPKPKfEviT5_lT_lS4_lS5_liPT4_
		.amdhsa_group_segment_fixed_size 0
		.amdhsa_private_segment_fixed_size 0
		.amdhsa_kernarg_size 88
		.amdhsa_user_sgpr_count 6
		.amdhsa_user_sgpr_private_segment_buffer 1
		.amdhsa_user_sgpr_dispatch_ptr 0
		.amdhsa_user_sgpr_queue_ptr 0
		.amdhsa_user_sgpr_kernarg_segment_ptr 1
		.amdhsa_user_sgpr_dispatch_id 0
		.amdhsa_user_sgpr_flat_scratch_init 0
		.amdhsa_user_sgpr_kernarg_preload_length 0
		.amdhsa_user_sgpr_kernarg_preload_offset 0
		.amdhsa_user_sgpr_private_segment_size 0
		.amdhsa_uses_dynamic_stack 0
		.amdhsa_system_sgpr_private_segment_wavefront_offset 0
		.amdhsa_system_sgpr_workgroup_id_x 1
		.amdhsa_system_sgpr_workgroup_id_y 0
		.amdhsa_system_sgpr_workgroup_id_z 0
		.amdhsa_system_sgpr_workgroup_info 0
		.amdhsa_system_vgpr_workitem_id 1
		.amdhsa_next_free_vgpr 14
		.amdhsa_next_free_sgpr 18
		.amdhsa_accum_offset 16
		.amdhsa_reserve_vcc 1
		.amdhsa_reserve_flat_scratch 0
		.amdhsa_float_round_mode_32 0
		.amdhsa_float_round_mode_16_64 0
		.amdhsa_float_denorm_mode_32 3
		.amdhsa_float_denorm_mode_16_64 3
		.amdhsa_dx10_clamp 1
		.amdhsa_ieee_mode 1
		.amdhsa_fp16_overflow 0
		.amdhsa_tg_split 0
		.amdhsa_exception_fp_ieee_invalid_op 0
		.amdhsa_exception_fp_denorm_src 0
		.amdhsa_exception_fp_ieee_div_zero 0
		.amdhsa_exception_fp_ieee_overflow 0
		.amdhsa_exception_fp_ieee_underflow 0
		.amdhsa_exception_fp_ieee_inexact 0
		.amdhsa_exception_int_div_zero 0
	.end_amdhsa_kernel
	.section	.text._ZL28rocblas_dot_batched_4_kernelIiLi64ELi4ELb1EffPKPKfEviT5_lT_lS4_lS5_liPT4_,"axG",@progbits,_ZL28rocblas_dot_batched_4_kernelIiLi64ELi4ELb1EffPKPKfEviT5_lT_lS4_lS5_liPT4_,comdat
.Lfunc_end609:
	.size	_ZL28rocblas_dot_batched_4_kernelIiLi64ELi4ELb1EffPKPKfEviT5_lT_lS4_lS5_liPT4_, .Lfunc_end609-_ZL28rocblas_dot_batched_4_kernelIiLi64ELi4ELb1EffPKPKfEviT5_lT_lS4_lS5_liPT4_
                                        ; -- End function
	.section	.AMDGPU.csdata,"",@progbits
; Kernel info:
; codeLenInByte = 664
; NumSgprs: 22
; NumVgprs: 14
; NumAgprs: 0
; TotalNumVgprs: 14
; ScratchSize: 0
; MemoryBound: 0
; FloatMode: 240
; IeeeMode: 1
; LDSByteSize: 0 bytes/workgroup (compile time only)
; SGPRBlocks: 2
; VGPRBlocks: 1
; NumSGPRsForWavesPerEU: 22
; NumVGPRsForWavesPerEU: 14
; AccumOffset: 16
; Occupancy: 8
; WaveLimiterHint : 0
; COMPUTE_PGM_RSRC2:SCRATCH_EN: 0
; COMPUTE_PGM_RSRC2:USER_SGPR: 6
; COMPUTE_PGM_RSRC2:TRAP_HANDLER: 0
; COMPUTE_PGM_RSRC2:TGID_X_EN: 1
; COMPUTE_PGM_RSRC2:TGID_Y_EN: 0
; COMPUTE_PGM_RSRC2:TGID_Z_EN: 0
; COMPUTE_PGM_RSRC2:TIDIG_COMP_CNT: 1
; COMPUTE_PGM_RSRC3_GFX90A:ACCUM_OFFSET: 3
; COMPUTE_PGM_RSRC3_GFX90A:TG_SPLIT: 0
	.section	.text._ZL26rocblas_dot_kernel_inc1by2ILb1ELi1024ELi32ELb1EfPKPKffEviT4_llS4_lliPT5_PT3_,"axG",@progbits,_ZL26rocblas_dot_kernel_inc1by2ILb1ELi1024ELi32ELb1EfPKPKffEviT4_llS4_lliPT5_PT3_,comdat
	.globl	_ZL26rocblas_dot_kernel_inc1by2ILb1ELi1024ELi32ELb1EfPKPKffEviT4_llS4_lliPT5_PT3_ ; -- Begin function _ZL26rocblas_dot_kernel_inc1by2ILb1ELi1024ELi32ELb1EfPKPKffEviT4_llS4_lliPT5_PT3_
	.p2align	8
	.type	_ZL26rocblas_dot_kernel_inc1by2ILb1ELi1024ELi32ELb1EfPKPKffEviT4_llS4_lliPT5_PT3_,@function
_ZL26rocblas_dot_kernel_inc1by2ILb1ELi1024ELi32ELb1EfPKPKffEviT4_llS4_lliPT5_PT3_: ; @_ZL26rocblas_dot_kernel_inc1by2ILb1ELi1024ELi32ELb1EfPKPKffEviT4_llS4_lliPT5_PT3_
; %bb.0:
	s_load_dword s20, s[4:5], 0x0
	s_load_dwordx4 s[0:3], s[4:5], 0x8
	s_load_dwordx2 s[12:13], s[4:5], 0x48
	s_load_dwordx4 s[8:11], s[4:5], 0x20
	s_mov_b32 s6, s7
	s_mov_b32 s7, 0
	s_lshl_b64 s[14:15], s[6:7], 3
	s_waitcnt lgkmcnt(0)
	s_add_u32 s0, s0, s14
	s_addc_u32 s1, s1, s15
	s_load_dwordx2 s[4:5], s[0:1], 0x0
	s_add_u32 s0, s8, s14
	s_addc_u32 s1, s9, s15
	s_load_dwordx2 s[14:15], s[0:1], 0x0
	v_lshlrev_b32_e32 v6, 1, v0
	s_add_i32 s8, s20, -1
	v_cmp_gt_i32_e32 vcc, s8, v6
	v_mov_b32_e32 v1, 0
	s_and_saveexec_b64 s[16:17], vcc
	s_cbranch_execz .LBB610_4
; %bb.1:
	s_lshl_b64 s[0:1], s[10:11], 2
	s_waitcnt lgkmcnt(0)
	s_add_u32 s0, s14, s0
	v_lshlrev_b32_e32 v4, 3, v0
	s_addc_u32 s1, s15, s1
	v_mov_b32_e32 v3, s1
	v_add_co_u32_e32 v2, vcc, s0, v4
	s_lshl_b64 s[0:1], s[2:3], 2
	s_add_u32 s0, s4, s0
	v_addc_co_u32_e32 v3, vcc, 0, v3, vcc
	s_addc_u32 s1, s5, s1
	v_mov_b32_e32 v5, s1
	v_add_co_u32_e32 v4, vcc, s0, v4
	v_mov_b32_e32 v1, 0
	v_addc_co_u32_e32 v5, vcc, 0, v5, vcc
	s_mov_b64 s[18:19], 0
	s_mov_b32 s9, s7
.LBB610_2:                              ; =>This Inner Loop Header: Depth=1
	global_load_dwordx2 v[8:9], v[2:3], off
	global_load_dwordx2 v[10:11], v[4:5], off
	s_add_i32 s21, s9, 1
	v_add_u32_e32 v6, 0x800, v6
	s_cmp_gt_u32 s9, 30
	v_add_co_u32_e32 v2, vcc, 0x2000, v2
	v_cmp_le_i32_e64 s[0:1], s8, v6
	s_cselect_b64 s[22:23], -1, 0
	v_addc_co_u32_e32 v3, vcc, 0, v3, vcc
	s_or_b64 s[0:1], s[22:23], s[0:1]
	v_add_co_u32_e32 v4, vcc, 0x2000, v4
	s_and_b64 s[0:1], exec, s[0:1]
	s_mov_b32 s9, s21
	v_addc_co_u32_e32 v5, vcc, 0, v5, vcc
	s_or_b64 s[18:19], s[0:1], s[18:19]
	s_waitcnt vmcnt(0)
	v_pk_mul_f32 v[8:9], v[8:9], v[10:11]
	v_add_f32_e32 v1, v1, v8
	v_add_f32_e32 v1, v1, v9
	s_andn2_b64 exec, exec, s[18:19]
	s_cbranch_execnz .LBB610_2
; %bb.3:
	s_or_b64 exec, exec, s[18:19]
.LBB610_4:
	s_or_b64 exec, exec, s[16:17]
	s_bitcmp1_b32 s20, 0
	s_cselect_b64 s[0:1], -1, 0
	v_cmp_eq_u32_e32 vcc, s8, v6
	s_and_b64 s[16:17], s[0:1], vcc
	s_and_saveexec_b64 s[0:1], s[16:17]
	s_cbranch_execz .LBB610_6
; %bb.5:
	s_lshl_b64 s[2:3], s[2:3], 2
	s_waitcnt lgkmcnt(0)
	s_add_u32 s4, s4, s2
	s_addc_u32 s5, s5, s3
	s_lshl_b64 s[2:3], s[10:11], 2
	s_add_u32 s10, s14, s2
	s_mov_b32 s9, 0
	s_addc_u32 s11, s15, s3
	s_lshl_b64 s[2:3], s[8:9], 2
	s_add_u32 s4, s4, s2
	s_addc_u32 s5, s5, s3
	s_add_u32 s2, s10, s2
	s_addc_u32 s3, s11, s3
	s_load_dword s8, s[4:5], 0x0
	s_load_dword s9, s[2:3], 0x0
	s_waitcnt lgkmcnt(0)
	v_mov_b32_e32 v2, s8
	v_fmac_f32_e32 v1, s9, v2
.LBB610_6:
	s_or_b64 exec, exec, s[0:1]
	v_and_b32_e32 v3, 63, v0
	v_cmp_gt_u32_e32 vcc, 64, v0
	v_lshlrev_b32_e32 v2, 2, v3
	s_and_saveexec_b64 s[0:1], vcc
	s_cbranch_execz .LBB610_8
; %bb.7:
	v_mov_b32_e32 v4, 0
	ds_write_b32 v2, v4
.LBB610_8:
	s_or_b64 exec, exec, s[0:1]
	v_mbcnt_lo_u32_b32 v4, -1, 0
	v_mbcnt_hi_u32_b32 v6, -1, v4
	v_and_b32_e32 v7, 63, v6
	v_cmp_gt_u32_e64 s[0:1], 32, v7
	v_cndmask_b32_e64 v4, 0, 1, s[0:1]
	v_lshlrev_b32_e32 v4, 5, v4
	v_add_lshl_u32 v4, v4, v6, 2
	ds_bpermute_b32 v4, v4, v1
	v_cmp_gt_u32_e64 s[0:1], 48, v7
	v_cndmask_b32_e64 v5, 0, 1, s[0:1]
	v_lshlrev_b32_e32 v5, 4, v5
	v_cmp_gt_u32_e64 s[0:1], 56, v7
	s_waitcnt lgkmcnt(0)
	v_add_f32_e32 v1, v1, v4
	v_add_lshl_u32 v4, v5, v6, 2
	ds_bpermute_b32 v4, v4, v1
	v_cndmask_b32_e64 v5, 0, 1, s[0:1]
	v_lshlrev_b32_e32 v5, 3, v5
	v_cmp_gt_u32_e64 s[0:1], 60, v7
	v_cndmask_b32_e64 v8, 0, 1, s[0:1]
	s_waitcnt lgkmcnt(0)
	v_add_f32_e32 v4, v1, v4
	v_add_lshl_u32 v1, v5, v6, 2
	ds_bpermute_b32 v5, v1, v4
	v_lshlrev_b32_e32 v8, 2, v8
	v_cmp_gt_u32_e64 s[0:1], 62, v7
	v_cndmask_b32_e64 v9, 0, 1, s[0:1]
	v_lshlrev_b32_e32 v9, 1, v9
	s_waitcnt lgkmcnt(0)
	v_add_f32_e32 v5, v4, v5
	v_add_lshl_u32 v4, v8, v6, 2
	ds_bpermute_b32 v8, v4, v5
	v_cmp_ne_u32_e64 s[0:1], 63, v7
	s_waitcnt lgkmcnt(0)
	s_barrier
	v_add_f32_e32 v8, v5, v8
	v_add_lshl_u32 v5, v9, v6, 2
	ds_bpermute_b32 v9, v5, v8
	v_addc_co_u32_e64 v6, s[0:1], 0, v6, s[0:1]
	v_lshlrev_b32_e32 v6, 2, v6
	v_cmp_eq_u32_e64 s[0:1], 0, v3
	s_waitcnt lgkmcnt(0)
	v_add_f32_e32 v7, v8, v9
	ds_bpermute_b32 v8, v6, v7
	s_and_saveexec_b64 s[2:3], s[0:1]
	s_cbranch_execz .LBB610_10
; %bb.9:
	s_waitcnt lgkmcnt(0)
	v_add_f32_e32 v3, v7, v8
	v_lshrrev_b32_e32 v7, 4, v0
	v_and_b32_e32 v7, 60, v7
	ds_write_b32 v7, v3
.LBB610_10:
	s_or_b64 exec, exec, s[2:3]
	v_cmp_gt_u32_e64 s[0:1], 16, v0
	v_mov_b32_e32 v3, 0
	s_waitcnt lgkmcnt(0)
	s_barrier
	s_and_saveexec_b64 s[2:3], s[0:1]
	s_cbranch_execnz .LBB610_14
; %bb.11:
	s_or_b64 exec, exec, s[2:3]
	s_and_saveexec_b64 s[0:1], vcc
	s_cbranch_execnz .LBB610_15
.LBB610_12:
	s_or_b64 exec, exec, s[0:1]
	v_cmp_eq_u32_e32 vcc, 0, v0
	s_and_saveexec_b64 s[0:1], vcc
	s_cbranch_execnz .LBB610_16
.LBB610_13:
	s_endpgm
.LBB610_14:
	ds_read_b32 v3, v2
	s_or_b64 exec, exec, s[2:3]
	s_and_saveexec_b64 s[0:1], vcc
	s_cbranch_execz .LBB610_12
.LBB610_15:
	s_waitcnt lgkmcnt(0)
	ds_bpermute_b32 v1, v1, v3
	s_waitcnt lgkmcnt(0)
	v_add_f32_e32 v1, v3, v1
	ds_bpermute_b32 v2, v4, v1
	s_waitcnt lgkmcnt(0)
	v_add_f32_e32 v1, v1, v2
	;; [unrolled: 3-line block ×4, first 2 shown]
	s_or_b64 exec, exec, s[0:1]
	v_cmp_eq_u32_e32 vcc, 0, v0
	s_and_saveexec_b64 s[0:1], vcc
	s_cbranch_execz .LBB610_13
.LBB610_16:
	s_lshl_b64 s[0:1], s[6:7], 2
	s_add_u32 s0, s12, s0
	s_addc_u32 s1, s13, s1
	v_mov_b32_e32 v0, 0
	s_waitcnt lgkmcnt(0)
	global_store_dword v0, v3, s[0:1]
	s_endpgm
	.section	.rodata,"a",@progbits
	.p2align	6, 0x0
	.amdhsa_kernel _ZL26rocblas_dot_kernel_inc1by2ILb1ELi1024ELi32ELb1EfPKPKffEviT4_llS4_lliPT5_PT3_
		.amdhsa_group_segment_fixed_size 256
		.amdhsa_private_segment_fixed_size 0
		.amdhsa_kernarg_size 80
		.amdhsa_user_sgpr_count 6
		.amdhsa_user_sgpr_private_segment_buffer 1
		.amdhsa_user_sgpr_dispatch_ptr 0
		.amdhsa_user_sgpr_queue_ptr 0
		.amdhsa_user_sgpr_kernarg_segment_ptr 1
		.amdhsa_user_sgpr_dispatch_id 0
		.amdhsa_user_sgpr_flat_scratch_init 0
		.amdhsa_user_sgpr_kernarg_preload_length 0
		.amdhsa_user_sgpr_kernarg_preload_offset 0
		.amdhsa_user_sgpr_private_segment_size 0
		.amdhsa_uses_dynamic_stack 0
		.amdhsa_system_sgpr_private_segment_wavefront_offset 0
		.amdhsa_system_sgpr_workgroup_id_x 1
		.amdhsa_system_sgpr_workgroup_id_y 0
		.amdhsa_system_sgpr_workgroup_id_z 1
		.amdhsa_system_sgpr_workgroup_info 0
		.amdhsa_system_vgpr_workitem_id 0
		.amdhsa_next_free_vgpr 12
		.amdhsa_next_free_sgpr 24
		.amdhsa_accum_offset 12
		.amdhsa_reserve_vcc 1
		.amdhsa_reserve_flat_scratch 0
		.amdhsa_float_round_mode_32 0
		.amdhsa_float_round_mode_16_64 0
		.amdhsa_float_denorm_mode_32 3
		.amdhsa_float_denorm_mode_16_64 3
		.amdhsa_dx10_clamp 1
		.amdhsa_ieee_mode 1
		.amdhsa_fp16_overflow 0
		.amdhsa_tg_split 0
		.amdhsa_exception_fp_ieee_invalid_op 0
		.amdhsa_exception_fp_denorm_src 0
		.amdhsa_exception_fp_ieee_div_zero 0
		.amdhsa_exception_fp_ieee_overflow 0
		.amdhsa_exception_fp_ieee_underflow 0
		.amdhsa_exception_fp_ieee_inexact 0
		.amdhsa_exception_int_div_zero 0
	.end_amdhsa_kernel
	.section	.text._ZL26rocblas_dot_kernel_inc1by2ILb1ELi1024ELi32ELb1EfPKPKffEviT4_llS4_lliPT5_PT3_,"axG",@progbits,_ZL26rocblas_dot_kernel_inc1by2ILb1ELi1024ELi32ELb1EfPKPKffEviT4_llS4_lliPT5_PT3_,comdat
.Lfunc_end610:
	.size	_ZL26rocblas_dot_kernel_inc1by2ILb1ELi1024ELi32ELb1EfPKPKffEviT4_llS4_lliPT5_PT3_, .Lfunc_end610-_ZL26rocblas_dot_kernel_inc1by2ILb1ELi1024ELi32ELb1EfPKPKffEviT4_llS4_lliPT5_PT3_
                                        ; -- End function
	.section	.AMDGPU.csdata,"",@progbits
; Kernel info:
; codeLenInByte = 948
; NumSgprs: 28
; NumVgprs: 12
; NumAgprs: 0
; TotalNumVgprs: 12
; ScratchSize: 0
; MemoryBound: 0
; FloatMode: 240
; IeeeMode: 1
; LDSByteSize: 256 bytes/workgroup (compile time only)
; SGPRBlocks: 3
; VGPRBlocks: 1
; NumSGPRsForWavesPerEU: 28
; NumVGPRsForWavesPerEU: 12
; AccumOffset: 12
; Occupancy: 8
; WaveLimiterHint : 1
; COMPUTE_PGM_RSRC2:SCRATCH_EN: 0
; COMPUTE_PGM_RSRC2:USER_SGPR: 6
; COMPUTE_PGM_RSRC2:TRAP_HANDLER: 0
; COMPUTE_PGM_RSRC2:TGID_X_EN: 1
; COMPUTE_PGM_RSRC2:TGID_Y_EN: 0
; COMPUTE_PGM_RSRC2:TGID_Z_EN: 1
; COMPUTE_PGM_RSRC2:TIDIG_COMP_CNT: 0
; COMPUTE_PGM_RSRC3_GFX90A:ACCUM_OFFSET: 2
; COMPUTE_PGM_RSRC3_GFX90A:TG_SPLIT: 0
	.section	.text._ZL18rocblas_dot_kernelIiLb1ELi1024ELi32ELb1EfPKPKffEviT5_lT_lS4_lS5_liPT6_PT4_,"axG",@progbits,_ZL18rocblas_dot_kernelIiLb1ELi1024ELi32ELb1EfPKPKffEviT5_lT_lS4_lS5_liPT6_PT4_,comdat
	.globl	_ZL18rocblas_dot_kernelIiLb1ELi1024ELi32ELb1EfPKPKffEviT5_lT_lS4_lS5_liPT6_PT4_ ; -- Begin function _ZL18rocblas_dot_kernelIiLb1ELi1024ELi32ELb1EfPKPKffEviT5_lT_lS4_lS5_liPT6_PT4_
	.p2align	8
	.type	_ZL18rocblas_dot_kernelIiLb1ELi1024ELi32ELb1EfPKPKffEviT5_lT_lS4_lS5_liPT6_PT4_,@function
_ZL18rocblas_dot_kernelIiLb1ELi1024ELi32ELb1EfPKPKffEviT5_lT_lS4_lS5_liPT6_PT4_: ; @_ZL18rocblas_dot_kernelIiLb1ELi1024ELi32ELb1EfPKPKffEviT5_lT_lS4_lS5_liPT6_PT4_
; %bb.0:
	s_mov_b32 s2, s7
	s_load_dword s14, s[4:5], 0x0
	s_load_dwordx2 s[6:7], s[4:5], 0x58
	s_mov_b32 s3, 0
	v_mov_b32_e32 v1, 0
	s_waitcnt lgkmcnt(0)
	v_cmp_gt_i32_e32 vcc, s14, v0
	s_and_saveexec_b64 s[8:9], vcc
	s_cbranch_execz .LBB611_4
; %bb.1:
	s_load_dwordx4 s[16:19], s[4:5], 0x8
	s_load_dword s24, s[4:5], 0x18
	s_load_dwordx4 s[20:23], s[4:5], 0x28
	s_lshl_b64 s[0:1], s[2:3], 3
	s_waitcnt lgkmcnt(0)
	s_add_u32 s10, s16, s0
	s_addc_u32 s11, s17, s1
	s_load_dword s16, s[4:5], 0x38
	s_load_dword s15, s[4:5], 0x60
	s_load_dwordx2 s[12:13], s[10:11], 0x0
	s_add_u32 s0, s20, s0
	s_addc_u32 s1, s21, s1
	v_mad_i64_i32 v[2:3], s[4:5], s24, v0, 0
	s_load_dwordx2 s[0:1], s[0:1], 0x0
	s_waitcnt lgkmcnt(0)
	s_lshl_b32 s15, s15, 10
	s_lshl_b64 s[4:5], s[18:19], 2
	s_add_u32 s4, s12, s4
	v_lshlrev_b64 v[2:3], 2, v[2:3]
	s_addc_u32 s5, s13, s5
	v_mov_b32_e32 v1, s5
	v_add_co_u32_e32 v2, vcc, s4, v2
	s_mul_hi_i32 s5, s24, s15
	s_mul_i32 s4, s24, s15
	v_mad_i64_i32 v[4:5], s[10:11], s16, v0, 0
	s_lshl_b64 s[4:5], s[4:5], 2
	s_lshl_b64 s[10:11], s[22:23], 2
	s_add_u32 s0, s0, s10
	v_addc_co_u32_e32 v3, vcc, v1, v3, vcc
	v_lshlrev_b64 v[4:5], 2, v[4:5]
	s_addc_u32 s1, s1, s11
	v_mov_b32_e32 v1, s1
	v_add_co_u32_e32 v4, vcc, s0, v4
	s_mul_hi_i32 s1, s16, s15
	s_mul_i32 s0, s16, s15
	s_lshl_b64 s[12:13], s[0:1], 2
	v_or_b32_e32 v6, s15, v0
	v_addc_co_u32_e32 v5, vcc, v1, v5, vcc
	s_mov_b64 s[10:11], 0
	v_mov_b32_e32 v1, 0
	v_mov_b32_e32 v7, s5
	;; [unrolled: 1-line block ×3, first 2 shown]
	s_mov_b32 s5, s3
.LBB611_2:                              ; =>This Inner Loop Header: Depth=1
	global_load_dword v9, v[4:5], off
	global_load_dword v10, v[2:3], off
	v_add_co_u32_e64 v2, s[0:1], s4, v2
	v_addc_co_u32_e64 v3, s[0:1], v3, v7, s[0:1]
	s_add_i32 s13, s5, 1
	v_add_co_u32_e64 v4, s[0:1], s12, v4
	v_addc_co_u32_e64 v5, s[0:1], v5, v8, s[0:1]
	s_cmp_gt_u32 s5, 30
	v_cmp_le_i32_e32 vcc, s14, v6
	s_cselect_b64 s[0:1], -1, 0
	s_or_b64 s[0:1], s[0:1], vcc
	s_and_b64 s[0:1], exec, s[0:1]
	v_add_u32_e32 v6, s15, v6
	s_mov_b32 s5, s13
	s_or_b64 s[10:11], s[0:1], s[10:11]
	s_waitcnt vmcnt(0)
	v_fmac_f32_e32 v1, v9, v10
	s_andn2_b64 exec, exec, s[10:11]
	s_cbranch_execnz .LBB611_2
; %bb.3:
	s_or_b64 exec, exec, s[10:11]
.LBB611_4:
	s_or_b64 exec, exec, s[8:9]
	v_and_b32_e32 v3, 63, v0
	v_cmp_gt_u32_e32 vcc, 64, v0
	v_lshlrev_b32_e32 v2, 2, v3
	s_and_saveexec_b64 s[0:1], vcc
	s_cbranch_execz .LBB611_6
; %bb.5:
	v_mov_b32_e32 v4, 0
	ds_write_b32 v2, v4
.LBB611_6:
	s_or_b64 exec, exec, s[0:1]
	v_mbcnt_lo_u32_b32 v4, -1, 0
	v_mbcnt_hi_u32_b32 v6, -1, v4
	v_and_b32_e32 v7, 63, v6
	v_cmp_gt_u32_e64 s[0:1], 32, v7
	v_cndmask_b32_e64 v4, 0, 1, s[0:1]
	v_lshlrev_b32_e32 v4, 5, v4
	v_add_lshl_u32 v4, v4, v6, 2
	ds_bpermute_b32 v4, v4, v1
	v_cmp_gt_u32_e64 s[0:1], 48, v7
	v_cndmask_b32_e64 v5, 0, 1, s[0:1]
	v_lshlrev_b32_e32 v5, 4, v5
	v_cmp_gt_u32_e64 s[0:1], 56, v7
	s_waitcnt lgkmcnt(0)
	v_add_f32_e32 v1, v1, v4
	v_add_lshl_u32 v4, v5, v6, 2
	ds_bpermute_b32 v4, v4, v1
	v_cndmask_b32_e64 v5, 0, 1, s[0:1]
	v_lshlrev_b32_e32 v5, 3, v5
	v_cmp_gt_u32_e64 s[0:1], 60, v7
	v_cndmask_b32_e64 v8, 0, 1, s[0:1]
	s_waitcnt lgkmcnt(0)
	v_add_f32_e32 v4, v1, v4
	v_add_lshl_u32 v1, v5, v6, 2
	ds_bpermute_b32 v5, v1, v4
	v_lshlrev_b32_e32 v8, 2, v8
	v_cmp_gt_u32_e64 s[0:1], 62, v7
	v_cndmask_b32_e64 v9, 0, 1, s[0:1]
	v_lshlrev_b32_e32 v9, 1, v9
	s_waitcnt lgkmcnt(0)
	v_add_f32_e32 v5, v4, v5
	v_add_lshl_u32 v4, v8, v6, 2
	ds_bpermute_b32 v8, v4, v5
	v_cmp_ne_u32_e64 s[0:1], 63, v7
	s_waitcnt lgkmcnt(0)
	s_barrier
	v_add_f32_e32 v8, v5, v8
	v_add_lshl_u32 v5, v9, v6, 2
	ds_bpermute_b32 v9, v5, v8
	v_addc_co_u32_e64 v6, s[0:1], 0, v6, s[0:1]
	v_lshlrev_b32_e32 v6, 2, v6
	v_cmp_eq_u32_e64 s[0:1], 0, v3
	s_waitcnt lgkmcnt(0)
	v_add_f32_e32 v7, v8, v9
	ds_bpermute_b32 v8, v6, v7
	s_and_saveexec_b64 s[4:5], s[0:1]
	s_cbranch_execz .LBB611_8
; %bb.7:
	s_waitcnt lgkmcnt(0)
	v_add_f32_e32 v3, v7, v8
	v_lshrrev_b32_e32 v7, 4, v0
	v_and_b32_e32 v7, 60, v7
	ds_write_b32 v7, v3
.LBB611_8:
	s_or_b64 exec, exec, s[4:5]
	v_cmp_gt_u32_e64 s[0:1], 16, v0
	v_mov_b32_e32 v3, 0
	s_waitcnt lgkmcnt(0)
	s_barrier
	s_and_saveexec_b64 s[4:5], s[0:1]
	s_cbranch_execnz .LBB611_12
; %bb.9:
	s_or_b64 exec, exec, s[4:5]
	s_and_saveexec_b64 s[0:1], vcc
	s_cbranch_execnz .LBB611_13
.LBB611_10:
	s_or_b64 exec, exec, s[0:1]
	v_cmp_eq_u32_e32 vcc, 0, v0
	s_and_saveexec_b64 s[0:1], vcc
	s_cbranch_execnz .LBB611_14
.LBB611_11:
	s_endpgm
.LBB611_12:
	ds_read_b32 v3, v2
	s_or_b64 exec, exec, s[4:5]
	s_and_saveexec_b64 s[0:1], vcc
	s_cbranch_execz .LBB611_10
.LBB611_13:
	s_waitcnt lgkmcnt(0)
	ds_bpermute_b32 v1, v1, v3
	s_waitcnt lgkmcnt(0)
	v_add_f32_e32 v1, v3, v1
	ds_bpermute_b32 v2, v4, v1
	s_waitcnt lgkmcnt(0)
	v_add_f32_e32 v1, v1, v2
	;; [unrolled: 3-line block ×4, first 2 shown]
	s_or_b64 exec, exec, s[0:1]
	v_cmp_eq_u32_e32 vcc, 0, v0
	s_and_saveexec_b64 s[0:1], vcc
	s_cbranch_execz .LBB611_11
.LBB611_14:
	s_lshl_b64 s[0:1], s[2:3], 2
	s_add_u32 s0, s6, s0
	s_addc_u32 s1, s7, s1
	v_mov_b32_e32 v0, 0
	s_waitcnt lgkmcnt(0)
	global_store_dword v0, v3, s[0:1]
	s_endpgm
	.section	.rodata,"a",@progbits
	.p2align	6, 0x0
	.amdhsa_kernel _ZL18rocblas_dot_kernelIiLb1ELi1024ELi32ELb1EfPKPKffEviT5_lT_lS4_lS5_liPT6_PT4_
		.amdhsa_group_segment_fixed_size 256
		.amdhsa_private_segment_fixed_size 0
		.amdhsa_kernarg_size 352
		.amdhsa_user_sgpr_count 6
		.amdhsa_user_sgpr_private_segment_buffer 1
		.amdhsa_user_sgpr_dispatch_ptr 0
		.amdhsa_user_sgpr_queue_ptr 0
		.amdhsa_user_sgpr_kernarg_segment_ptr 1
		.amdhsa_user_sgpr_dispatch_id 0
		.amdhsa_user_sgpr_flat_scratch_init 0
		.amdhsa_user_sgpr_kernarg_preload_length 0
		.amdhsa_user_sgpr_kernarg_preload_offset 0
		.amdhsa_user_sgpr_private_segment_size 0
		.amdhsa_uses_dynamic_stack 0
		.amdhsa_system_sgpr_private_segment_wavefront_offset 0
		.amdhsa_system_sgpr_workgroup_id_x 1
		.amdhsa_system_sgpr_workgroup_id_y 0
		.amdhsa_system_sgpr_workgroup_id_z 1
		.amdhsa_system_sgpr_workgroup_info 0
		.amdhsa_system_vgpr_workitem_id 0
		.amdhsa_next_free_vgpr 11
		.amdhsa_next_free_sgpr 25
		.amdhsa_accum_offset 12
		.amdhsa_reserve_vcc 1
		.amdhsa_reserve_flat_scratch 0
		.amdhsa_float_round_mode_32 0
		.amdhsa_float_round_mode_16_64 0
		.amdhsa_float_denorm_mode_32 3
		.amdhsa_float_denorm_mode_16_64 3
		.amdhsa_dx10_clamp 1
		.amdhsa_ieee_mode 1
		.amdhsa_fp16_overflow 0
		.amdhsa_tg_split 0
		.amdhsa_exception_fp_ieee_invalid_op 0
		.amdhsa_exception_fp_denorm_src 0
		.amdhsa_exception_fp_ieee_div_zero 0
		.amdhsa_exception_fp_ieee_overflow 0
		.amdhsa_exception_fp_ieee_underflow 0
		.amdhsa_exception_fp_ieee_inexact 0
		.amdhsa_exception_int_div_zero 0
	.end_amdhsa_kernel
	.section	.text._ZL18rocblas_dot_kernelIiLb1ELi1024ELi32ELb1EfPKPKffEviT5_lT_lS4_lS5_liPT6_PT4_,"axG",@progbits,_ZL18rocblas_dot_kernelIiLb1ELi1024ELi32ELb1EfPKPKffEviT5_lT_lS4_lS5_liPT6_PT4_,comdat
.Lfunc_end611:
	.size	_ZL18rocblas_dot_kernelIiLb1ELi1024ELi32ELb1EfPKPKffEviT5_lT_lS4_lS5_liPT6_PT4_, .Lfunc_end611-_ZL18rocblas_dot_kernelIiLb1ELi1024ELi32ELb1EfPKPKffEviT5_lT_lS4_lS5_liPT6_PT4_
                                        ; -- End function
	.section	.AMDGPU.csdata,"",@progbits
; Kernel info:
; codeLenInByte = 916
; NumSgprs: 29
; NumVgprs: 11
; NumAgprs: 0
; TotalNumVgprs: 11
; ScratchSize: 0
; MemoryBound: 0
; FloatMode: 240
; IeeeMode: 1
; LDSByteSize: 256 bytes/workgroup (compile time only)
; SGPRBlocks: 3
; VGPRBlocks: 1
; NumSGPRsForWavesPerEU: 29
; NumVGPRsForWavesPerEU: 11
; AccumOffset: 12
; Occupancy: 8
; WaveLimiterHint : 0
; COMPUTE_PGM_RSRC2:SCRATCH_EN: 0
; COMPUTE_PGM_RSRC2:USER_SGPR: 6
; COMPUTE_PGM_RSRC2:TRAP_HANDLER: 0
; COMPUTE_PGM_RSRC2:TGID_X_EN: 1
; COMPUTE_PGM_RSRC2:TGID_Y_EN: 0
; COMPUTE_PGM_RSRC2:TGID_Z_EN: 1
; COMPUTE_PGM_RSRC2:TIDIG_COMP_CNT: 0
; COMPUTE_PGM_RSRC3_GFX90A:ACCUM_OFFSET: 2
; COMPUTE_PGM_RSRC3_GFX90A:TG_SPLIT: 0
	.section	.text._ZL24rocblas_dot_kernel_magsqIiLb1ELi1024ELi32ELb1EfPKPKffEviT5_lT_liPT6_PT4_,"axG",@progbits,_ZL24rocblas_dot_kernel_magsqIiLb1ELi1024ELi32ELb1EfPKPKffEviT5_lT_liPT6_PT4_,comdat
	.globl	_ZL24rocblas_dot_kernel_magsqIiLb1ELi1024ELi32ELb1EfPKPKffEviT5_lT_liPT6_PT4_ ; -- Begin function _ZL24rocblas_dot_kernel_magsqIiLb1ELi1024ELi32ELb1EfPKPKffEviT5_lT_liPT6_PT4_
	.p2align	8
	.type	_ZL24rocblas_dot_kernel_magsqIiLb1ELi1024ELi32ELb1EfPKPKffEviT5_lT_liPT6_PT4_,@function
_ZL24rocblas_dot_kernel_magsqIiLb1ELi1024ELi32ELb1EfPKPKffEviT5_lT_liPT6_PT4_: ; @_ZL24rocblas_dot_kernel_magsqIiLb1ELi1024ELi32ELb1EfPKPKffEviT5_lT_liPT6_PT4_
; %bb.0:
	s_mov_b32 s2, s7
	s_load_dword s12, s[4:5], 0x0
	s_load_dwordx2 s[6:7], s[4:5], 0x38
	s_mov_b32 s3, 0
	v_mov_b32_e32 v1, 0
	s_waitcnt lgkmcnt(0)
	v_cmp_gt_i32_e32 vcc, s12, v0
	s_and_saveexec_b64 s[8:9], vcc
	s_cbranch_execz .LBB612_4
; %bb.1:
	s_load_dwordx4 s[16:19], s[4:5], 0x8
	s_load_dword s10, s[4:5], 0x40
	s_load_dword s11, s[4:5], 0x18
	s_lshl_b64 s[0:1], s[2:3], 3
	s_waitcnt lgkmcnt(0)
	s_add_u32 s0, s16, s0
	s_addc_u32 s1, s17, s1
	s_load_dwordx2 s[0:1], s[0:1], 0x0
	v_mad_i64_i32 v[2:3], s[4:5], s11, v0, 0
	s_lshl_b32 s13, s10, 10
	s_lshl_b64 s[4:5], s[18:19], 2
	s_waitcnt lgkmcnt(0)
	s_add_u32 s0, s0, s4
	v_lshlrev_b64 v[2:3], 2, v[2:3]
	s_addc_u32 s1, s1, s5
	v_mov_b32_e32 v1, s1
	v_add_co_u32_e32 v2, vcc, s0, v2
	s_mul_hi_i32 s1, s11, s13
	s_mul_i32 s0, s11, s13
	s_lshl_b64 s[10:11], s[0:1], 2
	v_or_b32_e32 v4, s13, v0
	v_addc_co_u32_e32 v3, vcc, v1, v3, vcc
	s_mov_b64 s[4:5], 0
	v_mov_b32_e32 v1, 0
	v_mov_b32_e32 v5, s11
	s_mov_b32 s11, s3
.LBB612_2:                              ; =>This Inner Loop Header: Depth=1
	global_load_dword v6, v[2:3], off
	s_add_i32 s14, s11, 1
	v_add_co_u32_e64 v2, s[0:1], s10, v2
	v_addc_co_u32_e64 v3, s[0:1], v3, v5, s[0:1]
	s_cmp_gt_u32 s11, 30
	v_cmp_le_i32_e32 vcc, s12, v4
	s_cselect_b64 s[0:1], -1, 0
	s_or_b64 s[0:1], s[0:1], vcc
	s_and_b64 s[0:1], exec, s[0:1]
	v_add_u32_e32 v4, s13, v4
	s_mov_b32 s11, s14
	s_or_b64 s[4:5], s[0:1], s[4:5]
	s_waitcnt vmcnt(0)
	v_fmac_f32_e32 v1, v6, v6
	s_andn2_b64 exec, exec, s[4:5]
	s_cbranch_execnz .LBB612_2
; %bb.3:
	s_or_b64 exec, exec, s[4:5]
.LBB612_4:
	s_or_b64 exec, exec, s[8:9]
	v_and_b32_e32 v3, 63, v0
	v_cmp_gt_u32_e32 vcc, 64, v0
	v_lshlrev_b32_e32 v2, 2, v3
	s_and_saveexec_b64 s[0:1], vcc
	s_cbranch_execz .LBB612_6
; %bb.5:
	v_mov_b32_e32 v4, 0
	ds_write_b32 v2, v4
.LBB612_6:
	s_or_b64 exec, exec, s[0:1]
	v_mbcnt_lo_u32_b32 v4, -1, 0
	v_mbcnt_hi_u32_b32 v6, -1, v4
	v_and_b32_e32 v7, 63, v6
	v_cmp_gt_u32_e64 s[0:1], 32, v7
	v_cndmask_b32_e64 v4, 0, 1, s[0:1]
	v_lshlrev_b32_e32 v4, 5, v4
	v_add_lshl_u32 v4, v4, v6, 2
	ds_bpermute_b32 v4, v4, v1
	v_cmp_gt_u32_e64 s[0:1], 48, v7
	v_cndmask_b32_e64 v5, 0, 1, s[0:1]
	v_lshlrev_b32_e32 v5, 4, v5
	v_cmp_gt_u32_e64 s[0:1], 56, v7
	s_waitcnt lgkmcnt(0)
	v_add_f32_e32 v1, v1, v4
	v_add_lshl_u32 v4, v5, v6, 2
	ds_bpermute_b32 v4, v4, v1
	v_cndmask_b32_e64 v5, 0, 1, s[0:1]
	v_lshlrev_b32_e32 v5, 3, v5
	v_cmp_gt_u32_e64 s[0:1], 60, v7
	v_cndmask_b32_e64 v8, 0, 1, s[0:1]
	s_waitcnt lgkmcnt(0)
	v_add_f32_e32 v4, v1, v4
	v_add_lshl_u32 v1, v5, v6, 2
	ds_bpermute_b32 v5, v1, v4
	v_lshlrev_b32_e32 v8, 2, v8
	v_cmp_gt_u32_e64 s[0:1], 62, v7
	v_cndmask_b32_e64 v9, 0, 1, s[0:1]
	v_lshlrev_b32_e32 v9, 1, v9
	s_waitcnt lgkmcnt(0)
	v_add_f32_e32 v5, v4, v5
	v_add_lshl_u32 v4, v8, v6, 2
	ds_bpermute_b32 v8, v4, v5
	v_cmp_ne_u32_e64 s[0:1], 63, v7
	s_waitcnt lgkmcnt(0)
	s_barrier
	v_add_f32_e32 v8, v5, v8
	v_add_lshl_u32 v5, v9, v6, 2
	ds_bpermute_b32 v9, v5, v8
	v_addc_co_u32_e64 v6, s[0:1], 0, v6, s[0:1]
	v_lshlrev_b32_e32 v6, 2, v6
	v_cmp_eq_u32_e64 s[0:1], 0, v3
	s_waitcnt lgkmcnt(0)
	v_add_f32_e32 v7, v8, v9
	ds_bpermute_b32 v8, v6, v7
	s_and_saveexec_b64 s[4:5], s[0:1]
	s_cbranch_execz .LBB612_8
; %bb.7:
	s_waitcnt lgkmcnt(0)
	v_add_f32_e32 v3, v7, v8
	v_lshrrev_b32_e32 v7, 4, v0
	v_and_b32_e32 v7, 60, v7
	ds_write_b32 v7, v3
.LBB612_8:
	s_or_b64 exec, exec, s[4:5]
	v_cmp_gt_u32_e64 s[0:1], 16, v0
	v_mov_b32_e32 v3, 0
	s_waitcnt lgkmcnt(0)
	s_barrier
	s_and_saveexec_b64 s[4:5], s[0:1]
	s_cbranch_execnz .LBB612_12
; %bb.9:
	s_or_b64 exec, exec, s[4:5]
	s_and_saveexec_b64 s[0:1], vcc
	s_cbranch_execnz .LBB612_13
.LBB612_10:
	s_or_b64 exec, exec, s[0:1]
	v_cmp_eq_u32_e32 vcc, 0, v0
	s_and_saveexec_b64 s[0:1], vcc
	s_cbranch_execnz .LBB612_14
.LBB612_11:
	s_endpgm
.LBB612_12:
	ds_read_b32 v3, v2
	s_or_b64 exec, exec, s[4:5]
	s_and_saveexec_b64 s[0:1], vcc
	s_cbranch_execz .LBB612_10
.LBB612_13:
	s_waitcnt lgkmcnt(0)
	ds_bpermute_b32 v1, v1, v3
	s_waitcnt lgkmcnt(0)
	v_add_f32_e32 v1, v3, v1
	ds_bpermute_b32 v2, v4, v1
	s_waitcnt lgkmcnt(0)
	v_add_f32_e32 v1, v1, v2
	;; [unrolled: 3-line block ×4, first 2 shown]
	s_or_b64 exec, exec, s[0:1]
	v_cmp_eq_u32_e32 vcc, 0, v0
	s_and_saveexec_b64 s[0:1], vcc
	s_cbranch_execz .LBB612_11
.LBB612_14:
	s_lshl_b64 s[0:1], s[2:3], 2
	s_add_u32 s0, s6, s0
	s_addc_u32 s1, s7, s1
	v_mov_b32_e32 v0, 0
	s_waitcnt lgkmcnt(0)
	global_store_dword v0, v3, s[0:1]
	s_endpgm
	.section	.rodata,"a",@progbits
	.p2align	6, 0x0
	.amdhsa_kernel _ZL24rocblas_dot_kernel_magsqIiLb1ELi1024ELi32ELb1EfPKPKffEviT5_lT_liPT6_PT4_
		.amdhsa_group_segment_fixed_size 256
		.amdhsa_private_segment_fixed_size 0
		.amdhsa_kernarg_size 320
		.amdhsa_user_sgpr_count 6
		.amdhsa_user_sgpr_private_segment_buffer 1
		.amdhsa_user_sgpr_dispatch_ptr 0
		.amdhsa_user_sgpr_queue_ptr 0
		.amdhsa_user_sgpr_kernarg_segment_ptr 1
		.amdhsa_user_sgpr_dispatch_id 0
		.amdhsa_user_sgpr_flat_scratch_init 0
		.amdhsa_user_sgpr_kernarg_preload_length 0
		.amdhsa_user_sgpr_kernarg_preload_offset 0
		.amdhsa_user_sgpr_private_segment_size 0
		.amdhsa_uses_dynamic_stack 0
		.amdhsa_system_sgpr_private_segment_wavefront_offset 0
		.amdhsa_system_sgpr_workgroup_id_x 1
		.amdhsa_system_sgpr_workgroup_id_y 0
		.amdhsa_system_sgpr_workgroup_id_z 1
		.amdhsa_system_sgpr_workgroup_info 0
		.amdhsa_system_vgpr_workitem_id 0
		.amdhsa_next_free_vgpr 10
		.amdhsa_next_free_sgpr 20
		.amdhsa_accum_offset 12
		.amdhsa_reserve_vcc 1
		.amdhsa_reserve_flat_scratch 0
		.amdhsa_float_round_mode_32 0
		.amdhsa_float_round_mode_16_64 0
		.amdhsa_float_denorm_mode_32 3
		.amdhsa_float_denorm_mode_16_64 3
		.amdhsa_dx10_clamp 1
		.amdhsa_ieee_mode 1
		.amdhsa_fp16_overflow 0
		.amdhsa_tg_split 0
		.amdhsa_exception_fp_ieee_invalid_op 0
		.amdhsa_exception_fp_denorm_src 0
		.amdhsa_exception_fp_ieee_div_zero 0
		.amdhsa_exception_fp_ieee_overflow 0
		.amdhsa_exception_fp_ieee_underflow 0
		.amdhsa_exception_fp_ieee_inexact 0
		.amdhsa_exception_int_div_zero 0
	.end_amdhsa_kernel
	.section	.text._ZL24rocblas_dot_kernel_magsqIiLb1ELi1024ELi32ELb1EfPKPKffEviT5_lT_liPT6_PT4_,"axG",@progbits,_ZL24rocblas_dot_kernel_magsqIiLb1ELi1024ELi32ELb1EfPKPKffEviT5_lT_liPT6_PT4_,comdat
.Lfunc_end612:
	.size	_ZL24rocblas_dot_kernel_magsqIiLb1ELi1024ELi32ELb1EfPKPKffEviT5_lT_liPT6_PT4_, .Lfunc_end612-_ZL24rocblas_dot_kernel_magsqIiLb1ELi1024ELi32ELb1EfPKPKffEviT5_lT_liPT6_PT4_
                                        ; -- End function
	.section	.AMDGPU.csdata,"",@progbits
; Kernel info:
; codeLenInByte = 804
; NumSgprs: 24
; NumVgprs: 10
; NumAgprs: 0
; TotalNumVgprs: 10
; ScratchSize: 0
; MemoryBound: 0
; FloatMode: 240
; IeeeMode: 1
; LDSByteSize: 256 bytes/workgroup (compile time only)
; SGPRBlocks: 2
; VGPRBlocks: 1
; NumSGPRsForWavesPerEU: 24
; NumVGPRsForWavesPerEU: 10
; AccumOffset: 12
; Occupancy: 8
; WaveLimiterHint : 0
; COMPUTE_PGM_RSRC2:SCRATCH_EN: 0
; COMPUTE_PGM_RSRC2:USER_SGPR: 6
; COMPUTE_PGM_RSRC2:TRAP_HANDLER: 0
; COMPUTE_PGM_RSRC2:TGID_X_EN: 1
; COMPUTE_PGM_RSRC2:TGID_Y_EN: 0
; COMPUTE_PGM_RSRC2:TGID_Z_EN: 1
; COMPUTE_PGM_RSRC2:TIDIG_COMP_CNT: 0
; COMPUTE_PGM_RSRC3_GFX90A:ACCUM_OFFSET: 2
; COMPUTE_PGM_RSRC3_GFX90A:TG_SPLIT: 0
	.section	.text._ZL23rocblas_dot_kernel_inc1ILb0ELi512ELi4ELb1EfPKPKffEviT4_llS4_lliPT5_PT3_,"axG",@progbits,_ZL23rocblas_dot_kernel_inc1ILb0ELi512ELi4ELb1EfPKPKffEviT4_llS4_lliPT5_PT3_,comdat
	.globl	_ZL23rocblas_dot_kernel_inc1ILb0ELi512ELi4ELb1EfPKPKffEviT4_llS4_lliPT5_PT3_ ; -- Begin function _ZL23rocblas_dot_kernel_inc1ILb0ELi512ELi4ELb1EfPKPKffEviT4_llS4_lliPT5_PT3_
	.p2align	8
	.type	_ZL23rocblas_dot_kernel_inc1ILb0ELi512ELi4ELb1EfPKPKffEviT4_llS4_lliPT5_PT3_,@function
_ZL23rocblas_dot_kernel_inc1ILb0ELi512ELi4ELb1EfPKPKffEviT4_llS4_lliPT5_PT3_: ; @_ZL23rocblas_dot_kernel_inc1ILb0ELi512ELi4ELb1EfPKPKffEviT4_llS4_lliPT5_PT3_
; %bb.0:
	s_mov_b32 s2, s7
	s_load_dword s18, s[4:5], 0x50
	s_load_dword s7, s[4:5], 0x0
	s_load_dwordx4 s[8:11], s[4:5], 0x40
	v_lshl_or_b32 v4, s6, 9, v0
	s_mov_b32 s3, 0
	v_mov_b32_e32 v1, 0
	s_waitcnt lgkmcnt(0)
	v_cmp_gt_i32_e32 vcc, s7, v4
	s_and_saveexec_b64 s[12:13], vcc
	s_cbranch_execz .LBB613_4
; %bb.1:
	s_load_dwordx4 s[20:23], s[4:5], 0x8
	s_load_dwordx4 s[24:27], s[4:5], 0x20
	s_lshl_b64 s[0:1], s[2:3], 3
	v_ashrrev_i32_e32 v5, 31, v4
	v_lshlrev_b64 v[2:3], 2, v[4:5]
	s_waitcnt lgkmcnt(0)
	s_add_u32 s4, s20, s0
	s_addc_u32 s5, s21, s1
	s_load_dwordx2 s[14:15], s[4:5], 0x0
	s_lshl_b64 s[16:17], s[22:23], 2
	s_mov_b64 s[4:5], 0
	v_mov_b32_e32 v1, 0
	s_waitcnt lgkmcnt(0)
	s_add_u32 s19, s14, s16
	s_addc_u32 s14, s15, s17
	s_add_u32 s0, s24, s0
	s_addc_u32 s1, s25, s1
	s_load_dwordx2 s[0:1], s[0:1], 0x0
	v_mov_b32_e32 v5, s14
	s_lshl_b64 s[14:15], s[26:27], 2
	s_waitcnt lgkmcnt(0)
	s_add_u32 s20, s0, s14
	s_addc_u32 s0, s1, s15
	s_lshl_b32 s14, s18, 9
	s_ashr_i32 s15, s14, 31
	s_lshl_b64 s[16:17], s[14:15], 2
	v_add_u32_e32 v4, s14, v4
	v_mov_b32_e32 v6, s0
	v_mov_b32_e32 v7, s17
	s_mov_b32 s15, s3
.LBB613_2:                              ; =>This Inner Loop Header: Depth=1
	v_add_co_u32_e32 v8, vcc, s20, v2
	v_addc_co_u32_e32 v9, vcc, v6, v3, vcc
	v_add_co_u32_e32 v10, vcc, s19, v2
	v_addc_co_u32_e32 v11, vcc, v5, v3, vcc
	global_load_dword v12, v[8:9], off
	global_load_dword v13, v[10:11], off
	s_add_i32 s17, s15, 1
	v_add_co_u32_e64 v2, s[0:1], s16, v2
	v_addc_co_u32_e64 v3, s[0:1], v3, v7, s[0:1]
	s_cmp_gt_u32 s15, 2
	v_cmp_le_i32_e32 vcc, s7, v4
	s_cselect_b64 s[0:1], -1, 0
	s_or_b64 s[0:1], s[0:1], vcc
	s_and_b64 s[0:1], exec, s[0:1]
	v_add_u32_e32 v4, s14, v4
	s_mov_b32 s15, s17
	s_or_b64 s[4:5], s[0:1], s[4:5]
	s_waitcnt vmcnt(0)
	v_fmac_f32_e32 v1, v12, v13
	s_andn2_b64 exec, exec, s[4:5]
	s_cbranch_execnz .LBB613_2
; %bb.3:
	s_or_b64 exec, exec, s[4:5]
.LBB613_4:
	s_or_b64 exec, exec, s[12:13]
	v_and_b32_e32 v3, 63, v0
	v_cmp_gt_u32_e32 vcc, 64, v0
	v_lshlrev_b32_e32 v2, 2, v3
	s_and_saveexec_b64 s[0:1], vcc
	s_cbranch_execz .LBB613_6
; %bb.5:
	v_mov_b32_e32 v4, 0
	ds_write_b32 v2, v4
.LBB613_6:
	s_or_b64 exec, exec, s[0:1]
	v_mbcnt_lo_u32_b32 v4, -1, 0
	v_mbcnt_hi_u32_b32 v6, -1, v4
	v_and_b32_e32 v7, 63, v6
	v_cmp_gt_u32_e64 s[0:1], 32, v7
	v_cndmask_b32_e64 v4, 0, 1, s[0:1]
	v_lshlrev_b32_e32 v4, 5, v4
	v_add_lshl_u32 v4, v4, v6, 2
	ds_bpermute_b32 v4, v4, v1
	v_cmp_gt_u32_e64 s[0:1], 48, v7
	v_cndmask_b32_e64 v5, 0, 1, s[0:1]
	v_lshlrev_b32_e32 v5, 4, v5
	v_cmp_gt_u32_e64 s[0:1], 56, v7
	s_waitcnt lgkmcnt(0)
	v_add_f32_e32 v1, v1, v4
	v_add_lshl_u32 v4, v5, v6, 2
	ds_bpermute_b32 v4, v4, v1
	v_cndmask_b32_e64 v5, 0, 1, s[0:1]
	v_lshlrev_b32_e32 v5, 3, v5
	v_cmp_gt_u32_e64 s[0:1], 60, v7
	s_waitcnt lgkmcnt(0)
	v_add_f32_e32 v1, v1, v4
	v_add_lshl_u32 v4, v5, v6, 2
	ds_bpermute_b32 v4, v4, v1
	v_cndmask_b32_e64 v5, 0, 1, s[0:1]
	v_lshlrev_b32_e32 v5, 2, v5
	v_cmp_gt_u32_e64 s[0:1], 62, v7
	v_cndmask_b32_e64 v8, 0, 1, s[0:1]
	s_waitcnt lgkmcnt(0)
	v_add_f32_e32 v1, v1, v4
	v_add_lshl_u32 v4, v5, v6, 2
	ds_bpermute_b32 v5, v4, v1
	v_lshlrev_b32_e32 v8, 1, v8
	v_cmp_ne_u32_e64 s[0:1], 63, v7
	s_barrier
	s_waitcnt lgkmcnt(0)
	v_add_f32_e32 v1, v1, v5
	v_add_lshl_u32 v5, v8, v6, 2
	ds_bpermute_b32 v8, v5, v1
	v_addc_co_u32_e64 v6, s[0:1], 0, v6, s[0:1]
	v_lshlrev_b32_e32 v6, 2, v6
	v_cmp_eq_u32_e64 s[0:1], 0, v3
	s_waitcnt lgkmcnt(0)
	v_add_f32_e32 v1, v1, v8
	ds_bpermute_b32 v7, v6, v1
	s_and_saveexec_b64 s[4:5], s[0:1]
	s_cbranch_execz .LBB613_8
; %bb.7:
	v_lshrrev_b32_e32 v3, 4, v0
	s_waitcnt lgkmcnt(0)
	v_add_f32_e32 v1, v1, v7
	v_and_b32_e32 v3, 28, v3
	ds_write_b32 v3, v1
.LBB613_8:
	s_or_b64 exec, exec, s[4:5]
	v_cmp_gt_u32_e64 s[0:1], 8, v0
	v_mov_b32_e32 v1, 0
	s_waitcnt lgkmcnt(0)
	s_barrier
	s_and_saveexec_b64 s[4:5], s[0:1]
	s_cbranch_execnz .LBB613_12
; %bb.9:
	s_or_b64 exec, exec, s[4:5]
	s_and_saveexec_b64 s[0:1], vcc
	s_cbranch_execnz .LBB613_13
.LBB613_10:
	s_or_b64 exec, exec, s[0:1]
	v_cmp_eq_u32_e32 vcc, 0, v0
	s_and_saveexec_b64 s[0:1], vcc
	s_cbranch_execnz .LBB613_14
.LBB613_11:
	s_endpgm
.LBB613_12:
	ds_read_b32 v1, v2
	s_or_b64 exec, exec, s[4:5]
	s_and_saveexec_b64 s[0:1], vcc
	s_cbranch_execz .LBB613_10
.LBB613_13:
	s_waitcnt lgkmcnt(0)
	ds_bpermute_b32 v2, v4, v1
	s_waitcnt lgkmcnt(0)
	v_add_f32_e32 v1, v1, v2
	ds_bpermute_b32 v2, v5, v1
	s_waitcnt lgkmcnt(0)
	v_add_f32_e32 v1, v1, v2
	;; [unrolled: 3-line block ×3, first 2 shown]
	s_or_b64 exec, exec, s[0:1]
	v_cmp_eq_u32_e32 vcc, 0, v0
	s_and_saveexec_b64 s[0:1], vcc
	s_cbranch_execz .LBB613_11
.LBB613_14:
	s_cmp_lg_u32 s18, 1
	s_cbranch_scc0 .LBB613_16
; %bb.15:
	s_mul_hi_u32 s1, s18, s2
	s_mul_i32 s0, s18, s2
	s_lshl_b64 s[0:1], s[0:1], 2
	s_mov_b32 s7, 0
	s_add_u32 s4, s8, s0
	s_addc_u32 s5, s9, s1
	s_lshl_b64 s[0:1], s[6:7], 2
	s_add_u32 s0, s4, s0
	s_addc_u32 s1, s5, s1
	s_cbranch_execz .LBB613_17
	s_branch .LBB613_18
.LBB613_16:
                                        ; implicit-def: $sgpr0_sgpr1
.LBB613_17:
	s_lshl_b64 s[0:1], s[2:3], 2
	s_add_u32 s0, s10, s0
	s_addc_u32 s1, s11, s1
.LBB613_18:
	v_mov_b32_e32 v0, 0
	s_waitcnt lgkmcnt(0)
	global_store_dword v0, v1, s[0:1]
	s_endpgm
	.section	.rodata,"a",@progbits
	.p2align	6, 0x0
	.amdhsa_kernel _ZL23rocblas_dot_kernel_inc1ILb0ELi512ELi4ELb1EfPKPKffEviT4_llS4_lliPT5_PT3_
		.amdhsa_group_segment_fixed_size 256
		.amdhsa_private_segment_fixed_size 0
		.amdhsa_kernarg_size 336
		.amdhsa_user_sgpr_count 6
		.amdhsa_user_sgpr_private_segment_buffer 1
		.amdhsa_user_sgpr_dispatch_ptr 0
		.amdhsa_user_sgpr_queue_ptr 0
		.amdhsa_user_sgpr_kernarg_segment_ptr 1
		.amdhsa_user_sgpr_dispatch_id 0
		.amdhsa_user_sgpr_flat_scratch_init 0
		.amdhsa_user_sgpr_kernarg_preload_length 0
		.amdhsa_user_sgpr_kernarg_preload_offset 0
		.amdhsa_user_sgpr_private_segment_size 0
		.amdhsa_uses_dynamic_stack 0
		.amdhsa_system_sgpr_private_segment_wavefront_offset 0
		.amdhsa_system_sgpr_workgroup_id_x 1
		.amdhsa_system_sgpr_workgroup_id_y 0
		.amdhsa_system_sgpr_workgroup_id_z 1
		.amdhsa_system_sgpr_workgroup_info 0
		.amdhsa_system_vgpr_workitem_id 0
		.amdhsa_next_free_vgpr 14
		.amdhsa_next_free_sgpr 28
		.amdhsa_accum_offset 16
		.amdhsa_reserve_vcc 1
		.amdhsa_reserve_flat_scratch 0
		.amdhsa_float_round_mode_32 0
		.amdhsa_float_round_mode_16_64 0
		.amdhsa_float_denorm_mode_32 3
		.amdhsa_float_denorm_mode_16_64 3
		.amdhsa_dx10_clamp 1
		.amdhsa_ieee_mode 1
		.amdhsa_fp16_overflow 0
		.amdhsa_tg_split 0
		.amdhsa_exception_fp_ieee_invalid_op 0
		.amdhsa_exception_fp_denorm_src 0
		.amdhsa_exception_fp_ieee_div_zero 0
		.amdhsa_exception_fp_ieee_overflow 0
		.amdhsa_exception_fp_ieee_underflow 0
		.amdhsa_exception_fp_ieee_inexact 0
		.amdhsa_exception_int_div_zero 0
	.end_amdhsa_kernel
	.section	.text._ZL23rocblas_dot_kernel_inc1ILb0ELi512ELi4ELb1EfPKPKffEviT4_llS4_lliPT5_PT3_,"axG",@progbits,_ZL23rocblas_dot_kernel_inc1ILb0ELi512ELi4ELb1EfPKPKffEviT4_llS4_lliPT5_PT3_,comdat
.Lfunc_end613:
	.size	_ZL23rocblas_dot_kernel_inc1ILb0ELi512ELi4ELb1EfPKPKffEviT4_llS4_lliPT5_PT3_, .Lfunc_end613-_ZL23rocblas_dot_kernel_inc1ILb0ELi512ELi4ELb1EfPKPKffEviT4_llS4_lliPT5_PT3_
                                        ; -- End function
	.section	.AMDGPU.csdata,"",@progbits
; Kernel info:
; codeLenInByte = 892
; NumSgprs: 32
; NumVgprs: 14
; NumAgprs: 0
; TotalNumVgprs: 14
; ScratchSize: 0
; MemoryBound: 0
; FloatMode: 240
; IeeeMode: 1
; LDSByteSize: 256 bytes/workgroup (compile time only)
; SGPRBlocks: 3
; VGPRBlocks: 1
; NumSGPRsForWavesPerEU: 32
; NumVGPRsForWavesPerEU: 14
; AccumOffset: 16
; Occupancy: 8
; WaveLimiterHint : 1
; COMPUTE_PGM_RSRC2:SCRATCH_EN: 0
; COMPUTE_PGM_RSRC2:USER_SGPR: 6
; COMPUTE_PGM_RSRC2:TRAP_HANDLER: 0
; COMPUTE_PGM_RSRC2:TGID_X_EN: 1
; COMPUTE_PGM_RSRC2:TGID_Y_EN: 0
; COMPUTE_PGM_RSRC2:TGID_Z_EN: 1
; COMPUTE_PGM_RSRC2:TIDIG_COMP_CNT: 0
; COMPUTE_PGM_RSRC3_GFX90A:ACCUM_OFFSET: 3
; COMPUTE_PGM_RSRC3_GFX90A:TG_SPLIT: 0
	.section	.text._ZL18rocblas_dot_kernelIiLb0ELi512ELi4ELb1EfPKPKffEviT5_lT_lS4_lS5_liPT6_PT4_,"axG",@progbits,_ZL18rocblas_dot_kernelIiLb0ELi512ELi4ELb1EfPKPKffEviT5_lT_lS4_lS5_liPT6_PT4_,comdat
	.globl	_ZL18rocblas_dot_kernelIiLb0ELi512ELi4ELb1EfPKPKffEviT5_lT_lS4_lS5_liPT6_PT4_ ; -- Begin function _ZL18rocblas_dot_kernelIiLb0ELi512ELi4ELb1EfPKPKffEviT5_lT_lS4_lS5_liPT6_PT4_
	.p2align	8
	.type	_ZL18rocblas_dot_kernelIiLb0ELi512ELi4ELb1EfPKPKffEviT5_lT_lS4_lS5_liPT6_PT4_,@function
_ZL18rocblas_dot_kernelIiLb0ELi512ELi4ELb1EfPKPKffEviT5_lT_lS4_lS5_liPT6_PT4_: ; @_ZL18rocblas_dot_kernelIiLb0ELi512ELi4ELb1EfPKPKffEviT5_lT_lS4_lS5_liPT6_PT4_
; %bb.0:
	s_mov_b32 s2, s7
	s_load_dword s18, s[4:5], 0x60
	s_load_dword s7, s[4:5], 0x0
	s_load_dwordx4 s[8:11], s[4:5], 0x50
	v_lshl_or_b32 v4, s6, 9, v0
	s_mov_b32 s3, 0
	v_mov_b32_e32 v1, 0
	s_waitcnt lgkmcnt(0)
	v_cmp_gt_i32_e32 vcc, s7, v4
	s_and_saveexec_b64 s[12:13], vcc
	s_cbranch_execz .LBB614_4
; %bb.1:
	s_load_dwordx4 s[20:23], s[4:5], 0x8
	s_load_dword s16, s[4:5], 0x18
	s_load_dwordx4 s[24:27], s[4:5], 0x28
	s_load_dword s17, s[4:5], 0x38
	s_lshl_b64 s[0:1], s[2:3], 3
	s_waitcnt lgkmcnt(0)
	s_add_u32 s4, s20, s0
	s_addc_u32 s5, s21, s1
	s_load_dwordx2 s[4:5], s[4:5], 0x0
	s_add_u32 s0, s24, s0
	s_addc_u32 s1, s25, s1
	v_mad_i64_i32 v[2:3], s[14:15], s16, v4, 0
	s_load_dwordx2 s[0:1], s[0:1], 0x0
	s_lshl_b32 s19, s18, 9
	s_lshl_b64 s[14:15], s[22:23], 2
	s_waitcnt lgkmcnt(0)
	s_add_u32 s4, s4, s14
	v_lshlrev_b64 v[2:3], 2, v[2:3]
	s_addc_u32 s5, s5, s15
	v_add_u32_e32 v6, s19, v4
	v_mov_b32_e32 v1, s5
	v_add_co_u32_e32 v2, vcc, s4, v2
	s_mul_hi_i32 s5, s16, s19
	s_mul_i32 s4, s16, s19
	v_mad_i64_i32 v[4:5], s[14:15], s17, v4, 0
	s_lshl_b64 s[4:5], s[4:5], 2
	s_lshl_b64 s[14:15], s[26:27], 2
	s_add_u32 s0, s0, s14
	v_addc_co_u32_e32 v3, vcc, v1, v3, vcc
	v_lshlrev_b64 v[4:5], 2, v[4:5]
	s_addc_u32 s1, s1, s15
	v_mov_b32_e32 v1, s1
	v_add_co_u32_e32 v4, vcc, s0, v4
	s_mul_hi_i32 s1, s17, s19
	s_mul_i32 s0, s17, s19
	s_lshl_b64 s[16:17], s[0:1], 2
	v_addc_co_u32_e32 v5, vcc, v1, v5, vcc
	s_mov_b64 s[14:15], 0
	v_mov_b32_e32 v1, 0
	v_mov_b32_e32 v7, s5
	;; [unrolled: 1-line block ×3, first 2 shown]
	s_mov_b32 s5, s3
.LBB614_2:                              ; =>This Inner Loop Header: Depth=1
	global_load_dword v9, v[4:5], off
	global_load_dword v10, v[2:3], off
	v_add_co_u32_e64 v2, s[0:1], s4, v2
	v_addc_co_u32_e64 v3, s[0:1], v3, v7, s[0:1]
	s_add_i32 s17, s5, 1
	v_add_co_u32_e64 v4, s[0:1], s16, v4
	v_addc_co_u32_e64 v5, s[0:1], v5, v8, s[0:1]
	s_cmp_gt_u32 s5, 2
	v_cmp_le_i32_e32 vcc, s7, v6
	s_cselect_b64 s[0:1], -1, 0
	s_or_b64 s[0:1], s[0:1], vcc
	s_and_b64 s[0:1], exec, s[0:1]
	v_add_u32_e32 v6, s19, v6
	s_mov_b32 s5, s17
	s_or_b64 s[14:15], s[0:1], s[14:15]
	s_waitcnt vmcnt(0)
	v_fmac_f32_e32 v1, v9, v10
	s_andn2_b64 exec, exec, s[14:15]
	s_cbranch_execnz .LBB614_2
; %bb.3:
	s_or_b64 exec, exec, s[14:15]
.LBB614_4:
	s_or_b64 exec, exec, s[12:13]
	v_and_b32_e32 v3, 63, v0
	v_cmp_gt_u32_e32 vcc, 64, v0
	v_lshlrev_b32_e32 v2, 2, v3
	s_and_saveexec_b64 s[0:1], vcc
	s_cbranch_execz .LBB614_6
; %bb.5:
	v_mov_b32_e32 v4, 0
	ds_write_b32 v2, v4
.LBB614_6:
	s_or_b64 exec, exec, s[0:1]
	v_mbcnt_lo_u32_b32 v4, -1, 0
	v_mbcnt_hi_u32_b32 v6, -1, v4
	v_and_b32_e32 v7, 63, v6
	v_cmp_gt_u32_e64 s[0:1], 32, v7
	v_cndmask_b32_e64 v4, 0, 1, s[0:1]
	v_lshlrev_b32_e32 v4, 5, v4
	v_add_lshl_u32 v4, v4, v6, 2
	ds_bpermute_b32 v4, v4, v1
	v_cmp_gt_u32_e64 s[0:1], 48, v7
	v_cndmask_b32_e64 v5, 0, 1, s[0:1]
	v_lshlrev_b32_e32 v5, 4, v5
	v_cmp_gt_u32_e64 s[0:1], 56, v7
	s_waitcnt lgkmcnt(0)
	v_add_f32_e32 v1, v1, v4
	v_add_lshl_u32 v4, v5, v6, 2
	ds_bpermute_b32 v4, v4, v1
	v_cndmask_b32_e64 v5, 0, 1, s[0:1]
	v_lshlrev_b32_e32 v5, 3, v5
	v_cmp_gt_u32_e64 s[0:1], 60, v7
	s_waitcnt lgkmcnt(0)
	v_add_f32_e32 v1, v1, v4
	v_add_lshl_u32 v4, v5, v6, 2
	ds_bpermute_b32 v4, v4, v1
	v_cndmask_b32_e64 v5, 0, 1, s[0:1]
	v_lshlrev_b32_e32 v5, 2, v5
	v_cmp_gt_u32_e64 s[0:1], 62, v7
	v_cndmask_b32_e64 v8, 0, 1, s[0:1]
	s_waitcnt lgkmcnt(0)
	v_add_f32_e32 v1, v1, v4
	v_add_lshl_u32 v4, v5, v6, 2
	ds_bpermute_b32 v5, v4, v1
	v_lshlrev_b32_e32 v8, 1, v8
	v_cmp_ne_u32_e64 s[0:1], 63, v7
	s_barrier
	s_waitcnt lgkmcnt(0)
	v_add_f32_e32 v1, v1, v5
	v_add_lshl_u32 v5, v8, v6, 2
	ds_bpermute_b32 v8, v5, v1
	v_addc_co_u32_e64 v6, s[0:1], 0, v6, s[0:1]
	v_lshlrev_b32_e32 v6, 2, v6
	v_cmp_eq_u32_e64 s[0:1], 0, v3
	s_waitcnt lgkmcnt(0)
	v_add_f32_e32 v1, v1, v8
	ds_bpermute_b32 v7, v6, v1
	s_and_saveexec_b64 s[4:5], s[0:1]
	s_cbranch_execz .LBB614_8
; %bb.7:
	v_lshrrev_b32_e32 v3, 4, v0
	s_waitcnt lgkmcnt(0)
	v_add_f32_e32 v1, v1, v7
	v_and_b32_e32 v3, 28, v3
	ds_write_b32 v3, v1
.LBB614_8:
	s_or_b64 exec, exec, s[4:5]
	v_cmp_gt_u32_e64 s[0:1], 8, v0
	v_mov_b32_e32 v1, 0
	s_waitcnt lgkmcnt(0)
	s_barrier
	s_and_saveexec_b64 s[4:5], s[0:1]
	s_cbranch_execnz .LBB614_12
; %bb.9:
	s_or_b64 exec, exec, s[4:5]
	s_and_saveexec_b64 s[0:1], vcc
	s_cbranch_execnz .LBB614_13
.LBB614_10:
	s_or_b64 exec, exec, s[0:1]
	v_cmp_eq_u32_e32 vcc, 0, v0
	s_and_saveexec_b64 s[0:1], vcc
	s_cbranch_execnz .LBB614_14
.LBB614_11:
	s_endpgm
.LBB614_12:
	ds_read_b32 v1, v2
	s_or_b64 exec, exec, s[4:5]
	s_and_saveexec_b64 s[0:1], vcc
	s_cbranch_execz .LBB614_10
.LBB614_13:
	s_waitcnt lgkmcnt(0)
	ds_bpermute_b32 v2, v4, v1
	s_waitcnt lgkmcnt(0)
	v_add_f32_e32 v1, v1, v2
	ds_bpermute_b32 v2, v5, v1
	s_waitcnt lgkmcnt(0)
	v_add_f32_e32 v1, v1, v2
	;; [unrolled: 3-line block ×3, first 2 shown]
	s_or_b64 exec, exec, s[0:1]
	v_cmp_eq_u32_e32 vcc, 0, v0
	s_and_saveexec_b64 s[0:1], vcc
	s_cbranch_execz .LBB614_11
.LBB614_14:
	s_cmp_lg_u32 s18, 1
	s_cbranch_scc0 .LBB614_16
; %bb.15:
	s_mul_hi_u32 s1, s18, s2
	s_mul_i32 s0, s18, s2
	s_lshl_b64 s[0:1], s[0:1], 2
	s_mov_b32 s7, 0
	s_add_u32 s4, s8, s0
	s_addc_u32 s5, s9, s1
	s_lshl_b64 s[0:1], s[6:7], 2
	s_add_u32 s0, s4, s0
	s_addc_u32 s1, s5, s1
	s_cbranch_execz .LBB614_17
	s_branch .LBB614_18
.LBB614_16:
                                        ; implicit-def: $sgpr0_sgpr1
.LBB614_17:
	s_lshl_b64 s[0:1], s[2:3], 2
	s_add_u32 s0, s10, s0
	s_addc_u32 s1, s11, s1
.LBB614_18:
	v_mov_b32_e32 v0, 0
	s_waitcnt lgkmcnt(0)
	global_store_dword v0, v1, s[0:1]
	s_endpgm
	.section	.rodata,"a",@progbits
	.p2align	6, 0x0
	.amdhsa_kernel _ZL18rocblas_dot_kernelIiLb0ELi512ELi4ELb1EfPKPKffEviT5_lT_lS4_lS5_liPT6_PT4_
		.amdhsa_group_segment_fixed_size 256
		.amdhsa_private_segment_fixed_size 0
		.amdhsa_kernarg_size 352
		.amdhsa_user_sgpr_count 6
		.amdhsa_user_sgpr_private_segment_buffer 1
		.amdhsa_user_sgpr_dispatch_ptr 0
		.amdhsa_user_sgpr_queue_ptr 0
		.amdhsa_user_sgpr_kernarg_segment_ptr 1
		.amdhsa_user_sgpr_dispatch_id 0
		.amdhsa_user_sgpr_flat_scratch_init 0
		.amdhsa_user_sgpr_kernarg_preload_length 0
		.amdhsa_user_sgpr_kernarg_preload_offset 0
		.amdhsa_user_sgpr_private_segment_size 0
		.amdhsa_uses_dynamic_stack 0
		.amdhsa_system_sgpr_private_segment_wavefront_offset 0
		.amdhsa_system_sgpr_workgroup_id_x 1
		.amdhsa_system_sgpr_workgroup_id_y 0
		.amdhsa_system_sgpr_workgroup_id_z 1
		.amdhsa_system_sgpr_workgroup_info 0
		.amdhsa_system_vgpr_workitem_id 0
		.amdhsa_next_free_vgpr 11
		.amdhsa_next_free_sgpr 28
		.amdhsa_accum_offset 12
		.amdhsa_reserve_vcc 1
		.amdhsa_reserve_flat_scratch 0
		.amdhsa_float_round_mode_32 0
		.amdhsa_float_round_mode_16_64 0
		.amdhsa_float_denorm_mode_32 3
		.amdhsa_float_denorm_mode_16_64 3
		.amdhsa_dx10_clamp 1
		.amdhsa_ieee_mode 1
		.amdhsa_fp16_overflow 0
		.amdhsa_tg_split 0
		.amdhsa_exception_fp_ieee_invalid_op 0
		.amdhsa_exception_fp_denorm_src 0
		.amdhsa_exception_fp_ieee_div_zero 0
		.amdhsa_exception_fp_ieee_overflow 0
		.amdhsa_exception_fp_ieee_underflow 0
		.amdhsa_exception_fp_ieee_inexact 0
		.amdhsa_exception_int_div_zero 0
	.end_amdhsa_kernel
	.section	.text._ZL18rocblas_dot_kernelIiLb0ELi512ELi4ELb1EfPKPKffEviT5_lT_lS4_lS5_liPT6_PT4_,"axG",@progbits,_ZL18rocblas_dot_kernelIiLb0ELi512ELi4ELb1EfPKPKffEviT5_lT_lS4_lS5_liPT6_PT4_,comdat
.Lfunc_end614:
	.size	_ZL18rocblas_dot_kernelIiLb0ELi512ELi4ELb1EfPKPKffEviT5_lT_lS4_lS5_liPT6_PT4_, .Lfunc_end614-_ZL18rocblas_dot_kernelIiLb0ELi512ELi4ELb1EfPKPKffEviT5_lT_lS4_lS5_liPT6_PT4_
                                        ; -- End function
	.section	.AMDGPU.csdata,"",@progbits
; Kernel info:
; codeLenInByte = 960
; NumSgprs: 32
; NumVgprs: 11
; NumAgprs: 0
; TotalNumVgprs: 11
; ScratchSize: 0
; MemoryBound: 0
; FloatMode: 240
; IeeeMode: 1
; LDSByteSize: 256 bytes/workgroup (compile time only)
; SGPRBlocks: 3
; VGPRBlocks: 1
; NumSGPRsForWavesPerEU: 32
; NumVGPRsForWavesPerEU: 11
; AccumOffset: 12
; Occupancy: 8
; WaveLimiterHint : 0
; COMPUTE_PGM_RSRC2:SCRATCH_EN: 0
; COMPUTE_PGM_RSRC2:USER_SGPR: 6
; COMPUTE_PGM_RSRC2:TRAP_HANDLER: 0
; COMPUTE_PGM_RSRC2:TGID_X_EN: 1
; COMPUTE_PGM_RSRC2:TGID_Y_EN: 0
; COMPUTE_PGM_RSRC2:TGID_Z_EN: 1
; COMPUTE_PGM_RSRC2:TIDIG_COMP_CNT: 0
; COMPUTE_PGM_RSRC3_GFX90A:ACCUM_OFFSET: 2
; COMPUTE_PGM_RSRC3_GFX90A:TG_SPLIT: 0
	.section	.text._ZL24rocblas_dot_kernel_magsqIiLb0ELi512ELi4ELb1EfPKPKffEviT5_lT_liPT6_PT4_,"axG",@progbits,_ZL24rocblas_dot_kernel_magsqIiLb0ELi512ELi4ELb1EfPKPKffEviT5_lT_liPT6_PT4_,comdat
	.globl	_ZL24rocblas_dot_kernel_magsqIiLb0ELi512ELi4ELb1EfPKPKffEviT5_lT_liPT6_PT4_ ; -- Begin function _ZL24rocblas_dot_kernel_magsqIiLb0ELi512ELi4ELb1EfPKPKffEviT5_lT_liPT6_PT4_
	.p2align	8
	.type	_ZL24rocblas_dot_kernel_magsqIiLb0ELi512ELi4ELb1EfPKPKffEviT5_lT_liPT6_PT4_,@function
_ZL24rocblas_dot_kernel_magsqIiLb0ELi512ELi4ELb1EfPKPKffEviT5_lT_liPT6_PT4_: ; @_ZL24rocblas_dot_kernel_magsqIiLb0ELi512ELi4ELb1EfPKPKffEviT5_lT_liPT6_PT4_
; %bb.0:
	s_mov_b32 s2, s7
	s_load_dword s7, s[4:5], 0x0
	s_load_dwordx4 s[8:11], s[4:5], 0x30
	s_load_dword s16, s[4:5], 0x40
	v_lshl_or_b32 v2, s6, 9, v0
	s_mov_b32 s3, 0
	s_waitcnt lgkmcnt(0)
	v_cmp_gt_i32_e32 vcc, s7, v2
	v_mov_b32_e32 v1, 0
	s_and_saveexec_b64 s[12:13], vcc
	s_cbranch_execz .LBB615_4
; %bb.1:
	s_load_dwordx4 s[20:23], s[4:5], 0x8
	s_load_dword s14, s[4:5], 0x18
	s_lshl_b64 s[0:1], s[2:3], 3
	s_waitcnt lgkmcnt(0)
	s_add_u32 s0, s20, s0
	s_addc_u32 s1, s21, s1
	s_load_dwordx2 s[0:1], s[0:1], 0x0
	v_mad_i64_i32 v[4:5], s[4:5], s14, v2, 0
	s_lshl_b32 s17, s16, 9
	s_lshl_b64 s[4:5], s[22:23], 2
	s_waitcnt lgkmcnt(0)
	s_add_u32 s0, s0, s4
	v_lshlrev_b64 v[6:7], 2, v[4:5]
	s_addc_u32 s1, s1, s5
	v_add_u32_e32 v4, s17, v2
	v_mov_b32_e32 v1, s1
	v_add_co_u32_e32 v2, vcc, s0, v6
	s_mul_hi_i32 s1, s14, s17
	s_mul_i32 s0, s14, s17
	s_lshl_b64 s[14:15], s[0:1], 2
	v_addc_co_u32_e32 v3, vcc, v1, v7, vcc
	s_mov_b64 s[4:5], 0
	v_mov_b32_e32 v1, 0
	v_mov_b32_e32 v5, s15
	s_mov_b32 s15, s3
.LBB615_2:                              ; =>This Inner Loop Header: Depth=1
	global_load_dword v6, v[2:3], off
	s_add_i32 s18, s15, 1
	v_add_co_u32_e64 v2, s[0:1], s14, v2
	v_addc_co_u32_e64 v3, s[0:1], v3, v5, s[0:1]
	s_cmp_gt_u32 s15, 2
	v_cmp_le_i32_e32 vcc, s7, v4
	s_cselect_b64 s[0:1], -1, 0
	s_or_b64 s[0:1], s[0:1], vcc
	s_and_b64 s[0:1], exec, s[0:1]
	v_add_u32_e32 v4, s17, v4
	s_mov_b32 s15, s18
	s_or_b64 s[4:5], s[0:1], s[4:5]
	s_waitcnt vmcnt(0)
	v_fmac_f32_e32 v1, v6, v6
	s_andn2_b64 exec, exec, s[4:5]
	s_cbranch_execnz .LBB615_2
; %bb.3:
	s_or_b64 exec, exec, s[4:5]
.LBB615_4:
	s_or_b64 exec, exec, s[12:13]
	v_and_b32_e32 v3, 63, v0
	v_cmp_gt_u32_e32 vcc, 64, v0
	v_lshlrev_b32_e32 v2, 2, v3
	s_and_saveexec_b64 s[0:1], vcc
	s_cbranch_execz .LBB615_6
; %bb.5:
	v_mov_b32_e32 v4, 0
	ds_write_b32 v2, v4
.LBB615_6:
	s_or_b64 exec, exec, s[0:1]
	v_mbcnt_lo_u32_b32 v4, -1, 0
	v_mbcnt_hi_u32_b32 v6, -1, v4
	v_and_b32_e32 v7, 63, v6
	v_cmp_gt_u32_e64 s[0:1], 32, v7
	v_cndmask_b32_e64 v4, 0, 1, s[0:1]
	v_lshlrev_b32_e32 v4, 5, v4
	v_add_lshl_u32 v4, v4, v6, 2
	ds_bpermute_b32 v4, v4, v1
	v_cmp_gt_u32_e64 s[0:1], 48, v7
	v_cndmask_b32_e64 v5, 0, 1, s[0:1]
	v_lshlrev_b32_e32 v5, 4, v5
	v_cmp_gt_u32_e64 s[0:1], 56, v7
	s_waitcnt lgkmcnt(0)
	v_add_f32_e32 v1, v1, v4
	v_add_lshl_u32 v4, v5, v6, 2
	ds_bpermute_b32 v4, v4, v1
	v_cndmask_b32_e64 v5, 0, 1, s[0:1]
	v_lshlrev_b32_e32 v5, 3, v5
	v_cmp_gt_u32_e64 s[0:1], 60, v7
	s_waitcnt lgkmcnt(0)
	v_add_f32_e32 v1, v1, v4
	v_add_lshl_u32 v4, v5, v6, 2
	ds_bpermute_b32 v4, v4, v1
	v_cndmask_b32_e64 v5, 0, 1, s[0:1]
	v_lshlrev_b32_e32 v5, 2, v5
	v_cmp_gt_u32_e64 s[0:1], 62, v7
	v_cndmask_b32_e64 v8, 0, 1, s[0:1]
	s_waitcnt lgkmcnt(0)
	v_add_f32_e32 v1, v1, v4
	v_add_lshl_u32 v4, v5, v6, 2
	ds_bpermute_b32 v5, v4, v1
	v_lshlrev_b32_e32 v8, 1, v8
	v_cmp_ne_u32_e64 s[0:1], 63, v7
	s_barrier
	s_waitcnt lgkmcnt(0)
	v_add_f32_e32 v1, v1, v5
	v_add_lshl_u32 v5, v8, v6, 2
	ds_bpermute_b32 v8, v5, v1
	v_addc_co_u32_e64 v6, s[0:1], 0, v6, s[0:1]
	v_lshlrev_b32_e32 v6, 2, v6
	v_cmp_eq_u32_e64 s[0:1], 0, v3
	s_waitcnt lgkmcnt(0)
	v_add_f32_e32 v1, v1, v8
	ds_bpermute_b32 v7, v6, v1
	s_and_saveexec_b64 s[4:5], s[0:1]
	s_cbranch_execz .LBB615_8
; %bb.7:
	v_lshrrev_b32_e32 v3, 4, v0
	s_waitcnt lgkmcnt(0)
	v_add_f32_e32 v1, v1, v7
	v_and_b32_e32 v3, 28, v3
	ds_write_b32 v3, v1
.LBB615_8:
	s_or_b64 exec, exec, s[4:5]
	v_cmp_gt_u32_e64 s[0:1], 8, v0
	v_mov_b32_e32 v1, 0
	s_waitcnt lgkmcnt(0)
	s_barrier
	s_and_saveexec_b64 s[4:5], s[0:1]
	s_cbranch_execnz .LBB615_12
; %bb.9:
	s_or_b64 exec, exec, s[4:5]
	s_and_saveexec_b64 s[0:1], vcc
	s_cbranch_execnz .LBB615_13
.LBB615_10:
	s_or_b64 exec, exec, s[0:1]
	v_cmp_eq_u32_e32 vcc, 0, v0
	s_and_saveexec_b64 s[0:1], vcc
	s_cbranch_execnz .LBB615_14
.LBB615_11:
	s_endpgm
.LBB615_12:
	ds_read_b32 v1, v2
	s_or_b64 exec, exec, s[4:5]
	s_and_saveexec_b64 s[0:1], vcc
	s_cbranch_execz .LBB615_10
.LBB615_13:
	s_waitcnt lgkmcnt(0)
	ds_bpermute_b32 v2, v4, v1
	s_waitcnt lgkmcnt(0)
	v_add_f32_e32 v1, v1, v2
	ds_bpermute_b32 v2, v5, v1
	s_waitcnt lgkmcnt(0)
	v_add_f32_e32 v1, v1, v2
	;; [unrolled: 3-line block ×3, first 2 shown]
	s_or_b64 exec, exec, s[0:1]
	v_cmp_eq_u32_e32 vcc, 0, v0
	s_and_saveexec_b64 s[0:1], vcc
	s_cbranch_execz .LBB615_11
.LBB615_14:
	s_cmp_lg_u32 s16, 1
	s_cbranch_scc0 .LBB615_16
; %bb.15:
	s_mul_hi_u32 s1, s16, s2
	s_mul_i32 s0, s16, s2
	s_lshl_b64 s[0:1], s[0:1], 2
	s_mov_b32 s7, 0
	s_add_u32 s4, s8, s0
	s_addc_u32 s5, s9, s1
	s_lshl_b64 s[0:1], s[6:7], 2
	s_add_u32 s0, s4, s0
	s_addc_u32 s1, s5, s1
	s_cbranch_execz .LBB615_17
	s_branch .LBB615_18
.LBB615_16:
                                        ; implicit-def: $sgpr0_sgpr1
.LBB615_17:
	s_lshl_b64 s[0:1], s[2:3], 2
	s_add_u32 s0, s10, s0
	s_addc_u32 s1, s11, s1
.LBB615_18:
	v_mov_b32_e32 v0, 0
	s_waitcnt lgkmcnt(0)
	global_store_dword v0, v1, s[0:1]
	s_endpgm
	.section	.rodata,"a",@progbits
	.p2align	6, 0x0
	.amdhsa_kernel _ZL24rocblas_dot_kernel_magsqIiLb0ELi512ELi4ELb1EfPKPKffEviT5_lT_liPT6_PT4_
		.amdhsa_group_segment_fixed_size 256
		.amdhsa_private_segment_fixed_size 0
		.amdhsa_kernarg_size 320
		.amdhsa_user_sgpr_count 6
		.amdhsa_user_sgpr_private_segment_buffer 1
		.amdhsa_user_sgpr_dispatch_ptr 0
		.amdhsa_user_sgpr_queue_ptr 0
		.amdhsa_user_sgpr_kernarg_segment_ptr 1
		.amdhsa_user_sgpr_dispatch_id 0
		.amdhsa_user_sgpr_flat_scratch_init 0
		.amdhsa_user_sgpr_kernarg_preload_length 0
		.amdhsa_user_sgpr_kernarg_preload_offset 0
		.amdhsa_user_sgpr_private_segment_size 0
		.amdhsa_uses_dynamic_stack 0
		.amdhsa_system_sgpr_private_segment_wavefront_offset 0
		.amdhsa_system_sgpr_workgroup_id_x 1
		.amdhsa_system_sgpr_workgroup_id_y 0
		.amdhsa_system_sgpr_workgroup_id_z 1
		.amdhsa_system_sgpr_workgroup_info 0
		.amdhsa_system_vgpr_workitem_id 0
		.amdhsa_next_free_vgpr 9
		.amdhsa_next_free_sgpr 24
		.amdhsa_accum_offset 12
		.amdhsa_reserve_vcc 1
		.amdhsa_reserve_flat_scratch 0
		.amdhsa_float_round_mode_32 0
		.amdhsa_float_round_mode_16_64 0
		.amdhsa_float_denorm_mode_32 3
		.amdhsa_float_denorm_mode_16_64 3
		.amdhsa_dx10_clamp 1
		.amdhsa_ieee_mode 1
		.amdhsa_fp16_overflow 0
		.amdhsa_tg_split 0
		.amdhsa_exception_fp_ieee_invalid_op 0
		.amdhsa_exception_fp_denorm_src 0
		.amdhsa_exception_fp_ieee_div_zero 0
		.amdhsa_exception_fp_ieee_overflow 0
		.amdhsa_exception_fp_ieee_underflow 0
		.amdhsa_exception_fp_ieee_inexact 0
		.amdhsa_exception_int_div_zero 0
	.end_amdhsa_kernel
	.section	.text._ZL24rocblas_dot_kernel_magsqIiLb0ELi512ELi4ELb1EfPKPKffEviT5_lT_liPT6_PT4_,"axG",@progbits,_ZL24rocblas_dot_kernel_magsqIiLb0ELi512ELi4ELb1EfPKPKffEviT5_lT_liPT6_PT4_,comdat
.Lfunc_end615:
	.size	_ZL24rocblas_dot_kernel_magsqIiLb0ELi512ELi4ELb1EfPKPKffEviT5_lT_liPT6_PT4_, .Lfunc_end615-_ZL24rocblas_dot_kernel_magsqIiLb0ELi512ELi4ELb1EfPKPKffEviT5_lT_liPT6_PT4_
                                        ; -- End function
	.section	.AMDGPU.csdata,"",@progbits
; Kernel info:
; codeLenInByte = 848
; NumSgprs: 28
; NumVgprs: 9
; NumAgprs: 0
; TotalNumVgprs: 9
; ScratchSize: 0
; MemoryBound: 0
; FloatMode: 240
; IeeeMode: 1
; LDSByteSize: 256 bytes/workgroup (compile time only)
; SGPRBlocks: 3
; VGPRBlocks: 1
; NumSGPRsForWavesPerEU: 28
; NumVGPRsForWavesPerEU: 9
; AccumOffset: 12
; Occupancy: 8
; WaveLimiterHint : 0
; COMPUTE_PGM_RSRC2:SCRATCH_EN: 0
; COMPUTE_PGM_RSRC2:USER_SGPR: 6
; COMPUTE_PGM_RSRC2:TRAP_HANDLER: 0
; COMPUTE_PGM_RSRC2:TGID_X_EN: 1
; COMPUTE_PGM_RSRC2:TGID_Y_EN: 0
; COMPUTE_PGM_RSRC2:TGID_Z_EN: 1
; COMPUTE_PGM_RSRC2:TIDIG_COMP_CNT: 0
; COMPUTE_PGM_RSRC3_GFX90A:ACCUM_OFFSET: 2
; COMPUTE_PGM_RSRC3_GFX90A:TG_SPLIT: 0
	.section	.text._ZL28rocblas_dot_batched_4_kernelIlLi32ELi4ELb1EffPKPKfEviT5_lT_lS4_lS5_liPT4_,"axG",@progbits,_ZL28rocblas_dot_batched_4_kernelIlLi32ELi4ELb1EffPKPKfEviT5_lT_lS4_lS5_liPT4_,comdat
	.globl	_ZL28rocblas_dot_batched_4_kernelIlLi32ELi4ELb1EffPKPKfEviT5_lT_lS4_lS5_liPT4_ ; -- Begin function _ZL28rocblas_dot_batched_4_kernelIlLi32ELi4ELb1EffPKPKfEviT5_lT_lS4_lS5_liPT4_
	.p2align	8
	.type	_ZL28rocblas_dot_batched_4_kernelIlLi32ELi4ELb1EffPKPKfEviT5_lT_lS4_lS5_liPT4_,@function
_ZL28rocblas_dot_batched_4_kernelIlLi32ELi4ELb1EffPKPKfEviT5_lT_lS4_lS5_liPT4_: ; @_ZL28rocblas_dot_batched_4_kernelIlLi32ELi4ELb1EffPKPKfEviT5_lT_lS4_lS5_liPT4_
; %bb.0:
	s_load_dword s0, s[4:5], 0x48
	v_bfe_u32 v1, v0, 10, 10
	v_lshl_add_u32 v2, s6, 2, v1
	s_waitcnt lgkmcnt(0)
	v_cmp_gt_u32_e32 vcc, s0, v2
	s_and_saveexec_b64 s[0:1], vcc
	s_cbranch_execz .LBB616_7
; %bb.1:
	s_load_dword s14, s[4:5], 0x0
	s_load_dwordx2 s[8:9], s[4:5], 0x50
	v_mov_b32_e32 v3, 0
	v_and_b32_e32 v6, 0x3ff, v0
	v_mov_b32_e32 v7, v3
	s_waitcnt lgkmcnt(0)
	v_cmp_gt_i32_e32 vcc, s14, v6
	s_and_saveexec_b64 s[10:11], vcc
	s_cbranch_execz .LBB616_5
; %bb.2:
	s_load_dwordx2 s[6:7], s[4:5], 0x8
	s_load_dwordx2 s[12:13], s[4:5], 0x28
	v_lshlrev_b64 v[0:1], 3, v[2:3]
	s_load_dwordx4 s[0:3], s[4:5], 0x10
	s_waitcnt lgkmcnt(0)
	v_mov_b32_e32 v5, s7
	v_add_co_u32_e32 v4, vcc, s6, v0
	v_addc_co_u32_e32 v5, vcc, v5, v1, vcc
	global_load_dwordx2 v[4:5], v[4:5], off
	v_mov_b32_e32 v7, s13
	v_add_co_u32_e32 v0, vcc, s12, v0
	v_addc_co_u32_e32 v1, vcc, v7, v1, vcc
	global_load_dwordx2 v[10:11], v[0:1], off
	s_load_dwordx4 s[4:7], s[4:5], 0x30
	v_mad_u64_u32 v[0:1], s[16:17], s2, v6, 0
	v_mov_b32_e32 v14, v1
	s_lshl_b64 s[16:17], s[0:1], 2
	s_lshl_b64 s[0:1], s[2:3], 7
	s_waitcnt lgkmcnt(0)
	v_mad_u64_u32 v[12:13], s[18:19], s6, v6, 0
	v_mad_u64_u32 v[14:15], s[2:3], s3, v6, v[14:15]
	v_mov_b32_e32 v16, v13
	v_mov_b32_e32 v1, v14
	v_mad_u64_u32 v[16:17], s[2:3], s7, v6, v[16:17]
	v_lshlrev_b64 v[0:1], 2, v[0:1]
	v_mov_b32_e32 v18, s17
	v_mov_b32_e32 v13, v16
	v_add_co_u32_e32 v0, vcc, s16, v0
	s_lshl_b64 s[18:19], s[4:5], 2
	v_lshlrev_b64 v[12:13], 2, v[12:13]
	v_addc_co_u32_e32 v1, vcc, v1, v18, vcc
	v_mov_b32_e32 v19, s19
	v_add_co_u32_e32 v12, vcc, s18, v12
	v_addc_co_u32_e32 v13, vcc, v13, v19, vcc
	s_lshl_b64 s[4:5], s[6:7], 7
	s_mov_b64 s[12:13], 0
	v_mov_b32_e32 v7, 0
	v_mov_b32_e32 v8, s1
	;; [unrolled: 1-line block ×3, first 2 shown]
	s_waitcnt vmcnt(1)
	v_add_co_u32_e32 v0, vcc, v4, v0
	v_addc_co_u32_e32 v1, vcc, v5, v1, vcc
	s_waitcnt vmcnt(0)
	v_add_co_u32_e32 v4, vcc, v10, v12
	v_addc_co_u32_e32 v5, vcc, v11, v13, vcc
	v_mov_b32_e32 v10, v6
.LBB616_3:                              ; =>This Inner Loop Header: Depth=1
	global_load_dword v11, v[0:1], off
	global_load_dword v12, v[4:5], off
	v_add_co_u32_e32 v0, vcc, s0, v0
	v_addc_co_u32_e32 v1, vcc, v1, v8, vcc
	v_add_co_u32_e32 v4, vcc, s4, v4
	v_add_u32_e32 v10, 32, v10
	v_addc_co_u32_e32 v5, vcc, v5, v9, vcc
	v_cmp_le_i32_e32 vcc, s14, v10
	s_or_b64 s[12:13], vcc, s[12:13]
	s_waitcnt vmcnt(0)
	v_fmac_f32_e32 v7, v11, v12
	s_andn2_b64 exec, exec, s[12:13]
	s_cbranch_execnz .LBB616_3
; %bb.4:
	s_or_b64 exec, exec, s[12:13]
.LBB616_5:
	s_or_b64 exec, exec, s[10:11]
	v_mbcnt_lo_u32_b32 v0, -1, 0
	v_mbcnt_hi_u32_b32 v0, -1, v0
	v_and_b32_e32 v1, 63, v0
	v_cmp_gt_u32_e32 vcc, 48, v1
	v_cndmask_b32_e64 v4, 0, 1, vcc
	v_lshlrev_b32_e32 v4, 4, v4
	v_add_lshl_u32 v4, v4, v0, 2
	ds_bpermute_b32 v4, v4, v7
	v_cmp_gt_u32_e32 vcc, 56, v1
	v_cndmask_b32_e64 v5, 0, 1, vcc
	v_lshlrev_b32_e32 v5, 3, v5
	v_add_lshl_u32 v5, v5, v0, 2
	s_waitcnt lgkmcnt(0)
	v_add_f32_e32 v4, v7, v4
	ds_bpermute_b32 v5, v5, v4
	v_cmp_gt_u32_e32 vcc, 60, v1
	v_cndmask_b32_e64 v7, 0, 1, vcc
	v_lshlrev_b32_e32 v7, 2, v7
	v_cmp_gt_u32_e32 vcc, 62, v1
	s_waitcnt lgkmcnt(0)
	v_add_f32_e32 v4, v4, v5
	v_add_lshl_u32 v5, v7, v0, 2
	ds_bpermute_b32 v5, v5, v4
	v_cndmask_b32_e64 v7, 0, 1, vcc
	v_lshlrev_b32_e32 v7, 1, v7
	v_cmp_ne_u32_e32 vcc, 63, v1
	v_addc_co_u32_e32 v1, vcc, 0, v0, vcc
	s_waitcnt lgkmcnt(0)
	v_add_f32_e32 v4, v4, v5
	v_add_lshl_u32 v5, v7, v0, 2
	ds_bpermute_b32 v5, v5, v4
	v_lshlrev_b32_e32 v1, 2, v1
	v_cmp_eq_u32_e32 vcc, 0, v6
	s_waitcnt lgkmcnt(0)
	s_barrier
	v_add_f32_e32 v0, v4, v5
	ds_bpermute_b32 v1, v1, v0
	s_waitcnt lgkmcnt(0)
	s_and_b64 exec, exec, vcc
	s_cbranch_execz .LBB616_7
; %bb.6:
	v_lshlrev_b64 v[2:3], 2, v[2:3]
	v_mov_b32_e32 v4, s9
	v_add_co_u32_e32 v2, vcc, s8, v2
	v_addc_co_u32_e32 v3, vcc, v4, v3, vcc
	v_add_f32_e32 v0, v0, v1
	global_store_dword v[2:3], v0, off
.LBB616_7:
	s_endpgm
	.section	.rodata,"a",@progbits
	.p2align	6, 0x0
	.amdhsa_kernel _ZL28rocblas_dot_batched_4_kernelIlLi32ELi4ELb1EffPKPKfEviT5_lT_lS4_lS5_liPT4_
		.amdhsa_group_segment_fixed_size 0
		.amdhsa_private_segment_fixed_size 0
		.amdhsa_kernarg_size 88
		.amdhsa_user_sgpr_count 6
		.amdhsa_user_sgpr_private_segment_buffer 1
		.amdhsa_user_sgpr_dispatch_ptr 0
		.amdhsa_user_sgpr_queue_ptr 0
		.amdhsa_user_sgpr_kernarg_segment_ptr 1
		.amdhsa_user_sgpr_dispatch_id 0
		.amdhsa_user_sgpr_flat_scratch_init 0
		.amdhsa_user_sgpr_kernarg_preload_length 0
		.amdhsa_user_sgpr_kernarg_preload_offset 0
		.amdhsa_user_sgpr_private_segment_size 0
		.amdhsa_uses_dynamic_stack 0
		.amdhsa_system_sgpr_private_segment_wavefront_offset 0
		.amdhsa_system_sgpr_workgroup_id_x 1
		.amdhsa_system_sgpr_workgroup_id_y 0
		.amdhsa_system_sgpr_workgroup_id_z 0
		.amdhsa_system_sgpr_workgroup_info 0
		.amdhsa_system_vgpr_workitem_id 1
		.amdhsa_next_free_vgpr 20
		.amdhsa_next_free_sgpr 20
		.amdhsa_accum_offset 20
		.amdhsa_reserve_vcc 1
		.amdhsa_reserve_flat_scratch 0
		.amdhsa_float_round_mode_32 0
		.amdhsa_float_round_mode_16_64 0
		.amdhsa_float_denorm_mode_32 3
		.amdhsa_float_denorm_mode_16_64 3
		.amdhsa_dx10_clamp 1
		.amdhsa_ieee_mode 1
		.amdhsa_fp16_overflow 0
		.amdhsa_tg_split 0
		.amdhsa_exception_fp_ieee_invalid_op 0
		.amdhsa_exception_fp_denorm_src 0
		.amdhsa_exception_fp_ieee_div_zero 0
		.amdhsa_exception_fp_ieee_overflow 0
		.amdhsa_exception_fp_ieee_underflow 0
		.amdhsa_exception_fp_ieee_inexact 0
		.amdhsa_exception_int_div_zero 0
	.end_amdhsa_kernel
	.section	.text._ZL28rocblas_dot_batched_4_kernelIlLi32ELi4ELb1EffPKPKfEviT5_lT_lS4_lS5_liPT4_,"axG",@progbits,_ZL28rocblas_dot_batched_4_kernelIlLi32ELi4ELb1EffPKPKfEviT5_lT_lS4_lS5_liPT4_,comdat
.Lfunc_end616:
	.size	_ZL28rocblas_dot_batched_4_kernelIlLi32ELi4ELb1EffPKPKfEviT5_lT_lS4_lS5_liPT4_, .Lfunc_end616-_ZL28rocblas_dot_batched_4_kernelIlLi32ELi4ELb1EffPKPKfEviT5_lT_lS4_lS5_liPT4_
                                        ; -- End function
	.section	.AMDGPU.csdata,"",@progbits
; Kernel info:
; codeLenInByte = 648
; NumSgprs: 24
; NumVgprs: 20
; NumAgprs: 0
; TotalNumVgprs: 20
; ScratchSize: 0
; MemoryBound: 0
; FloatMode: 240
; IeeeMode: 1
; LDSByteSize: 0 bytes/workgroup (compile time only)
; SGPRBlocks: 2
; VGPRBlocks: 2
; NumSGPRsForWavesPerEU: 24
; NumVGPRsForWavesPerEU: 20
; AccumOffset: 20
; Occupancy: 8
; WaveLimiterHint : 0
; COMPUTE_PGM_RSRC2:SCRATCH_EN: 0
; COMPUTE_PGM_RSRC2:USER_SGPR: 6
; COMPUTE_PGM_RSRC2:TRAP_HANDLER: 0
; COMPUTE_PGM_RSRC2:TGID_X_EN: 1
; COMPUTE_PGM_RSRC2:TGID_Y_EN: 0
; COMPUTE_PGM_RSRC2:TGID_Z_EN: 0
; COMPUTE_PGM_RSRC2:TIDIG_COMP_CNT: 1
; COMPUTE_PGM_RSRC3_GFX90A:ACCUM_OFFSET: 4
; COMPUTE_PGM_RSRC3_GFX90A:TG_SPLIT: 0
	.section	.text._ZL28rocblas_dot_batched_4_kernelIlLi64ELi4ELb1EffPKPKfEviT5_lT_lS4_lS5_liPT4_,"axG",@progbits,_ZL28rocblas_dot_batched_4_kernelIlLi64ELi4ELb1EffPKPKfEviT5_lT_lS4_lS5_liPT4_,comdat
	.globl	_ZL28rocblas_dot_batched_4_kernelIlLi64ELi4ELb1EffPKPKfEviT5_lT_lS4_lS5_liPT4_ ; -- Begin function _ZL28rocblas_dot_batched_4_kernelIlLi64ELi4ELb1EffPKPKfEviT5_lT_lS4_lS5_liPT4_
	.p2align	8
	.type	_ZL28rocblas_dot_batched_4_kernelIlLi64ELi4ELb1EffPKPKfEviT5_lT_lS4_lS5_liPT4_,@function
_ZL28rocblas_dot_batched_4_kernelIlLi64ELi4ELb1EffPKPKfEviT5_lT_lS4_lS5_liPT4_: ; @_ZL28rocblas_dot_batched_4_kernelIlLi64ELi4ELb1EffPKPKfEviT5_lT_lS4_lS5_liPT4_
; %bb.0:
	s_load_dword s0, s[4:5], 0x48
	v_bfe_u32 v1, v0, 10, 10
	v_lshl_add_u32 v2, s6, 2, v1
	s_waitcnt lgkmcnt(0)
	v_cmp_gt_u32_e32 vcc, s0, v2
	s_and_saveexec_b64 s[0:1], vcc
	s_cbranch_execz .LBB617_7
; %bb.1:
	s_load_dword s14, s[4:5], 0x0
	s_load_dwordx2 s[8:9], s[4:5], 0x50
	v_mov_b32_e32 v3, 0
	v_and_b32_e32 v6, 0x3ff, v0
	v_mov_b32_e32 v7, v3
	s_waitcnt lgkmcnt(0)
	v_cmp_gt_i32_e32 vcc, s14, v6
	s_and_saveexec_b64 s[10:11], vcc
	s_cbranch_execz .LBB617_5
; %bb.2:
	s_load_dwordx2 s[6:7], s[4:5], 0x8
	s_load_dwordx2 s[12:13], s[4:5], 0x28
	v_lshlrev_b64 v[0:1], 3, v[2:3]
	s_load_dwordx4 s[0:3], s[4:5], 0x10
	s_waitcnt lgkmcnt(0)
	v_mov_b32_e32 v5, s7
	v_add_co_u32_e32 v4, vcc, s6, v0
	v_addc_co_u32_e32 v5, vcc, v5, v1, vcc
	global_load_dwordx2 v[4:5], v[4:5], off
	v_mov_b32_e32 v7, s13
	v_add_co_u32_e32 v0, vcc, s12, v0
	v_addc_co_u32_e32 v1, vcc, v7, v1, vcc
	global_load_dwordx2 v[10:11], v[0:1], off
	s_load_dwordx4 s[4:7], s[4:5], 0x30
	v_mad_u64_u32 v[0:1], s[16:17], s2, v6, 0
	v_mov_b32_e32 v14, v1
	s_lshl_b64 s[16:17], s[0:1], 2
	s_lshl_b64 s[0:1], s[2:3], 8
	s_waitcnt lgkmcnt(0)
	v_mad_u64_u32 v[12:13], s[18:19], s6, v6, 0
	v_mad_u64_u32 v[14:15], s[2:3], s3, v6, v[14:15]
	v_mov_b32_e32 v16, v13
	v_mov_b32_e32 v1, v14
	v_mad_u64_u32 v[16:17], s[2:3], s7, v6, v[16:17]
	v_lshlrev_b64 v[0:1], 2, v[0:1]
	v_mov_b32_e32 v18, s17
	v_mov_b32_e32 v13, v16
	v_add_co_u32_e32 v0, vcc, s16, v0
	s_lshl_b64 s[18:19], s[4:5], 2
	v_lshlrev_b64 v[12:13], 2, v[12:13]
	v_addc_co_u32_e32 v1, vcc, v1, v18, vcc
	v_mov_b32_e32 v19, s19
	v_add_co_u32_e32 v12, vcc, s18, v12
	v_addc_co_u32_e32 v13, vcc, v13, v19, vcc
	s_lshl_b64 s[4:5], s[6:7], 8
	s_mov_b64 s[12:13], 0
	v_mov_b32_e32 v7, 0
	v_mov_b32_e32 v8, s1
	;; [unrolled: 1-line block ×3, first 2 shown]
	s_waitcnt vmcnt(1)
	v_add_co_u32_e32 v0, vcc, v4, v0
	v_addc_co_u32_e32 v1, vcc, v5, v1, vcc
	s_waitcnt vmcnt(0)
	v_add_co_u32_e32 v4, vcc, v10, v12
	v_addc_co_u32_e32 v5, vcc, v11, v13, vcc
	v_mov_b32_e32 v10, v6
.LBB617_3:                              ; =>This Inner Loop Header: Depth=1
	global_load_dword v11, v[0:1], off
	global_load_dword v12, v[4:5], off
	v_add_co_u32_e32 v0, vcc, s0, v0
	v_addc_co_u32_e32 v1, vcc, v1, v8, vcc
	v_add_co_u32_e32 v4, vcc, s4, v4
	v_add_u32_e32 v10, 64, v10
	v_addc_co_u32_e32 v5, vcc, v5, v9, vcc
	v_cmp_le_i32_e32 vcc, s14, v10
	s_or_b64 s[12:13], vcc, s[12:13]
	s_waitcnt vmcnt(0)
	v_fmac_f32_e32 v7, v11, v12
	s_andn2_b64 exec, exec, s[12:13]
	s_cbranch_execnz .LBB617_3
; %bb.4:
	s_or_b64 exec, exec, s[12:13]
.LBB617_5:
	s_or_b64 exec, exec, s[10:11]
	v_mbcnt_lo_u32_b32 v0, -1, 0
	v_mbcnt_hi_u32_b32 v0, -1, v0
	v_and_b32_e32 v1, 63, v0
	v_cmp_gt_u32_e32 vcc, 32, v1
	v_cndmask_b32_e64 v4, 0, 1, vcc
	v_lshlrev_b32_e32 v4, 5, v4
	v_add_lshl_u32 v4, v4, v0, 2
	ds_bpermute_b32 v4, v4, v7
	v_cmp_gt_u32_e32 vcc, 48, v1
	v_cndmask_b32_e64 v5, 0, 1, vcc
	v_lshlrev_b32_e32 v5, 4, v5
	v_add_lshl_u32 v5, v5, v0, 2
	s_waitcnt lgkmcnt(0)
	v_add_f32_e32 v4, v7, v4
	ds_bpermute_b32 v5, v5, v4
	v_cmp_gt_u32_e32 vcc, 56, v1
	v_cndmask_b32_e64 v7, 0, 1, vcc
	v_lshlrev_b32_e32 v7, 3, v7
	v_cmp_gt_u32_e32 vcc, 60, v1
	s_waitcnt lgkmcnt(0)
	v_add_f32_e32 v4, v4, v5
	v_add_lshl_u32 v5, v7, v0, 2
	ds_bpermute_b32 v5, v5, v4
	v_cndmask_b32_e64 v7, 0, 1, vcc
	v_lshlrev_b32_e32 v7, 2, v7
	v_cmp_gt_u32_e32 vcc, 62, v1
	s_waitcnt lgkmcnt(0)
	v_add_f32_e32 v4, v4, v5
	v_add_lshl_u32 v5, v7, v0, 2
	ds_bpermute_b32 v5, v5, v4
	v_cndmask_b32_e64 v7, 0, 1, vcc
	v_lshlrev_b32_e32 v7, 1, v7
	v_cmp_ne_u32_e32 vcc, 63, v1
	v_addc_co_u32_e32 v1, vcc, 0, v0, vcc
	s_waitcnt lgkmcnt(0)
	v_add_f32_e32 v4, v4, v5
	v_add_lshl_u32 v5, v7, v0, 2
	ds_bpermute_b32 v5, v5, v4
	v_lshlrev_b32_e32 v1, 2, v1
	v_cmp_eq_u32_e32 vcc, 0, v6
	s_barrier
	s_waitcnt lgkmcnt(0)
	v_add_f32_e32 v0, v4, v5
	ds_bpermute_b32 v1, v1, v0
	s_and_b64 exec, exec, vcc
	s_cbranch_execz .LBB617_7
; %bb.6:
	v_lshlrev_b64 v[2:3], 2, v[2:3]
	v_mov_b32_e32 v4, s9
	v_add_co_u32_e32 v2, vcc, s8, v2
	v_addc_co_u32_e32 v3, vcc, v4, v3, vcc
	s_waitcnt lgkmcnt(0)
	v_add_f32_e32 v0, v0, v1
	global_store_dword v[2:3], v0, off
.LBB617_7:
	s_endpgm
	.section	.rodata,"a",@progbits
	.p2align	6, 0x0
	.amdhsa_kernel _ZL28rocblas_dot_batched_4_kernelIlLi64ELi4ELb1EffPKPKfEviT5_lT_lS4_lS5_liPT4_
		.amdhsa_group_segment_fixed_size 0
		.amdhsa_private_segment_fixed_size 0
		.amdhsa_kernarg_size 88
		.amdhsa_user_sgpr_count 6
		.amdhsa_user_sgpr_private_segment_buffer 1
		.amdhsa_user_sgpr_dispatch_ptr 0
		.amdhsa_user_sgpr_queue_ptr 0
		.amdhsa_user_sgpr_kernarg_segment_ptr 1
		.amdhsa_user_sgpr_dispatch_id 0
		.amdhsa_user_sgpr_flat_scratch_init 0
		.amdhsa_user_sgpr_kernarg_preload_length 0
		.amdhsa_user_sgpr_kernarg_preload_offset 0
		.amdhsa_user_sgpr_private_segment_size 0
		.amdhsa_uses_dynamic_stack 0
		.amdhsa_system_sgpr_private_segment_wavefront_offset 0
		.amdhsa_system_sgpr_workgroup_id_x 1
		.amdhsa_system_sgpr_workgroup_id_y 0
		.amdhsa_system_sgpr_workgroup_id_z 0
		.amdhsa_system_sgpr_workgroup_info 0
		.amdhsa_system_vgpr_workitem_id 1
		.amdhsa_next_free_vgpr 20
		.amdhsa_next_free_sgpr 20
		.amdhsa_accum_offset 20
		.amdhsa_reserve_vcc 1
		.amdhsa_reserve_flat_scratch 0
		.amdhsa_float_round_mode_32 0
		.amdhsa_float_round_mode_16_64 0
		.amdhsa_float_denorm_mode_32 3
		.amdhsa_float_denorm_mode_16_64 3
		.amdhsa_dx10_clamp 1
		.amdhsa_ieee_mode 1
		.amdhsa_fp16_overflow 0
		.amdhsa_tg_split 0
		.amdhsa_exception_fp_ieee_invalid_op 0
		.amdhsa_exception_fp_denorm_src 0
		.amdhsa_exception_fp_ieee_div_zero 0
		.amdhsa_exception_fp_ieee_overflow 0
		.amdhsa_exception_fp_ieee_underflow 0
		.amdhsa_exception_fp_ieee_inexact 0
		.amdhsa_exception_int_div_zero 0
	.end_amdhsa_kernel
	.section	.text._ZL28rocblas_dot_batched_4_kernelIlLi64ELi4ELb1EffPKPKfEviT5_lT_lS4_lS5_liPT4_,"axG",@progbits,_ZL28rocblas_dot_batched_4_kernelIlLi64ELi4ELb1EffPKPKfEviT5_lT_lS4_lS5_liPT4_,comdat
.Lfunc_end617:
	.size	_ZL28rocblas_dot_batched_4_kernelIlLi64ELi4ELb1EffPKPKfEviT5_lT_lS4_lS5_liPT4_, .Lfunc_end617-_ZL28rocblas_dot_batched_4_kernelIlLi64ELi4ELb1EffPKPKfEviT5_lT_lS4_lS5_liPT4_
                                        ; -- End function
	.section	.AMDGPU.csdata,"",@progbits
; Kernel info:
; codeLenInByte = 688
; NumSgprs: 24
; NumVgprs: 20
; NumAgprs: 0
; TotalNumVgprs: 20
; ScratchSize: 0
; MemoryBound: 0
; FloatMode: 240
; IeeeMode: 1
; LDSByteSize: 0 bytes/workgroup (compile time only)
; SGPRBlocks: 2
; VGPRBlocks: 2
; NumSGPRsForWavesPerEU: 24
; NumVGPRsForWavesPerEU: 20
; AccumOffset: 20
; Occupancy: 8
; WaveLimiterHint : 0
; COMPUTE_PGM_RSRC2:SCRATCH_EN: 0
; COMPUTE_PGM_RSRC2:USER_SGPR: 6
; COMPUTE_PGM_RSRC2:TRAP_HANDLER: 0
; COMPUTE_PGM_RSRC2:TGID_X_EN: 1
; COMPUTE_PGM_RSRC2:TGID_Y_EN: 0
; COMPUTE_PGM_RSRC2:TGID_Z_EN: 0
; COMPUTE_PGM_RSRC2:TIDIG_COMP_CNT: 1
; COMPUTE_PGM_RSRC3_GFX90A:ACCUM_OFFSET: 4
; COMPUTE_PGM_RSRC3_GFX90A:TG_SPLIT: 0
	.section	.text._ZL18rocblas_dot_kernelIlLb1ELi1024ELi32ELb1EfPKPKffEviT5_lT_lS4_lS5_liPT6_PT4_,"axG",@progbits,_ZL18rocblas_dot_kernelIlLb1ELi1024ELi32ELb1EfPKPKffEviT5_lT_lS4_lS5_liPT6_PT4_,comdat
	.globl	_ZL18rocblas_dot_kernelIlLb1ELi1024ELi32ELb1EfPKPKffEviT5_lT_lS4_lS5_liPT6_PT4_ ; -- Begin function _ZL18rocblas_dot_kernelIlLb1ELi1024ELi32ELb1EfPKPKffEviT5_lT_lS4_lS5_liPT6_PT4_
	.p2align	8
	.type	_ZL18rocblas_dot_kernelIlLb1ELi1024ELi32ELb1EfPKPKffEviT5_lT_lS4_lS5_liPT6_PT4_,@function
_ZL18rocblas_dot_kernelIlLb1ELi1024ELi32ELb1EfPKPKffEviT5_lT_lS4_lS5_liPT6_PT4_: ; @_ZL18rocblas_dot_kernelIlLb1ELi1024ELi32ELb1EfPKPKffEviT5_lT_lS4_lS5_liPT6_PT4_
; %bb.0:
	s_load_dword s16, s[4:5], 0x0
	s_load_dwordx2 s[12:13], s[4:5], 0x58
	s_mov_b32 s6, s7
	s_mov_b32 s7, 0
	v_mov_b32_e32 v6, 0
	s_waitcnt lgkmcnt(0)
	v_cmp_gt_i32_e32 vcc, s16, v0
	s_and_saveexec_b64 s[14:15], vcc
	s_cbranch_execz .LBB618_4
; %bb.1:
	s_load_dwordx2 s[18:19], s[4:5], 0x8
	s_load_dwordx4 s[8:11], s[4:5], 0x10
	s_load_dwordx2 s[20:21], s[4:5], 0x28
	s_load_dwordx4 s[0:3], s[4:5], 0x30
	s_lshl_b64 s[22:23], s[6:7], 3
	s_waitcnt lgkmcnt(0)
	s_add_u32 s18, s18, s22
	s_addc_u32 s19, s19, s23
	s_load_dword s17, s[4:5], 0x60
	s_load_dwordx2 s[24:25], s[18:19], 0x0
	s_add_u32 s4, s20, s22
	s_addc_u32 s5, s21, s23
	s_load_dwordx2 s[18:19], s[4:5], 0x0
	v_mad_u64_u32 v[2:3], s[4:5], s10, v0, 0
	v_mov_b32_e32 v4, v3
	v_mad_u64_u32 v[4:5], s[4:5], s11, v0, v[4:5]
	s_waitcnt lgkmcnt(0)
	s_lshl_b32 s17, s17, 10
	s_lshl_b64 s[4:5], s[8:9], 2
	v_mov_b32_e32 v3, v4
	s_add_u32 s4, s24, s4
	v_lshlrev_b64 v[2:3], 2, v[2:3]
	s_addc_u32 s5, s25, s5
	s_ashr_i32 s20, s17, 31
	v_mov_b32_e32 v4, s5
	v_add_co_u32_e32 v2, vcc, s4, v2
	s_mul_i32 s4, s10, s20
	s_mul_hi_u32 s5, s10, s17
	v_addc_co_u32_e32 v3, vcc, v4, v3, vcc
	s_add_i32 s4, s5, s4
	s_mul_i32 s5, s11, s17
	v_mad_u64_u32 v[4:5], s[8:9], s2, v0, 0
	s_add_i32 s5, s4, s5
	s_mul_i32 s4, s10, s17
	v_mov_b32_e32 v6, v5
	s_lshl_b64 s[4:5], s[4:5], 2
	v_mad_u64_u32 v[6:7], s[8:9], s3, v0, v[6:7]
	s_lshl_b64 s[0:1], s[0:1], 2
	v_mov_b32_e32 v5, v6
	s_add_u32 s0, s18, s0
	v_lshlrev_b64 v[4:5], 2, v[4:5]
	s_addc_u32 s1, s19, s1
	v_mov_b32_e32 v6, s1
	v_add_co_u32_e32 v4, vcc, s0, v4
	s_mul_i32 s0, s2, s20
	s_mul_hi_u32 s1, s2, s17
	s_add_i32 s0, s1, s0
	s_mul_i32 s1, s3, s17
	s_add_i32 s1, s0, s1
	s_mul_i32 s0, s2, s17
	s_lshl_b64 s[8:9], s[0:1], 2
	v_or_b32_e32 v1, s17, v0
	v_addc_co_u32_e32 v5, vcc, v6, v5, vcc
	s_mov_b64 s[2:3], 0
	v_mov_b32_e32 v6, 0
	v_mov_b32_e32 v7, s5
	;; [unrolled: 1-line block ×3, first 2 shown]
	s_mov_b32 s5, s7
.LBB618_2:                              ; =>This Inner Loop Header: Depth=1
	global_load_dword v9, v[4:5], off
	global_load_dword v10, v[2:3], off
	v_add_co_u32_e64 v2, s[0:1], s4, v2
	v_addc_co_u32_e64 v3, s[0:1], v3, v7, s[0:1]
	s_add_i32 s9, s5, 1
	v_add_co_u32_e64 v4, s[0:1], s8, v4
	v_addc_co_u32_e64 v5, s[0:1], v5, v8, s[0:1]
	s_cmp_gt_u32 s5, 30
	v_cmp_le_i32_e32 vcc, s16, v1
	s_cselect_b64 s[0:1], -1, 0
	s_or_b64 s[0:1], s[0:1], vcc
	s_and_b64 s[0:1], exec, s[0:1]
	v_add_u32_e32 v1, s17, v1
	s_mov_b32 s5, s9
	s_or_b64 s[2:3], s[0:1], s[2:3]
	s_waitcnt vmcnt(0)
	v_fmac_f32_e32 v6, v9, v10
	s_andn2_b64 exec, exec, s[2:3]
	s_cbranch_execnz .LBB618_2
; %bb.3:
	s_or_b64 exec, exec, s[2:3]
.LBB618_4:
	s_or_b64 exec, exec, s[14:15]
	v_and_b32_e32 v2, 63, v0
	v_cmp_gt_u32_e32 vcc, 64, v0
	v_lshlrev_b32_e32 v1, 2, v2
	s_and_saveexec_b64 s[0:1], vcc
	s_cbranch_execz .LBB618_6
; %bb.5:
	v_mov_b32_e32 v3, 0
	ds_write_b32 v1, v3
.LBB618_6:
	s_or_b64 exec, exec, s[0:1]
	v_mbcnt_lo_u32_b32 v3, -1, 0
	v_mbcnt_hi_u32_b32 v7, -1, v3
	v_and_b32_e32 v8, 63, v7
	v_cmp_gt_u32_e64 s[0:1], 32, v8
	v_cndmask_b32_e64 v3, 0, 1, s[0:1]
	v_lshlrev_b32_e32 v3, 5, v3
	v_add_lshl_u32 v3, v3, v7, 2
	ds_bpermute_b32 v3, v3, v6
	v_cmp_gt_u32_e64 s[0:1], 48, v8
	v_cndmask_b32_e64 v4, 0, 1, s[0:1]
	v_lshlrev_b32_e32 v4, 4, v4
	v_add_lshl_u32 v4, v4, v7, 2
	s_waitcnt lgkmcnt(0)
	v_add_f32_e32 v3, v6, v3
	ds_bpermute_b32 v4, v4, v3
	v_cmp_gt_u32_e64 s[0:1], 56, v8
	v_cndmask_b32_e64 v5, 0, 1, s[0:1]
	v_lshlrev_b32_e32 v5, 3, v5
	v_cmp_gt_u32_e64 s[0:1], 60, v8
	s_waitcnt lgkmcnt(0)
	v_add_f32_e32 v4, v3, v4
	v_add_lshl_u32 v3, v5, v7, 2
	ds_bpermute_b32 v5, v3, v4
	v_cndmask_b32_e64 v6, 0, 1, s[0:1]
	v_lshlrev_b32_e32 v6, 2, v6
	v_cmp_gt_u32_e64 s[0:1], 62, v8
	v_cndmask_b32_e64 v9, 0, 1, s[0:1]
	s_waitcnt lgkmcnt(0)
	v_add_f32_e32 v5, v4, v5
	v_add_lshl_u32 v4, v6, v7, 2
	ds_bpermute_b32 v6, v4, v5
	v_lshlrev_b32_e32 v9, 1, v9
	v_cmp_ne_u32_e64 s[0:1], 63, v8
	v_addc_co_u32_e64 v8, s[0:1], 0, v7, s[0:1]
	s_waitcnt lgkmcnt(0)
	v_add_f32_e32 v6, v5, v6
	v_add_lshl_u32 v5, v9, v7, 2
	ds_bpermute_b32 v9, v5, v6
	v_cmp_eq_u32_e64 s[0:1], 0, v2
	s_waitcnt lgkmcnt(0)
	s_barrier
	v_add_f32_e32 v7, v6, v9
	v_lshlrev_b32_e32 v6, 2, v8
	ds_bpermute_b32 v8, v6, v7
	s_and_saveexec_b64 s[2:3], s[0:1]
	s_cbranch_execz .LBB618_8
; %bb.7:
	s_waitcnt lgkmcnt(0)
	v_add_f32_e32 v2, v7, v8
	v_lshrrev_b32_e32 v7, 4, v0
	v_and_b32_e32 v7, 60, v7
	ds_write_b32 v7, v2
.LBB618_8:
	s_or_b64 exec, exec, s[2:3]
	v_cmp_gt_u32_e64 s[0:1], 16, v0
	v_mov_b32_e32 v2, 0
	s_waitcnt lgkmcnt(0)
	s_barrier
	s_and_saveexec_b64 s[2:3], s[0:1]
	s_cbranch_execnz .LBB618_12
; %bb.9:
	s_or_b64 exec, exec, s[2:3]
	s_and_saveexec_b64 s[0:1], vcc
	s_cbranch_execnz .LBB618_13
.LBB618_10:
	s_or_b64 exec, exec, s[0:1]
	v_cmp_eq_u32_e32 vcc, 0, v0
	s_and_saveexec_b64 s[0:1], vcc
	s_cbranch_execnz .LBB618_14
.LBB618_11:
	s_endpgm
.LBB618_12:
	ds_read_b32 v2, v1
	s_or_b64 exec, exec, s[2:3]
	s_and_saveexec_b64 s[0:1], vcc
	s_cbranch_execz .LBB618_10
.LBB618_13:
	s_waitcnt lgkmcnt(0)
	ds_bpermute_b32 v1, v3, v2
	s_waitcnt lgkmcnt(0)
	v_add_f32_e32 v1, v2, v1
	ds_bpermute_b32 v2, v4, v1
	s_waitcnt lgkmcnt(0)
	v_add_f32_e32 v1, v1, v2
	;; [unrolled: 3-line block ×4, first 2 shown]
	s_or_b64 exec, exec, s[0:1]
	v_cmp_eq_u32_e32 vcc, 0, v0
	s_and_saveexec_b64 s[0:1], vcc
	s_cbranch_execz .LBB618_11
.LBB618_14:
	s_lshl_b64 s[0:1], s[6:7], 2
	s_add_u32 s0, s12, s0
	s_addc_u32 s1, s13, s1
	v_mov_b32_e32 v0, 0
	s_waitcnt lgkmcnt(0)
	global_store_dword v0, v2, s[0:1]
	s_endpgm
	.section	.rodata,"a",@progbits
	.p2align	6, 0x0
	.amdhsa_kernel _ZL18rocblas_dot_kernelIlLb1ELi1024ELi32ELb1EfPKPKffEviT5_lT_lS4_lS5_liPT6_PT4_
		.amdhsa_group_segment_fixed_size 256
		.amdhsa_private_segment_fixed_size 0
		.amdhsa_kernarg_size 352
		.amdhsa_user_sgpr_count 6
		.amdhsa_user_sgpr_private_segment_buffer 1
		.amdhsa_user_sgpr_dispatch_ptr 0
		.amdhsa_user_sgpr_queue_ptr 0
		.amdhsa_user_sgpr_kernarg_segment_ptr 1
		.amdhsa_user_sgpr_dispatch_id 0
		.amdhsa_user_sgpr_flat_scratch_init 0
		.amdhsa_user_sgpr_kernarg_preload_length 0
		.amdhsa_user_sgpr_kernarg_preload_offset 0
		.amdhsa_user_sgpr_private_segment_size 0
		.amdhsa_uses_dynamic_stack 0
		.amdhsa_system_sgpr_private_segment_wavefront_offset 0
		.amdhsa_system_sgpr_workgroup_id_x 1
		.amdhsa_system_sgpr_workgroup_id_y 0
		.amdhsa_system_sgpr_workgroup_id_z 1
		.amdhsa_system_sgpr_workgroup_info 0
		.amdhsa_system_vgpr_workitem_id 0
		.amdhsa_next_free_vgpr 11
		.amdhsa_next_free_sgpr 26
		.amdhsa_accum_offset 12
		.amdhsa_reserve_vcc 1
		.amdhsa_reserve_flat_scratch 0
		.amdhsa_float_round_mode_32 0
		.amdhsa_float_round_mode_16_64 0
		.amdhsa_float_denorm_mode_32 3
		.amdhsa_float_denorm_mode_16_64 3
		.amdhsa_dx10_clamp 1
		.amdhsa_ieee_mode 1
		.amdhsa_fp16_overflow 0
		.amdhsa_tg_split 0
		.amdhsa_exception_fp_ieee_invalid_op 0
		.amdhsa_exception_fp_denorm_src 0
		.amdhsa_exception_fp_ieee_div_zero 0
		.amdhsa_exception_fp_ieee_overflow 0
		.amdhsa_exception_fp_ieee_underflow 0
		.amdhsa_exception_fp_ieee_inexact 0
		.amdhsa_exception_int_div_zero 0
	.end_amdhsa_kernel
	.section	.text._ZL18rocblas_dot_kernelIlLb1ELi1024ELi32ELb1EfPKPKffEviT5_lT_lS4_lS5_liPT6_PT4_,"axG",@progbits,_ZL18rocblas_dot_kernelIlLb1ELi1024ELi32ELb1EfPKPKffEviT5_lT_lS4_lS5_liPT6_PT4_,comdat
.Lfunc_end618:
	.size	_ZL18rocblas_dot_kernelIlLb1ELi1024ELi32ELb1EfPKPKffEviT5_lT_lS4_lS5_liPT6_PT4_, .Lfunc_end618-_ZL18rocblas_dot_kernelIlLb1ELi1024ELi32ELb1EfPKPKffEviT5_lT_lS4_lS5_liPT6_PT4_
                                        ; -- End function
	.section	.AMDGPU.csdata,"",@progbits
; Kernel info:
; codeLenInByte = 984
; NumSgprs: 30
; NumVgprs: 11
; NumAgprs: 0
; TotalNumVgprs: 11
; ScratchSize: 0
; MemoryBound: 0
; FloatMode: 240
; IeeeMode: 1
; LDSByteSize: 256 bytes/workgroup (compile time only)
; SGPRBlocks: 3
; VGPRBlocks: 1
; NumSGPRsForWavesPerEU: 30
; NumVGPRsForWavesPerEU: 11
; AccumOffset: 12
; Occupancy: 8
; WaveLimiterHint : 0
; COMPUTE_PGM_RSRC2:SCRATCH_EN: 0
; COMPUTE_PGM_RSRC2:USER_SGPR: 6
; COMPUTE_PGM_RSRC2:TRAP_HANDLER: 0
; COMPUTE_PGM_RSRC2:TGID_X_EN: 1
; COMPUTE_PGM_RSRC2:TGID_Y_EN: 0
; COMPUTE_PGM_RSRC2:TGID_Z_EN: 1
; COMPUTE_PGM_RSRC2:TIDIG_COMP_CNT: 0
; COMPUTE_PGM_RSRC3_GFX90A:ACCUM_OFFSET: 2
; COMPUTE_PGM_RSRC3_GFX90A:TG_SPLIT: 0
	.section	.text._ZL24rocblas_dot_kernel_magsqIlLb1ELi1024ELi32ELb1EfPKPKffEviT5_lT_liPT6_PT4_,"axG",@progbits,_ZL24rocblas_dot_kernel_magsqIlLb1ELi1024ELi32ELb1EfPKPKffEviT5_lT_liPT6_PT4_,comdat
	.globl	_ZL24rocblas_dot_kernel_magsqIlLb1ELi1024ELi32ELb1EfPKPKffEviT5_lT_liPT6_PT4_ ; -- Begin function _ZL24rocblas_dot_kernel_magsqIlLb1ELi1024ELi32ELb1EfPKPKffEviT5_lT_liPT6_PT4_
	.p2align	8
	.type	_ZL24rocblas_dot_kernel_magsqIlLb1ELi1024ELi32ELb1EfPKPKffEviT5_lT_liPT6_PT4_,@function
_ZL24rocblas_dot_kernel_magsqIlLb1ELi1024ELi32ELb1EfPKPKffEviT5_lT_liPT6_PT4_: ; @_ZL24rocblas_dot_kernel_magsqIlLb1ELi1024ELi32ELb1EfPKPKffEviT5_lT_liPT6_PT4_
; %bb.0:
	s_mov_b32 s2, s7
	s_load_dword s12, s[4:5], 0x0
	s_load_dwordx2 s[6:7], s[4:5], 0x38
	s_mov_b32 s3, 0
	v_mov_b32_e32 v1, 0
	s_waitcnt lgkmcnt(0)
	v_cmp_gt_i32_e32 vcc, s12, v0
	s_and_saveexec_b64 s[8:9], vcc
	s_cbranch_execz .LBB619_4
; %bb.1:
	s_load_dwordx2 s[0:1], s[4:5], 0x8
	s_load_dword s10, s[4:5], 0x40
	s_load_dwordx4 s[16:19], s[4:5], 0x10
	s_lshl_b64 s[4:5], s[2:3], 3
	s_waitcnt lgkmcnt(0)
	s_add_u32 s0, s0, s4
	s_addc_u32 s1, s1, s5
	s_load_dwordx2 s[0:1], s[0:1], 0x0
	v_mad_u64_u32 v[2:3], s[4:5], s18, v0, 0
	v_mov_b32_e32 v6, v3
	v_mad_u64_u32 v[6:7], s[4:5], s19, v0, v[6:7]
	s_lshl_b32 s13, s10, 10
	v_mov_b32_e32 v3, v6
	s_lshl_b64 s[4:5], s[16:17], 2
	v_lshlrev_b64 v[2:3], 2, v[2:3]
	s_waitcnt lgkmcnt(0)
	s_add_u32 s0, s0, s4
	s_addc_u32 s1, s1, s5
	v_add_co_u32_e32 v2, vcc, s0, v2
	s_ashr_i32 s0, s13, 31
	v_mov_b32_e32 v1, s1
	s_mul_i32 s0, s18, s0
	s_mul_hi_u32 s1, s18, s13
	s_add_i32 s0, s1, s0
	s_mul_i32 s1, s19, s13
	s_add_i32 s1, s0, s1
	s_mul_i32 s0, s18, s13
	s_lshl_b64 s[10:11], s[0:1], 2
	v_or_b32_e32 v4, s13, v0
	v_addc_co_u32_e32 v3, vcc, v1, v3, vcc
	s_mov_b64 s[4:5], 0
	v_mov_b32_e32 v1, 0
	v_mov_b32_e32 v5, s11
	s_mov_b32 s11, s3
.LBB619_2:                              ; =>This Inner Loop Header: Depth=1
	global_load_dword v6, v[2:3], off
	s_add_i32 s14, s11, 1
	v_add_co_u32_e64 v2, s[0:1], s10, v2
	v_addc_co_u32_e64 v3, s[0:1], v3, v5, s[0:1]
	s_cmp_gt_u32 s11, 30
	v_cmp_le_i32_e32 vcc, s12, v4
	s_cselect_b64 s[0:1], -1, 0
	s_or_b64 s[0:1], s[0:1], vcc
	s_and_b64 s[0:1], exec, s[0:1]
	v_add_u32_e32 v4, s13, v4
	s_mov_b32 s11, s14
	s_or_b64 s[4:5], s[0:1], s[4:5]
	s_waitcnt vmcnt(0)
	v_fmac_f32_e32 v1, v6, v6
	s_andn2_b64 exec, exec, s[4:5]
	s_cbranch_execnz .LBB619_2
; %bb.3:
	s_or_b64 exec, exec, s[4:5]
.LBB619_4:
	s_or_b64 exec, exec, s[8:9]
	v_and_b32_e32 v3, 63, v0
	v_cmp_gt_u32_e32 vcc, 64, v0
	v_lshlrev_b32_e32 v2, 2, v3
	s_and_saveexec_b64 s[0:1], vcc
	s_cbranch_execz .LBB619_6
; %bb.5:
	v_mov_b32_e32 v4, 0
	ds_write_b32 v2, v4
.LBB619_6:
	s_or_b64 exec, exec, s[0:1]
	v_mbcnt_lo_u32_b32 v4, -1, 0
	v_mbcnt_hi_u32_b32 v6, -1, v4
	v_and_b32_e32 v7, 63, v6
	v_cmp_gt_u32_e64 s[0:1], 32, v7
	v_cndmask_b32_e64 v4, 0, 1, s[0:1]
	v_lshlrev_b32_e32 v4, 5, v4
	v_add_lshl_u32 v4, v4, v6, 2
	ds_bpermute_b32 v4, v4, v1
	v_cmp_gt_u32_e64 s[0:1], 48, v7
	v_cndmask_b32_e64 v5, 0, 1, s[0:1]
	v_lshlrev_b32_e32 v5, 4, v5
	v_cmp_gt_u32_e64 s[0:1], 56, v7
	s_waitcnt lgkmcnt(0)
	v_add_f32_e32 v1, v1, v4
	v_add_lshl_u32 v4, v5, v6, 2
	ds_bpermute_b32 v4, v4, v1
	v_cndmask_b32_e64 v5, 0, 1, s[0:1]
	v_lshlrev_b32_e32 v5, 3, v5
	v_cmp_gt_u32_e64 s[0:1], 60, v7
	v_cndmask_b32_e64 v8, 0, 1, s[0:1]
	s_waitcnt lgkmcnt(0)
	v_add_f32_e32 v4, v1, v4
	v_add_lshl_u32 v1, v5, v6, 2
	ds_bpermute_b32 v5, v1, v4
	v_lshlrev_b32_e32 v8, 2, v8
	v_cmp_gt_u32_e64 s[0:1], 62, v7
	v_cndmask_b32_e64 v9, 0, 1, s[0:1]
	v_lshlrev_b32_e32 v9, 1, v9
	s_waitcnt lgkmcnt(0)
	v_add_f32_e32 v5, v4, v5
	v_add_lshl_u32 v4, v8, v6, 2
	ds_bpermute_b32 v8, v4, v5
	v_cmp_ne_u32_e64 s[0:1], 63, v7
	s_waitcnt lgkmcnt(0)
	s_barrier
	v_add_f32_e32 v8, v5, v8
	v_add_lshl_u32 v5, v9, v6, 2
	ds_bpermute_b32 v9, v5, v8
	v_addc_co_u32_e64 v6, s[0:1], 0, v6, s[0:1]
	v_lshlrev_b32_e32 v6, 2, v6
	v_cmp_eq_u32_e64 s[0:1], 0, v3
	s_waitcnt lgkmcnt(0)
	v_add_f32_e32 v7, v8, v9
	ds_bpermute_b32 v8, v6, v7
	s_and_saveexec_b64 s[4:5], s[0:1]
	s_cbranch_execz .LBB619_8
; %bb.7:
	s_waitcnt lgkmcnt(0)
	v_add_f32_e32 v3, v7, v8
	v_lshrrev_b32_e32 v7, 4, v0
	v_and_b32_e32 v7, 60, v7
	ds_write_b32 v7, v3
.LBB619_8:
	s_or_b64 exec, exec, s[4:5]
	v_cmp_gt_u32_e64 s[0:1], 16, v0
	v_mov_b32_e32 v3, 0
	s_waitcnt lgkmcnt(0)
	s_barrier
	s_and_saveexec_b64 s[4:5], s[0:1]
	s_cbranch_execnz .LBB619_12
; %bb.9:
	s_or_b64 exec, exec, s[4:5]
	s_and_saveexec_b64 s[0:1], vcc
	s_cbranch_execnz .LBB619_13
.LBB619_10:
	s_or_b64 exec, exec, s[0:1]
	v_cmp_eq_u32_e32 vcc, 0, v0
	s_and_saveexec_b64 s[0:1], vcc
	s_cbranch_execnz .LBB619_14
.LBB619_11:
	s_endpgm
.LBB619_12:
	ds_read_b32 v3, v2
	s_or_b64 exec, exec, s[4:5]
	s_and_saveexec_b64 s[0:1], vcc
	s_cbranch_execz .LBB619_10
.LBB619_13:
	s_waitcnt lgkmcnt(0)
	ds_bpermute_b32 v1, v1, v3
	s_waitcnt lgkmcnt(0)
	v_add_f32_e32 v1, v3, v1
	ds_bpermute_b32 v2, v4, v1
	s_waitcnt lgkmcnt(0)
	v_add_f32_e32 v1, v1, v2
	;; [unrolled: 3-line block ×4, first 2 shown]
	s_or_b64 exec, exec, s[0:1]
	v_cmp_eq_u32_e32 vcc, 0, v0
	s_and_saveexec_b64 s[0:1], vcc
	s_cbranch_execz .LBB619_11
.LBB619_14:
	s_lshl_b64 s[0:1], s[2:3], 2
	s_add_u32 s0, s6, s0
	s_addc_u32 s1, s7, s1
	v_mov_b32_e32 v0, 0
	s_waitcnt lgkmcnt(0)
	global_store_dword v0, v3, s[0:1]
	s_endpgm
	.section	.rodata,"a",@progbits
	.p2align	6, 0x0
	.amdhsa_kernel _ZL24rocblas_dot_kernel_magsqIlLb1ELi1024ELi32ELb1EfPKPKffEviT5_lT_liPT6_PT4_
		.amdhsa_group_segment_fixed_size 256
		.amdhsa_private_segment_fixed_size 0
		.amdhsa_kernarg_size 320
		.amdhsa_user_sgpr_count 6
		.amdhsa_user_sgpr_private_segment_buffer 1
		.amdhsa_user_sgpr_dispatch_ptr 0
		.amdhsa_user_sgpr_queue_ptr 0
		.amdhsa_user_sgpr_kernarg_segment_ptr 1
		.amdhsa_user_sgpr_dispatch_id 0
		.amdhsa_user_sgpr_flat_scratch_init 0
		.amdhsa_user_sgpr_kernarg_preload_length 0
		.amdhsa_user_sgpr_kernarg_preload_offset 0
		.amdhsa_user_sgpr_private_segment_size 0
		.amdhsa_uses_dynamic_stack 0
		.amdhsa_system_sgpr_private_segment_wavefront_offset 0
		.amdhsa_system_sgpr_workgroup_id_x 1
		.amdhsa_system_sgpr_workgroup_id_y 0
		.amdhsa_system_sgpr_workgroup_id_z 1
		.amdhsa_system_sgpr_workgroup_info 0
		.amdhsa_system_vgpr_workitem_id 0
		.amdhsa_next_free_vgpr 10
		.amdhsa_next_free_sgpr 20
		.amdhsa_accum_offset 12
		.amdhsa_reserve_vcc 1
		.amdhsa_reserve_flat_scratch 0
		.amdhsa_float_round_mode_32 0
		.amdhsa_float_round_mode_16_64 0
		.amdhsa_float_denorm_mode_32 3
		.amdhsa_float_denorm_mode_16_64 3
		.amdhsa_dx10_clamp 1
		.amdhsa_ieee_mode 1
		.amdhsa_fp16_overflow 0
		.amdhsa_tg_split 0
		.amdhsa_exception_fp_ieee_invalid_op 0
		.amdhsa_exception_fp_denorm_src 0
		.amdhsa_exception_fp_ieee_div_zero 0
		.amdhsa_exception_fp_ieee_overflow 0
		.amdhsa_exception_fp_ieee_underflow 0
		.amdhsa_exception_fp_ieee_inexact 0
		.amdhsa_exception_int_div_zero 0
	.end_amdhsa_kernel
	.section	.text._ZL24rocblas_dot_kernel_magsqIlLb1ELi1024ELi32ELb1EfPKPKffEviT5_lT_liPT6_PT4_,"axG",@progbits,_ZL24rocblas_dot_kernel_magsqIlLb1ELi1024ELi32ELb1EfPKPKffEviT5_lT_liPT6_PT4_,comdat
.Lfunc_end619:
	.size	_ZL24rocblas_dot_kernel_magsqIlLb1ELi1024ELi32ELb1EfPKPKffEviT5_lT_liPT6_PT4_, .Lfunc_end619-_ZL24rocblas_dot_kernel_magsqIlLb1ELi1024ELi32ELb1EfPKPKffEviT5_lT_liPT6_PT4_
                                        ; -- End function
	.section	.AMDGPU.csdata,"",@progbits
; Kernel info:
; codeLenInByte = 840
; NumSgprs: 24
; NumVgprs: 10
; NumAgprs: 0
; TotalNumVgprs: 10
; ScratchSize: 0
; MemoryBound: 0
; FloatMode: 240
; IeeeMode: 1
; LDSByteSize: 256 bytes/workgroup (compile time only)
; SGPRBlocks: 2
; VGPRBlocks: 1
; NumSGPRsForWavesPerEU: 24
; NumVGPRsForWavesPerEU: 10
; AccumOffset: 12
; Occupancy: 8
; WaveLimiterHint : 0
; COMPUTE_PGM_RSRC2:SCRATCH_EN: 0
; COMPUTE_PGM_RSRC2:USER_SGPR: 6
; COMPUTE_PGM_RSRC2:TRAP_HANDLER: 0
; COMPUTE_PGM_RSRC2:TGID_X_EN: 1
; COMPUTE_PGM_RSRC2:TGID_Y_EN: 0
; COMPUTE_PGM_RSRC2:TGID_Z_EN: 1
; COMPUTE_PGM_RSRC2:TIDIG_COMP_CNT: 0
; COMPUTE_PGM_RSRC3_GFX90A:ACCUM_OFFSET: 2
; COMPUTE_PGM_RSRC3_GFX90A:TG_SPLIT: 0
	.section	.text._ZL18rocblas_dot_kernelIlLb0ELi512ELi4ELb1EfPKPKffEviT5_lT_lS4_lS5_liPT6_PT4_,"axG",@progbits,_ZL18rocblas_dot_kernelIlLb0ELi512ELi4ELb1EfPKPKffEviT5_lT_lS4_lS5_liPT6_PT4_,comdat
	.globl	_ZL18rocblas_dot_kernelIlLb0ELi512ELi4ELb1EfPKPKffEviT5_lT_lS4_lS5_liPT6_PT4_ ; -- Begin function _ZL18rocblas_dot_kernelIlLb0ELi512ELi4ELb1EfPKPKffEviT5_lT_lS4_lS5_liPT6_PT4_
	.p2align	8
	.type	_ZL18rocblas_dot_kernelIlLb0ELi512ELi4ELb1EfPKPKffEviT5_lT_lS4_lS5_liPT6_PT4_,@function
_ZL18rocblas_dot_kernelIlLb0ELi512ELi4ELb1EfPKPKffEviT5_lT_lS4_lS5_liPT6_PT4_: ; @_ZL18rocblas_dot_kernelIlLb0ELi512ELi4ELb1EfPKPKffEviT5_lT_lS4_lS5_liPT6_PT4_
; %bb.0:
	s_mov_b32 s16, s7
	s_load_dword s20, s[4:5], 0x60
	s_load_dword s7, s[4:5], 0x0
	s_load_dwordx4 s[8:11], s[4:5], 0x50
	v_lshl_or_b32 v4, s6, 9, v0
	s_mov_b32 s17, 0
	v_mov_b32_e32 v6, 0
	s_waitcnt lgkmcnt(0)
	v_cmp_gt_i32_e32 vcc, s7, v4
	s_and_saveexec_b64 s[18:19], vcc
	s_cbranch_execz .LBB620_4
; %bb.1:
	s_load_dwordx2 s[22:23], s[4:5], 0x8
	s_load_dwordx4 s[12:15], s[4:5], 0x10
	s_load_dwordx2 s[24:25], s[4:5], 0x28
	s_load_dwordx4 s[0:3], s[4:5], 0x30
	s_lshl_b64 s[4:5], s[16:17], 3
	s_waitcnt lgkmcnt(0)
	s_add_u32 s22, s22, s4
	s_addc_u32 s23, s23, s5
	s_load_dwordx2 s[22:23], s[22:23], 0x0
	s_add_u32 s4, s24, s4
	s_addc_u32 s5, s25, s5
	s_load_dwordx2 s[24:25], s[4:5], 0x0
	v_ashrrev_i32_e32 v5, 31, v4
	v_mad_u64_u32 v[2:3], s[4:5], s14, v4, 0
	s_lshl_b32 s21, s20, 9
	v_mul_lo_u32 v6, s15, v4
	v_mul_lo_u32 v7, s14, v5
	s_lshl_b64 s[4:5], s[12:13], 2
	v_add3_u32 v3, v3, v7, v6
	s_waitcnt lgkmcnt(0)
	s_add_u32 s4, s22, s4
	v_lshlrev_b64 v[2:3], 2, v[2:3]
	s_addc_u32 s5, s23, s5
	s_ashr_i32 s22, s21, 31
	v_mov_b32_e32 v6, s5
	v_add_co_u32_e32 v2, vcc, s4, v2
	s_mul_i32 s4, s14, s22
	s_mul_hi_u32 s5, s14, s21
	s_add_i32 s4, s5, s4
	s_mul_i32 s5, s15, s21
	s_add_i32 s5, s4, s5
	s_mul_i32 s4, s14, s21
	v_add_u32_e32 v1, s21, v4
	v_addc_co_u32_e32 v3, vcc, v6, v3, vcc
	s_lshl_b64 s[4:5], s[4:5], 2
	v_mul_lo_u32 v6, s3, v4
	v_mul_lo_u32 v7, s2, v5
	v_mad_u64_u32 v[4:5], s[12:13], s2, v4, 0
	s_lshl_b64 s[0:1], s[0:1], 2
	v_add3_u32 v5, v5, v7, v6
	s_add_u32 s0, s24, s0
	v_lshlrev_b64 v[4:5], 2, v[4:5]
	s_addc_u32 s1, s25, s1
	v_mov_b32_e32 v6, s1
	v_add_co_u32_e32 v4, vcc, s0, v4
	s_mul_i32 s0, s2, s22
	s_mul_hi_u32 s1, s2, s21
	s_add_i32 s0, s1, s0
	s_mul_i32 s1, s3, s21
	s_add_i32 s1, s0, s1
	s_mul_i32 s0, s2, s21
	s_lshl_b64 s[12:13], s[0:1], 2
	v_addc_co_u32_e32 v5, vcc, v6, v5, vcc
	s_mov_b64 s[2:3], 0
	v_mov_b32_e32 v6, 0
	v_mov_b32_e32 v7, s5
	;; [unrolled: 1-line block ×3, first 2 shown]
	s_mov_b32 s5, s17
.LBB620_2:                              ; =>This Inner Loop Header: Depth=1
	global_load_dword v9, v[4:5], off
	global_load_dword v10, v[2:3], off
	v_add_co_u32_e64 v2, s[0:1], s4, v2
	v_addc_co_u32_e64 v3, s[0:1], v3, v7, s[0:1]
	s_add_i32 s13, s5, 1
	v_add_co_u32_e64 v4, s[0:1], s12, v4
	v_addc_co_u32_e64 v5, s[0:1], v5, v8, s[0:1]
	s_cmp_gt_u32 s5, 2
	v_cmp_le_i32_e32 vcc, s7, v1
	s_cselect_b64 s[0:1], -1, 0
	s_or_b64 s[0:1], s[0:1], vcc
	s_and_b64 s[0:1], exec, s[0:1]
	v_add_u32_e32 v1, s21, v1
	s_mov_b32 s5, s13
	s_or_b64 s[2:3], s[0:1], s[2:3]
	s_waitcnt vmcnt(0)
	v_fmac_f32_e32 v6, v9, v10
	s_andn2_b64 exec, exec, s[2:3]
	s_cbranch_execnz .LBB620_2
; %bb.3:
	s_or_b64 exec, exec, s[2:3]
.LBB620_4:
	s_or_b64 exec, exec, s[18:19]
	v_and_b32_e32 v2, 63, v0
	v_cmp_gt_u32_e32 vcc, 64, v0
	v_lshlrev_b32_e32 v1, 2, v2
	s_and_saveexec_b64 s[0:1], vcc
	s_cbranch_execz .LBB620_6
; %bb.5:
	v_mov_b32_e32 v3, 0
	ds_write_b32 v1, v3
.LBB620_6:
	s_or_b64 exec, exec, s[0:1]
	v_mbcnt_lo_u32_b32 v3, -1, 0
	v_mbcnt_hi_u32_b32 v5, -1, v3
	v_and_b32_e32 v7, 63, v5
	v_cmp_gt_u32_e64 s[0:1], 32, v7
	v_cndmask_b32_e64 v3, 0, 1, s[0:1]
	v_lshlrev_b32_e32 v3, 5, v3
	v_add_lshl_u32 v3, v3, v5, 2
	ds_bpermute_b32 v3, v3, v6
	v_cmp_gt_u32_e64 s[0:1], 48, v7
	v_cndmask_b32_e64 v4, 0, 1, s[0:1]
	v_lshlrev_b32_e32 v4, 4, v4
	v_add_lshl_u32 v4, v4, v5, 2
	s_waitcnt lgkmcnt(0)
	v_add_f32_e32 v3, v6, v3
	ds_bpermute_b32 v4, v4, v3
	v_cmp_gt_u32_e64 s[0:1], 56, v7
	v_cndmask_b32_e64 v6, 0, 1, s[0:1]
	v_lshlrev_b32_e32 v6, 3, v6
	v_cmp_gt_u32_e64 s[0:1], 60, v7
	s_waitcnt lgkmcnt(0)
	v_add_f32_e32 v3, v3, v4
	v_add_lshl_u32 v4, v6, v5, 2
	ds_bpermute_b32 v4, v4, v3
	v_cndmask_b32_e64 v6, 0, 1, s[0:1]
	v_lshlrev_b32_e32 v6, 2, v6
	v_cmp_gt_u32_e64 s[0:1], 62, v7
	v_cndmask_b32_e64 v8, 0, 1, s[0:1]
	s_waitcnt lgkmcnt(0)
	v_add_f32_e32 v4, v3, v4
	v_add_lshl_u32 v3, v6, v5, 2
	ds_bpermute_b32 v6, v3, v4
	v_lshlrev_b32_e32 v8, 1, v8
	v_cmp_ne_u32_e64 s[0:1], 63, v7
	s_waitcnt lgkmcnt(0)
	s_barrier
	v_add_f32_e32 v6, v4, v6
	v_add_lshl_u32 v4, v8, v5, 2
	ds_bpermute_b32 v8, v4, v6
	v_addc_co_u32_e64 v5, s[0:1], 0, v5, s[0:1]
	v_lshlrev_b32_e32 v5, 2, v5
	v_cmp_eq_u32_e64 s[0:1], 0, v2
	s_waitcnt lgkmcnt(0)
	v_add_f32_e32 v6, v6, v8
	ds_bpermute_b32 v7, v5, v6
	s_waitcnt lgkmcnt(0)
	s_and_saveexec_b64 s[2:3], s[0:1]
	s_cbranch_execz .LBB620_8
; %bb.7:
	v_add_f32_e32 v2, v6, v7
	v_lshrrev_b32_e32 v6, 4, v0
	v_and_b32_e32 v6, 28, v6
	ds_write_b32 v6, v2
.LBB620_8:
	s_or_b64 exec, exec, s[2:3]
	v_cmp_gt_u32_e64 s[0:1], 8, v0
	v_mov_b32_e32 v2, 0
	s_waitcnt lgkmcnt(0)
	s_barrier
	s_and_saveexec_b64 s[2:3], s[0:1]
	s_cbranch_execnz .LBB620_12
; %bb.9:
	s_or_b64 exec, exec, s[2:3]
	s_and_saveexec_b64 s[0:1], vcc
	s_cbranch_execnz .LBB620_13
.LBB620_10:
	s_or_b64 exec, exec, s[0:1]
	v_cmp_eq_u32_e32 vcc, 0, v0
	s_and_saveexec_b64 s[0:1], vcc
	s_cbranch_execnz .LBB620_14
.LBB620_11:
	s_endpgm
.LBB620_12:
	ds_read_b32 v2, v1
	s_or_b64 exec, exec, s[2:3]
	s_and_saveexec_b64 s[0:1], vcc
	s_cbranch_execz .LBB620_10
.LBB620_13:
	s_waitcnt lgkmcnt(0)
	ds_bpermute_b32 v1, v3, v2
	s_waitcnt lgkmcnt(0)
	v_add_f32_e32 v1, v2, v1
	ds_bpermute_b32 v2, v4, v1
	s_waitcnt lgkmcnt(0)
	v_add_f32_e32 v1, v1, v2
	;; [unrolled: 3-line block ×3, first 2 shown]
	s_or_b64 exec, exec, s[0:1]
	v_cmp_eq_u32_e32 vcc, 0, v0
	s_and_saveexec_b64 s[0:1], vcc
	s_cbranch_execz .LBB620_11
.LBB620_14:
	s_cmp_lg_u32 s20, 1
	s_cbranch_scc0 .LBB620_16
; %bb.15:
	s_mul_hi_u32 s1, s20, s16
	s_mul_i32 s0, s20, s16
	s_lshl_b64 s[0:1], s[0:1], 2
	s_mov_b32 s7, 0
	s_add_u32 s2, s8, s0
	s_addc_u32 s3, s9, s1
	s_lshl_b64 s[0:1], s[6:7], 2
	s_add_u32 s0, s2, s0
	s_addc_u32 s1, s3, s1
	s_cbranch_execz .LBB620_17
	s_branch .LBB620_18
.LBB620_16:
                                        ; implicit-def: $sgpr0_sgpr1
.LBB620_17:
	s_lshl_b64 s[0:1], s[16:17], 2
	s_add_u32 s0, s10, s0
	s_addc_u32 s1, s11, s1
.LBB620_18:
	v_mov_b32_e32 v0, 0
	s_waitcnt lgkmcnt(0)
	global_store_dword v0, v2, s[0:1]
	s_endpgm
	.section	.rodata,"a",@progbits
	.p2align	6, 0x0
	.amdhsa_kernel _ZL18rocblas_dot_kernelIlLb0ELi512ELi4ELb1EfPKPKffEviT5_lT_lS4_lS5_liPT6_PT4_
		.amdhsa_group_segment_fixed_size 256
		.amdhsa_private_segment_fixed_size 0
		.amdhsa_kernarg_size 352
		.amdhsa_user_sgpr_count 6
		.amdhsa_user_sgpr_private_segment_buffer 1
		.amdhsa_user_sgpr_dispatch_ptr 0
		.amdhsa_user_sgpr_queue_ptr 0
		.amdhsa_user_sgpr_kernarg_segment_ptr 1
		.amdhsa_user_sgpr_dispatch_id 0
		.amdhsa_user_sgpr_flat_scratch_init 0
		.amdhsa_user_sgpr_kernarg_preload_length 0
		.amdhsa_user_sgpr_kernarg_preload_offset 0
		.amdhsa_user_sgpr_private_segment_size 0
		.amdhsa_uses_dynamic_stack 0
		.amdhsa_system_sgpr_private_segment_wavefront_offset 0
		.amdhsa_system_sgpr_workgroup_id_x 1
		.amdhsa_system_sgpr_workgroup_id_y 0
		.amdhsa_system_sgpr_workgroup_id_z 1
		.amdhsa_system_sgpr_workgroup_info 0
		.amdhsa_system_vgpr_workitem_id 0
		.amdhsa_next_free_vgpr 11
		.amdhsa_next_free_sgpr 26
		.amdhsa_accum_offset 12
		.amdhsa_reserve_vcc 1
		.amdhsa_reserve_flat_scratch 0
		.amdhsa_float_round_mode_32 0
		.amdhsa_float_round_mode_16_64 0
		.amdhsa_float_denorm_mode_32 3
		.amdhsa_float_denorm_mode_16_64 3
		.amdhsa_dx10_clamp 1
		.amdhsa_ieee_mode 1
		.amdhsa_fp16_overflow 0
		.amdhsa_tg_split 0
		.amdhsa_exception_fp_ieee_invalid_op 0
		.amdhsa_exception_fp_denorm_src 0
		.amdhsa_exception_fp_ieee_div_zero 0
		.amdhsa_exception_fp_ieee_overflow 0
		.amdhsa_exception_fp_ieee_underflow 0
		.amdhsa_exception_fp_ieee_inexact 0
		.amdhsa_exception_int_div_zero 0
	.end_amdhsa_kernel
	.section	.text._ZL18rocblas_dot_kernelIlLb0ELi512ELi4ELb1EfPKPKffEviT5_lT_lS4_lS5_liPT6_PT4_,"axG",@progbits,_ZL18rocblas_dot_kernelIlLb0ELi512ELi4ELb1EfPKPKffEviT5_lT_lS4_lS5_liPT6_PT4_,comdat
.Lfunc_end620:
	.size	_ZL18rocblas_dot_kernelIlLb0ELi512ELi4ELb1EfPKPKffEviT5_lT_lS4_lS5_liPT6_PT4_, .Lfunc_end620-_ZL18rocblas_dot_kernelIlLb0ELi512ELi4ELb1EfPKPKffEviT5_lT_lS4_lS5_liPT6_PT4_
                                        ; -- End function
	.section	.AMDGPU.csdata,"",@progbits
; Kernel info:
; codeLenInByte = 1048
; NumSgprs: 30
; NumVgprs: 11
; NumAgprs: 0
; TotalNumVgprs: 11
; ScratchSize: 0
; MemoryBound: 0
; FloatMode: 240
; IeeeMode: 1
; LDSByteSize: 256 bytes/workgroup (compile time only)
; SGPRBlocks: 3
; VGPRBlocks: 1
; NumSGPRsForWavesPerEU: 30
; NumVGPRsForWavesPerEU: 11
; AccumOffset: 12
; Occupancy: 8
; WaveLimiterHint : 0
; COMPUTE_PGM_RSRC2:SCRATCH_EN: 0
; COMPUTE_PGM_RSRC2:USER_SGPR: 6
; COMPUTE_PGM_RSRC2:TRAP_HANDLER: 0
; COMPUTE_PGM_RSRC2:TGID_X_EN: 1
; COMPUTE_PGM_RSRC2:TGID_Y_EN: 0
; COMPUTE_PGM_RSRC2:TGID_Z_EN: 1
; COMPUTE_PGM_RSRC2:TIDIG_COMP_CNT: 0
; COMPUTE_PGM_RSRC3_GFX90A:ACCUM_OFFSET: 2
; COMPUTE_PGM_RSRC3_GFX90A:TG_SPLIT: 0
	.section	.text._ZL24rocblas_dot_kernel_magsqIlLb0ELi512ELi4ELb1EfPKPKffEviT5_lT_liPT6_PT4_,"axG",@progbits,_ZL24rocblas_dot_kernel_magsqIlLb0ELi512ELi4ELb1EfPKPKffEviT5_lT_liPT6_PT4_,comdat
	.globl	_ZL24rocblas_dot_kernel_magsqIlLb0ELi512ELi4ELb1EfPKPKffEviT5_lT_liPT6_PT4_ ; -- Begin function _ZL24rocblas_dot_kernel_magsqIlLb0ELi512ELi4ELb1EfPKPKffEviT5_lT_liPT6_PT4_
	.p2align	8
	.type	_ZL24rocblas_dot_kernel_magsqIlLb0ELi512ELi4ELb1EfPKPKffEviT5_lT_liPT6_PT4_,@function
_ZL24rocblas_dot_kernel_magsqIlLb0ELi512ELi4ELb1EfPKPKffEviT5_lT_liPT6_PT4_: ; @_ZL24rocblas_dot_kernel_magsqIlLb0ELi512ELi4ELb1EfPKPKffEviT5_lT_liPT6_PT4_
; %bb.0:
	s_mov_b32 s2, s7
	s_load_dword s7, s[4:5], 0x0
	s_load_dwordx4 s[8:11], s[4:5], 0x30
	s_load_dword s16, s[4:5], 0x40
	v_lshl_or_b32 v2, s6, 9, v0
	s_mov_b32 s3, 0
	s_waitcnt lgkmcnt(0)
	v_cmp_gt_i32_e32 vcc, s7, v2
	v_mov_b32_e32 v1, 0
	s_and_saveexec_b64 s[12:13], vcc
	s_cbranch_execz .LBB621_4
; %bb.1:
	s_load_dwordx2 s[0:1], s[4:5], 0x8
	s_load_dwordx4 s[20:23], s[4:5], 0x10
	s_lshl_b64 s[4:5], s[2:3], 3
	v_ashrrev_i32_e32 v1, 31, v2
	s_waitcnt lgkmcnt(0)
	s_add_u32 s0, s0, s4
	s_addc_u32 s1, s1, s5
	s_load_dwordx2 s[0:1], s[0:1], 0x0
	s_lshl_b32 s17, s16, 9
	v_add_u32_e32 v4, s17, v2
	v_mul_lo_u32 v5, s23, v2
	v_mul_lo_u32 v1, s22, v1
	v_mad_u64_u32 v[2:3], s[4:5], s22, v2, 0
	v_add3_u32 v3, v3, v1, v5
	s_lshl_b64 s[4:5], s[20:21], 2
	v_lshlrev_b64 v[2:3], 2, v[2:3]
	s_waitcnt lgkmcnt(0)
	s_add_u32 s0, s0, s4
	s_addc_u32 s1, s1, s5
	v_add_co_u32_e32 v2, vcc, s0, v2
	s_ashr_i32 s0, s17, 31
	v_mov_b32_e32 v1, s1
	s_mul_i32 s0, s22, s0
	s_mul_hi_u32 s1, s22, s17
	s_add_i32 s0, s1, s0
	s_mul_i32 s1, s23, s17
	s_add_i32 s1, s0, s1
	s_mul_i32 s0, s22, s17
	s_lshl_b64 s[14:15], s[0:1], 2
	v_addc_co_u32_e32 v3, vcc, v1, v3, vcc
	s_mov_b64 s[4:5], 0
	v_mov_b32_e32 v1, 0
	v_mov_b32_e32 v5, s15
	s_mov_b32 s15, s3
.LBB621_2:                              ; =>This Inner Loop Header: Depth=1
	global_load_dword v6, v[2:3], off
	s_add_i32 s18, s15, 1
	v_add_co_u32_e64 v2, s[0:1], s14, v2
	v_addc_co_u32_e64 v3, s[0:1], v3, v5, s[0:1]
	s_cmp_gt_u32 s15, 2
	v_cmp_le_i32_e32 vcc, s7, v4
	s_cselect_b64 s[0:1], -1, 0
	s_or_b64 s[0:1], s[0:1], vcc
	s_and_b64 s[0:1], exec, s[0:1]
	v_add_u32_e32 v4, s17, v4
	s_mov_b32 s15, s18
	s_or_b64 s[4:5], s[0:1], s[4:5]
	s_waitcnt vmcnt(0)
	v_fmac_f32_e32 v1, v6, v6
	s_andn2_b64 exec, exec, s[4:5]
	s_cbranch_execnz .LBB621_2
; %bb.3:
	s_or_b64 exec, exec, s[4:5]
.LBB621_4:
	s_or_b64 exec, exec, s[12:13]
	v_and_b32_e32 v3, 63, v0
	v_cmp_gt_u32_e32 vcc, 64, v0
	v_lshlrev_b32_e32 v2, 2, v3
	s_and_saveexec_b64 s[0:1], vcc
	s_cbranch_execz .LBB621_6
; %bb.5:
	v_mov_b32_e32 v4, 0
	ds_write_b32 v2, v4
.LBB621_6:
	s_or_b64 exec, exec, s[0:1]
	v_mbcnt_lo_u32_b32 v4, -1, 0
	v_mbcnt_hi_u32_b32 v6, -1, v4
	v_and_b32_e32 v7, 63, v6
	v_cmp_gt_u32_e64 s[0:1], 32, v7
	v_cndmask_b32_e64 v4, 0, 1, s[0:1]
	v_lshlrev_b32_e32 v4, 5, v4
	v_add_lshl_u32 v4, v4, v6, 2
	ds_bpermute_b32 v4, v4, v1
	v_cmp_gt_u32_e64 s[0:1], 48, v7
	v_cndmask_b32_e64 v5, 0, 1, s[0:1]
	v_lshlrev_b32_e32 v5, 4, v5
	v_cmp_gt_u32_e64 s[0:1], 56, v7
	s_waitcnt lgkmcnt(0)
	v_add_f32_e32 v1, v1, v4
	v_add_lshl_u32 v4, v5, v6, 2
	ds_bpermute_b32 v4, v4, v1
	v_cndmask_b32_e64 v5, 0, 1, s[0:1]
	v_lshlrev_b32_e32 v5, 3, v5
	v_cmp_gt_u32_e64 s[0:1], 60, v7
	s_waitcnt lgkmcnt(0)
	v_add_f32_e32 v1, v1, v4
	v_add_lshl_u32 v4, v5, v6, 2
	ds_bpermute_b32 v4, v4, v1
	v_cndmask_b32_e64 v5, 0, 1, s[0:1]
	v_lshlrev_b32_e32 v5, 2, v5
	v_cmp_gt_u32_e64 s[0:1], 62, v7
	v_cndmask_b32_e64 v8, 0, 1, s[0:1]
	s_waitcnt lgkmcnt(0)
	v_add_f32_e32 v1, v1, v4
	v_add_lshl_u32 v4, v5, v6, 2
	ds_bpermute_b32 v5, v4, v1
	v_lshlrev_b32_e32 v8, 1, v8
	v_cmp_ne_u32_e64 s[0:1], 63, v7
	s_barrier
	s_waitcnt lgkmcnt(0)
	v_add_f32_e32 v1, v1, v5
	v_add_lshl_u32 v5, v8, v6, 2
	ds_bpermute_b32 v8, v5, v1
	v_addc_co_u32_e64 v6, s[0:1], 0, v6, s[0:1]
	v_lshlrev_b32_e32 v6, 2, v6
	v_cmp_eq_u32_e64 s[0:1], 0, v3
	s_waitcnt lgkmcnt(0)
	v_add_f32_e32 v1, v1, v8
	ds_bpermute_b32 v7, v6, v1
	s_and_saveexec_b64 s[4:5], s[0:1]
	s_cbranch_execz .LBB621_8
; %bb.7:
	v_lshrrev_b32_e32 v3, 4, v0
	s_waitcnt lgkmcnt(0)
	v_add_f32_e32 v1, v1, v7
	v_and_b32_e32 v3, 28, v3
	ds_write_b32 v3, v1
.LBB621_8:
	s_or_b64 exec, exec, s[4:5]
	v_cmp_gt_u32_e64 s[0:1], 8, v0
	v_mov_b32_e32 v1, 0
	s_waitcnt lgkmcnt(0)
	s_barrier
	s_and_saveexec_b64 s[4:5], s[0:1]
	s_cbranch_execnz .LBB621_12
; %bb.9:
	s_or_b64 exec, exec, s[4:5]
	s_and_saveexec_b64 s[0:1], vcc
	s_cbranch_execnz .LBB621_13
.LBB621_10:
	s_or_b64 exec, exec, s[0:1]
	v_cmp_eq_u32_e32 vcc, 0, v0
	s_and_saveexec_b64 s[0:1], vcc
	s_cbranch_execnz .LBB621_14
.LBB621_11:
	s_endpgm
.LBB621_12:
	ds_read_b32 v1, v2
	s_or_b64 exec, exec, s[4:5]
	s_and_saveexec_b64 s[0:1], vcc
	s_cbranch_execz .LBB621_10
.LBB621_13:
	s_waitcnt lgkmcnt(0)
	ds_bpermute_b32 v2, v4, v1
	s_waitcnt lgkmcnt(0)
	v_add_f32_e32 v1, v1, v2
	ds_bpermute_b32 v2, v5, v1
	s_waitcnt lgkmcnt(0)
	v_add_f32_e32 v1, v1, v2
	;; [unrolled: 3-line block ×3, first 2 shown]
	s_or_b64 exec, exec, s[0:1]
	v_cmp_eq_u32_e32 vcc, 0, v0
	s_and_saveexec_b64 s[0:1], vcc
	s_cbranch_execz .LBB621_11
.LBB621_14:
	s_cmp_lg_u32 s16, 1
	s_cbranch_scc0 .LBB621_16
; %bb.15:
	s_mul_hi_u32 s1, s16, s2
	s_mul_i32 s0, s16, s2
	s_lshl_b64 s[0:1], s[0:1], 2
	s_mov_b32 s7, 0
	s_add_u32 s4, s8, s0
	s_addc_u32 s5, s9, s1
	s_lshl_b64 s[0:1], s[6:7], 2
	s_add_u32 s0, s4, s0
	s_addc_u32 s1, s5, s1
	s_cbranch_execz .LBB621_17
	s_branch .LBB621_18
.LBB621_16:
                                        ; implicit-def: $sgpr0_sgpr1
.LBB621_17:
	s_lshl_b64 s[0:1], s[2:3], 2
	s_add_u32 s0, s10, s0
	s_addc_u32 s1, s11, s1
.LBB621_18:
	v_mov_b32_e32 v0, 0
	s_waitcnt lgkmcnt(0)
	global_store_dword v0, v1, s[0:1]
	s_endpgm
	.section	.rodata,"a",@progbits
	.p2align	6, 0x0
	.amdhsa_kernel _ZL24rocblas_dot_kernel_magsqIlLb0ELi512ELi4ELb1EfPKPKffEviT5_lT_liPT6_PT4_
		.amdhsa_group_segment_fixed_size 256
		.amdhsa_private_segment_fixed_size 0
		.amdhsa_kernarg_size 320
		.amdhsa_user_sgpr_count 6
		.amdhsa_user_sgpr_private_segment_buffer 1
		.amdhsa_user_sgpr_dispatch_ptr 0
		.amdhsa_user_sgpr_queue_ptr 0
		.amdhsa_user_sgpr_kernarg_segment_ptr 1
		.amdhsa_user_sgpr_dispatch_id 0
		.amdhsa_user_sgpr_flat_scratch_init 0
		.amdhsa_user_sgpr_kernarg_preload_length 0
		.amdhsa_user_sgpr_kernarg_preload_offset 0
		.amdhsa_user_sgpr_private_segment_size 0
		.amdhsa_uses_dynamic_stack 0
		.amdhsa_system_sgpr_private_segment_wavefront_offset 0
		.amdhsa_system_sgpr_workgroup_id_x 1
		.amdhsa_system_sgpr_workgroup_id_y 0
		.amdhsa_system_sgpr_workgroup_id_z 1
		.amdhsa_system_sgpr_workgroup_info 0
		.amdhsa_system_vgpr_workitem_id 0
		.amdhsa_next_free_vgpr 9
		.amdhsa_next_free_sgpr 24
		.amdhsa_accum_offset 12
		.amdhsa_reserve_vcc 1
		.amdhsa_reserve_flat_scratch 0
		.amdhsa_float_round_mode_32 0
		.amdhsa_float_round_mode_16_64 0
		.amdhsa_float_denorm_mode_32 3
		.amdhsa_float_denorm_mode_16_64 3
		.amdhsa_dx10_clamp 1
		.amdhsa_ieee_mode 1
		.amdhsa_fp16_overflow 0
		.amdhsa_tg_split 0
		.amdhsa_exception_fp_ieee_invalid_op 0
		.amdhsa_exception_fp_denorm_src 0
		.amdhsa_exception_fp_ieee_div_zero 0
		.amdhsa_exception_fp_ieee_overflow 0
		.amdhsa_exception_fp_ieee_underflow 0
		.amdhsa_exception_fp_ieee_inexact 0
		.amdhsa_exception_int_div_zero 0
	.end_amdhsa_kernel
	.section	.text._ZL24rocblas_dot_kernel_magsqIlLb0ELi512ELi4ELb1EfPKPKffEviT5_lT_liPT6_PT4_,"axG",@progbits,_ZL24rocblas_dot_kernel_magsqIlLb0ELi512ELi4ELb1EfPKPKffEviT5_lT_liPT6_PT4_,comdat
.Lfunc_end621:
	.size	_ZL24rocblas_dot_kernel_magsqIlLb0ELi512ELi4ELb1EfPKPKffEviT5_lT_liPT6_PT4_, .Lfunc_end621-_ZL24rocblas_dot_kernel_magsqIlLb0ELi512ELi4ELb1EfPKPKffEviT5_lT_liPT6_PT4_
                                        ; -- End function
	.section	.AMDGPU.csdata,"",@progbits
; Kernel info:
; codeLenInByte = 896
; NumSgprs: 28
; NumVgprs: 9
; NumAgprs: 0
; TotalNumVgprs: 9
; ScratchSize: 0
; MemoryBound: 0
; FloatMode: 240
; IeeeMode: 1
; LDSByteSize: 256 bytes/workgroup (compile time only)
; SGPRBlocks: 3
; VGPRBlocks: 1
; NumSGPRsForWavesPerEU: 28
; NumVGPRsForWavesPerEU: 9
; AccumOffset: 12
; Occupancy: 8
; WaveLimiterHint : 0
; COMPUTE_PGM_RSRC2:SCRATCH_EN: 0
; COMPUTE_PGM_RSRC2:USER_SGPR: 6
; COMPUTE_PGM_RSRC2:TRAP_HANDLER: 0
; COMPUTE_PGM_RSRC2:TGID_X_EN: 1
; COMPUTE_PGM_RSRC2:TGID_Y_EN: 0
; COMPUTE_PGM_RSRC2:TGID_Z_EN: 1
; COMPUTE_PGM_RSRC2:TIDIG_COMP_CNT: 0
; COMPUTE_PGM_RSRC3_GFX90A:ACCUM_OFFSET: 2
; COMPUTE_PGM_RSRC3_GFX90A:TG_SPLIT: 0
	.section	.text._ZL28rocblas_dot_batched_4_kernelIiLi32ELi4ELb1EddPKdEviT5_lT_lS2_lS3_liPT4_,"axG",@progbits,_ZL28rocblas_dot_batched_4_kernelIiLi32ELi4ELb1EddPKdEviT5_lT_lS2_lS3_liPT4_,comdat
	.globl	_ZL28rocblas_dot_batched_4_kernelIiLi32ELi4ELb1EddPKdEviT5_lT_lS2_lS3_liPT4_ ; -- Begin function _ZL28rocblas_dot_batched_4_kernelIiLi32ELi4ELb1EddPKdEviT5_lT_lS2_lS3_liPT4_
	.p2align	8
	.type	_ZL28rocblas_dot_batched_4_kernelIiLi32ELi4ELb1EddPKdEviT5_lT_lS2_lS3_liPT4_,@function
_ZL28rocblas_dot_batched_4_kernelIiLi32ELi4ELb1EddPKdEviT5_lT_lS2_lS3_liPT4_: ; @_ZL28rocblas_dot_batched_4_kernelIiLi32ELi4ELb1EddPKdEviT5_lT_lS2_lS3_liPT4_
; %bb.0:
	s_load_dword s0, s[4:5], 0x48
	v_bfe_u32 v1, v0, 10, 10
	v_lshl_add_u32 v2, s6, 2, v1
	s_waitcnt lgkmcnt(0)
	v_cmp_gt_u32_e32 vcc, s0, v2
	s_and_saveexec_b64 s[0:1], vcc
	s_cbranch_execz .LBB622_7
; %bb.1:
	s_load_dword s10, s[4:5], 0x0
	s_load_dwordx2 s[0:1], s[4:5], 0x50
	v_and_b32_e32 v8, 0x3ff, v0
	v_mov_b32_e32 v3, 0
	v_pk_mov_b32 v[0:1], 0, 0
	s_waitcnt lgkmcnt(0)
	v_cmp_gt_i32_e32 vcc, s10, v8
	s_and_saveexec_b64 s[2:3], vcc
	s_cbranch_execz .LBB622_5
; %bb.2:
	s_load_dwordx4 s[12:15], s[4:5], 0x8
	s_load_dword s6, s[4:5], 0x18
	s_load_dword s8, s[4:5], 0x38
	s_load_dwordx4 s[16:19], s[4:5], 0x20
	s_load_dwordx2 s[20:21], s[4:5], 0x30
	s_load_dwordx2 s[22:23], s[4:5], 0x40
	s_waitcnt lgkmcnt(0)
	v_mad_i64_i32 v[0:1], s[4:5], s6, v8, 0
	v_mad_u64_u32 v[4:5], s[4:5], s16, v2, 0
	v_mov_b32_e32 v6, v5
	v_mad_u64_u32 v[6:7], s[4:5], s17, v2, v[6:7]
	v_mov_b32_e32 v5, v6
	s_ashr_i32 s7, s6, 31
	s_ashr_i32 s9, s8, 31
	v_lshlrev_b64 v[0:1], 3, v[0:1]
	v_lshlrev_b64 v[4:5], 3, v[4:5]
	s_lshl_b64 s[4:5], s[14:15], 3
	v_add_co_u32_e32 v0, vcc, v0, v4
	s_add_u32 s4, s12, s4
	v_addc_co_u32_e32 v1, vcc, v1, v5, vcc
	s_addc_u32 s5, s13, s5
	v_mov_b32_e32 v5, s5
	v_add_co_u32_e32 v4, vcc, s4, v0
	s_lshl_b64 s[4:5], s[6:7], 8
	v_mad_u64_u32 v[6:7], s[6:7], s22, v2, 0
	v_mov_b32_e32 v10, v7
	v_mad_u64_u32 v[10:11], s[6:7], s23, v2, v[10:11]
	v_addc_co_u32_e32 v5, vcc, v5, v1, vcc
	v_mad_i64_i32 v[0:1], s[6:7], s8, v8, 0
	v_mov_b32_e32 v7, v10
	v_lshlrev_b64 v[0:1], 3, v[0:1]
	v_lshlrev_b64 v[6:7], 3, v[6:7]
	s_lshl_b64 s[6:7], s[20:21], 3
	v_add_co_u32_e32 v0, vcc, v0, v6
	s_add_u32 s6, s18, s6
	v_addc_co_u32_e32 v1, vcc, v1, v7, vcc
	s_addc_u32 s7, s19, s7
	v_mov_b32_e32 v7, s7
	v_add_co_u32_e32 v6, vcc, s6, v0
	s_lshl_b64 s[8:9], s[8:9], 8
	v_addc_co_u32_e32 v7, vcc, v7, v1, vcc
	s_mov_b64 s[6:7], 0
	v_pk_mov_b32 v[0:1], 0, 0
	v_mov_b32_e32 v9, s5
	v_mov_b32_e32 v10, s9
	;; [unrolled: 1-line block ×3, first 2 shown]
.LBB622_3:                              ; =>This Inner Loop Header: Depth=1
	global_load_dwordx2 v[12:13], v[4:5], off
	global_load_dwordx2 v[14:15], v[6:7], off
	v_add_co_u32_e32 v4, vcc, s4, v4
	v_addc_co_u32_e32 v5, vcc, v5, v9, vcc
	v_add_co_u32_e32 v6, vcc, s8, v6
	v_add_u32_e32 v11, 32, v11
	v_addc_co_u32_e32 v7, vcc, v7, v10, vcc
	v_cmp_le_i32_e32 vcc, s10, v11
	s_or_b64 s[6:7], vcc, s[6:7]
	s_waitcnt vmcnt(0)
	v_fmac_f64_e32 v[0:1], v[12:13], v[14:15]
	s_andn2_b64 exec, exec, s[6:7]
	s_cbranch_execnz .LBB622_3
; %bb.4:
	s_or_b64 exec, exec, s[6:7]
.LBB622_5:
	s_or_b64 exec, exec, s[2:3]
	v_mbcnt_lo_u32_b32 v4, -1, 0
	v_mbcnt_hi_u32_b32 v6, -1, v4
	v_and_b32_e32 v7, 63, v6
	v_cmp_gt_u32_e32 vcc, 48, v7
	v_cndmask_b32_e64 v4, 0, 1, vcc
	v_lshlrev_b32_e32 v4, 4, v4
	v_add_lshl_u32 v5, v4, v6, 2
	ds_bpermute_b32 v4, v5, v0
	ds_bpermute_b32 v5, v5, v1
	v_cmp_gt_u32_e32 vcc, 56, v7
	v_cndmask_b32_e64 v9, 0, 1, vcc
	v_cmp_gt_u32_e32 vcc, 60, v7
	s_waitcnt lgkmcnt(0)
	v_add_f64 v[0:1], v[0:1], v[4:5]
	v_lshlrev_b32_e32 v4, 3, v9
	v_add_lshl_u32 v5, v4, v6, 2
	ds_bpermute_b32 v4, v5, v0
	ds_bpermute_b32 v5, v5, v1
	s_barrier
	s_waitcnt lgkmcnt(0)
	v_add_f64 v[0:1], v[0:1], v[4:5]
	v_cndmask_b32_e64 v4, 0, 1, vcc
	v_lshlrev_b32_e32 v4, 2, v4
	v_add_lshl_u32 v5, v4, v6, 2
	ds_bpermute_b32 v4, v5, v0
	ds_bpermute_b32 v5, v5, v1
	v_cmp_gt_u32_e32 vcc, 62, v7
	s_waitcnt lgkmcnt(0)
	v_add_f64 v[0:1], v[0:1], v[4:5]
	v_cndmask_b32_e64 v4, 0, 1, vcc
	v_lshlrev_b32_e32 v4, 1, v4
	v_add_lshl_u32 v5, v4, v6, 2
	ds_bpermute_b32 v4, v5, v0
	ds_bpermute_b32 v5, v5, v1
	v_cmp_ne_u32_e32 vcc, 63, v7
	s_waitcnt lgkmcnt(0)
	v_add_f64 v[0:1], v[0:1], v[4:5]
	v_addc_co_u32_e32 v4, vcc, 0, v6, vcc
	v_lshlrev_b32_e32 v5, 2, v4
	ds_bpermute_b32 v4, v5, v0
	ds_bpermute_b32 v5, v5, v1
	v_cmp_eq_u32_e32 vcc, 0, v8
	s_and_b64 exec, exec, vcc
	s_cbranch_execz .LBB622_7
; %bb.6:
	v_lshlrev_b64 v[2:3], 3, v[2:3]
	v_mov_b32_e32 v6, s1
	v_add_co_u32_e32 v2, vcc, s0, v2
	v_addc_co_u32_e32 v3, vcc, v6, v3, vcc
	s_waitcnt lgkmcnt(0)
	v_add_f64 v[0:1], v[0:1], v[4:5]
	global_store_dwordx2 v[2:3], v[0:1], off
.LBB622_7:
	s_endpgm
	.section	.rodata,"a",@progbits
	.p2align	6, 0x0
	.amdhsa_kernel _ZL28rocblas_dot_batched_4_kernelIiLi32ELi4ELb1EddPKdEviT5_lT_lS2_lS3_liPT4_
		.amdhsa_group_segment_fixed_size 0
		.amdhsa_private_segment_fixed_size 0
		.amdhsa_kernarg_size 88
		.amdhsa_user_sgpr_count 6
		.amdhsa_user_sgpr_private_segment_buffer 1
		.amdhsa_user_sgpr_dispatch_ptr 0
		.amdhsa_user_sgpr_queue_ptr 0
		.amdhsa_user_sgpr_kernarg_segment_ptr 1
		.amdhsa_user_sgpr_dispatch_id 0
		.amdhsa_user_sgpr_flat_scratch_init 0
		.amdhsa_user_sgpr_kernarg_preload_length 0
		.amdhsa_user_sgpr_kernarg_preload_offset 0
		.amdhsa_user_sgpr_private_segment_size 0
		.amdhsa_uses_dynamic_stack 0
		.amdhsa_system_sgpr_private_segment_wavefront_offset 0
		.amdhsa_system_sgpr_workgroup_id_x 1
		.amdhsa_system_sgpr_workgroup_id_y 0
		.amdhsa_system_sgpr_workgroup_id_z 0
		.amdhsa_system_sgpr_workgroup_info 0
		.amdhsa_system_vgpr_workitem_id 1
		.amdhsa_next_free_vgpr 16
		.amdhsa_next_free_sgpr 24
		.amdhsa_accum_offset 16
		.amdhsa_reserve_vcc 1
		.amdhsa_reserve_flat_scratch 0
		.amdhsa_float_round_mode_32 0
		.amdhsa_float_round_mode_16_64 0
		.amdhsa_float_denorm_mode_32 3
		.amdhsa_float_denorm_mode_16_64 3
		.amdhsa_dx10_clamp 1
		.amdhsa_ieee_mode 1
		.amdhsa_fp16_overflow 0
		.amdhsa_tg_split 0
		.amdhsa_exception_fp_ieee_invalid_op 0
		.amdhsa_exception_fp_denorm_src 0
		.amdhsa_exception_fp_ieee_div_zero 0
		.amdhsa_exception_fp_ieee_overflow 0
		.amdhsa_exception_fp_ieee_underflow 0
		.amdhsa_exception_fp_ieee_inexact 0
		.amdhsa_exception_int_div_zero 0
	.end_amdhsa_kernel
	.section	.text._ZL28rocblas_dot_batched_4_kernelIiLi32ELi4ELb1EddPKdEviT5_lT_lS2_lS3_liPT4_,"axG",@progbits,_ZL28rocblas_dot_batched_4_kernelIiLi32ELi4ELb1EddPKdEviT5_lT_lS2_lS3_liPT4_,comdat
.Lfunc_end622:
	.size	_ZL28rocblas_dot_batched_4_kernelIiLi32ELi4ELb1EddPKdEviT5_lT_lS2_lS3_liPT4_, .Lfunc_end622-_ZL28rocblas_dot_batched_4_kernelIiLi32ELi4ELb1EddPKdEviT5_lT_lS2_lS3_liPT4_
                                        ; -- End function
	.section	.AMDGPU.csdata,"",@progbits
; Kernel info:
; codeLenInByte = 728
; NumSgprs: 28
; NumVgprs: 16
; NumAgprs: 0
; TotalNumVgprs: 16
; ScratchSize: 0
; MemoryBound: 0
; FloatMode: 240
; IeeeMode: 1
; LDSByteSize: 0 bytes/workgroup (compile time only)
; SGPRBlocks: 3
; VGPRBlocks: 1
; NumSGPRsForWavesPerEU: 28
; NumVGPRsForWavesPerEU: 16
; AccumOffset: 16
; Occupancy: 8
; WaveLimiterHint : 0
; COMPUTE_PGM_RSRC2:SCRATCH_EN: 0
; COMPUTE_PGM_RSRC2:USER_SGPR: 6
; COMPUTE_PGM_RSRC2:TRAP_HANDLER: 0
; COMPUTE_PGM_RSRC2:TGID_X_EN: 1
; COMPUTE_PGM_RSRC2:TGID_Y_EN: 0
; COMPUTE_PGM_RSRC2:TGID_Z_EN: 0
; COMPUTE_PGM_RSRC2:TIDIG_COMP_CNT: 1
; COMPUTE_PGM_RSRC3_GFX90A:ACCUM_OFFSET: 3
; COMPUTE_PGM_RSRC3_GFX90A:TG_SPLIT: 0
	.section	.text._ZL28rocblas_dot_batched_4_kernelIiLi64ELi4ELb1EddPKdEviT5_lT_lS2_lS3_liPT4_,"axG",@progbits,_ZL28rocblas_dot_batched_4_kernelIiLi64ELi4ELb1EddPKdEviT5_lT_lS2_lS3_liPT4_,comdat
	.globl	_ZL28rocblas_dot_batched_4_kernelIiLi64ELi4ELb1EddPKdEviT5_lT_lS2_lS3_liPT4_ ; -- Begin function _ZL28rocblas_dot_batched_4_kernelIiLi64ELi4ELb1EddPKdEviT5_lT_lS2_lS3_liPT4_
	.p2align	8
	.type	_ZL28rocblas_dot_batched_4_kernelIiLi64ELi4ELb1EddPKdEviT5_lT_lS2_lS3_liPT4_,@function
_ZL28rocblas_dot_batched_4_kernelIiLi64ELi4ELb1EddPKdEviT5_lT_lS2_lS3_liPT4_: ; @_ZL28rocblas_dot_batched_4_kernelIiLi64ELi4ELb1EddPKdEviT5_lT_lS2_lS3_liPT4_
; %bb.0:
	s_load_dword s0, s[4:5], 0x48
	v_bfe_u32 v1, v0, 10, 10
	v_lshl_add_u32 v2, s6, 2, v1
	s_waitcnt lgkmcnt(0)
	v_cmp_gt_u32_e32 vcc, s0, v2
	s_and_saveexec_b64 s[0:1], vcc
	s_cbranch_execz .LBB623_7
; %bb.1:
	s_load_dword s10, s[4:5], 0x0
	s_load_dwordx2 s[0:1], s[4:5], 0x50
	v_and_b32_e32 v8, 0x3ff, v0
	v_mov_b32_e32 v3, 0
	v_pk_mov_b32 v[0:1], 0, 0
	s_waitcnt lgkmcnt(0)
	v_cmp_gt_i32_e32 vcc, s10, v8
	s_and_saveexec_b64 s[2:3], vcc
	s_cbranch_execz .LBB623_5
; %bb.2:
	s_load_dwordx4 s[12:15], s[4:5], 0x8
	s_load_dword s6, s[4:5], 0x18
	s_load_dword s8, s[4:5], 0x38
	s_load_dwordx4 s[16:19], s[4:5], 0x20
	s_load_dwordx2 s[20:21], s[4:5], 0x30
	s_load_dwordx2 s[22:23], s[4:5], 0x40
	s_waitcnt lgkmcnt(0)
	v_mad_i64_i32 v[0:1], s[4:5], s6, v8, 0
	v_mad_u64_u32 v[4:5], s[4:5], s16, v2, 0
	v_mov_b32_e32 v6, v5
	v_mad_u64_u32 v[6:7], s[4:5], s17, v2, v[6:7]
	v_mov_b32_e32 v5, v6
	s_ashr_i32 s7, s6, 31
	s_ashr_i32 s9, s8, 31
	v_lshlrev_b64 v[0:1], 3, v[0:1]
	v_lshlrev_b64 v[4:5], 3, v[4:5]
	s_lshl_b64 s[4:5], s[14:15], 3
	v_add_co_u32_e32 v0, vcc, v0, v4
	s_add_u32 s4, s12, s4
	v_addc_co_u32_e32 v1, vcc, v1, v5, vcc
	s_addc_u32 s5, s13, s5
	v_mov_b32_e32 v5, s5
	v_add_co_u32_e32 v4, vcc, s4, v0
	s_lshl_b64 s[4:5], s[6:7], 9
	v_mad_u64_u32 v[6:7], s[6:7], s22, v2, 0
	v_mov_b32_e32 v10, v7
	v_mad_u64_u32 v[10:11], s[6:7], s23, v2, v[10:11]
	v_addc_co_u32_e32 v5, vcc, v5, v1, vcc
	v_mad_i64_i32 v[0:1], s[6:7], s8, v8, 0
	v_mov_b32_e32 v7, v10
	v_lshlrev_b64 v[0:1], 3, v[0:1]
	v_lshlrev_b64 v[6:7], 3, v[6:7]
	s_lshl_b64 s[6:7], s[20:21], 3
	v_add_co_u32_e32 v0, vcc, v0, v6
	s_add_u32 s6, s18, s6
	v_addc_co_u32_e32 v1, vcc, v1, v7, vcc
	s_addc_u32 s7, s19, s7
	v_mov_b32_e32 v7, s7
	v_add_co_u32_e32 v6, vcc, s6, v0
	s_lshl_b64 s[8:9], s[8:9], 9
	v_addc_co_u32_e32 v7, vcc, v7, v1, vcc
	s_mov_b64 s[6:7], 0
	v_pk_mov_b32 v[0:1], 0, 0
	v_mov_b32_e32 v9, s5
	v_mov_b32_e32 v10, s9
	v_mov_b32_e32 v11, v8
.LBB623_3:                              ; =>This Inner Loop Header: Depth=1
	global_load_dwordx2 v[12:13], v[4:5], off
	global_load_dwordx2 v[14:15], v[6:7], off
	v_add_co_u32_e32 v4, vcc, s4, v4
	v_addc_co_u32_e32 v5, vcc, v5, v9, vcc
	v_add_co_u32_e32 v6, vcc, s8, v6
	v_add_u32_e32 v11, 64, v11
	v_addc_co_u32_e32 v7, vcc, v7, v10, vcc
	v_cmp_le_i32_e32 vcc, s10, v11
	s_or_b64 s[6:7], vcc, s[6:7]
	s_waitcnt vmcnt(0)
	v_fmac_f64_e32 v[0:1], v[12:13], v[14:15]
	s_andn2_b64 exec, exec, s[6:7]
	s_cbranch_execnz .LBB623_3
; %bb.4:
	s_or_b64 exec, exec, s[6:7]
.LBB623_5:
	s_or_b64 exec, exec, s[2:3]
	v_mbcnt_lo_u32_b32 v4, -1, 0
	v_mbcnt_hi_u32_b32 v6, -1, v4
	v_and_b32_e32 v7, 63, v6
	v_cmp_gt_u32_e32 vcc, 32, v7
	v_cndmask_b32_e64 v4, 0, 1, vcc
	v_lshlrev_b32_e32 v4, 5, v4
	v_add_lshl_u32 v5, v4, v6, 2
	ds_bpermute_b32 v4, v5, v0
	ds_bpermute_b32 v5, v5, v1
	v_cmp_gt_u32_e32 vcc, 48, v7
	v_cndmask_b32_e64 v9, 0, 1, vcc
	v_cmp_gt_u32_e32 vcc, 56, v7
	s_waitcnt lgkmcnt(0)
	v_add_f64 v[0:1], v[0:1], v[4:5]
	v_lshlrev_b32_e32 v4, 4, v9
	v_add_lshl_u32 v5, v4, v6, 2
	ds_bpermute_b32 v4, v5, v0
	ds_bpermute_b32 v5, v5, v1
	s_barrier
	s_waitcnt lgkmcnt(0)
	v_add_f64 v[0:1], v[0:1], v[4:5]
	v_cndmask_b32_e64 v4, 0, 1, vcc
	v_lshlrev_b32_e32 v4, 3, v4
	v_add_lshl_u32 v5, v4, v6, 2
	ds_bpermute_b32 v4, v5, v0
	ds_bpermute_b32 v5, v5, v1
	v_cmp_gt_u32_e32 vcc, 60, v7
	s_waitcnt lgkmcnt(0)
	v_add_f64 v[0:1], v[0:1], v[4:5]
	v_cndmask_b32_e64 v4, 0, 1, vcc
	v_lshlrev_b32_e32 v4, 2, v4
	v_add_lshl_u32 v5, v4, v6, 2
	ds_bpermute_b32 v4, v5, v0
	ds_bpermute_b32 v5, v5, v1
	v_cmp_gt_u32_e32 vcc, 62, v7
	s_waitcnt lgkmcnt(0)
	v_add_f64 v[0:1], v[0:1], v[4:5]
	v_cndmask_b32_e64 v4, 0, 1, vcc
	v_lshlrev_b32_e32 v4, 1, v4
	v_add_lshl_u32 v5, v4, v6, 2
	ds_bpermute_b32 v4, v5, v0
	ds_bpermute_b32 v5, v5, v1
	v_cmp_ne_u32_e32 vcc, 63, v7
	s_waitcnt lgkmcnt(0)
	v_add_f64 v[0:1], v[0:1], v[4:5]
	v_addc_co_u32_e32 v4, vcc, 0, v6, vcc
	v_lshlrev_b32_e32 v5, 2, v4
	ds_bpermute_b32 v4, v5, v0
	ds_bpermute_b32 v5, v5, v1
	v_cmp_eq_u32_e32 vcc, 0, v8
	s_and_b64 exec, exec, vcc
	s_cbranch_execz .LBB623_7
; %bb.6:
	v_lshlrev_b64 v[2:3], 3, v[2:3]
	v_mov_b32_e32 v6, s1
	v_add_co_u32_e32 v2, vcc, s0, v2
	v_addc_co_u32_e32 v3, vcc, v6, v3, vcc
	s_waitcnt lgkmcnt(0)
	v_add_f64 v[0:1], v[0:1], v[4:5]
	global_store_dwordx2 v[2:3], v[0:1], off
.LBB623_7:
	s_endpgm
	.section	.rodata,"a",@progbits
	.p2align	6, 0x0
	.amdhsa_kernel _ZL28rocblas_dot_batched_4_kernelIiLi64ELi4ELb1EddPKdEviT5_lT_lS2_lS3_liPT4_
		.amdhsa_group_segment_fixed_size 0
		.amdhsa_private_segment_fixed_size 0
		.amdhsa_kernarg_size 88
		.amdhsa_user_sgpr_count 6
		.amdhsa_user_sgpr_private_segment_buffer 1
		.amdhsa_user_sgpr_dispatch_ptr 0
		.amdhsa_user_sgpr_queue_ptr 0
		.amdhsa_user_sgpr_kernarg_segment_ptr 1
		.amdhsa_user_sgpr_dispatch_id 0
		.amdhsa_user_sgpr_flat_scratch_init 0
		.amdhsa_user_sgpr_kernarg_preload_length 0
		.amdhsa_user_sgpr_kernarg_preload_offset 0
		.amdhsa_user_sgpr_private_segment_size 0
		.amdhsa_uses_dynamic_stack 0
		.amdhsa_system_sgpr_private_segment_wavefront_offset 0
		.amdhsa_system_sgpr_workgroup_id_x 1
		.amdhsa_system_sgpr_workgroup_id_y 0
		.amdhsa_system_sgpr_workgroup_id_z 0
		.amdhsa_system_sgpr_workgroup_info 0
		.amdhsa_system_vgpr_workitem_id 1
		.amdhsa_next_free_vgpr 16
		.amdhsa_next_free_sgpr 24
		.amdhsa_accum_offset 16
		.amdhsa_reserve_vcc 1
		.amdhsa_reserve_flat_scratch 0
		.amdhsa_float_round_mode_32 0
		.amdhsa_float_round_mode_16_64 0
		.amdhsa_float_denorm_mode_32 3
		.amdhsa_float_denorm_mode_16_64 3
		.amdhsa_dx10_clamp 1
		.amdhsa_ieee_mode 1
		.amdhsa_fp16_overflow 0
		.amdhsa_tg_split 0
		.amdhsa_exception_fp_ieee_invalid_op 0
		.amdhsa_exception_fp_denorm_src 0
		.amdhsa_exception_fp_ieee_div_zero 0
		.amdhsa_exception_fp_ieee_overflow 0
		.amdhsa_exception_fp_ieee_underflow 0
		.amdhsa_exception_fp_ieee_inexact 0
		.amdhsa_exception_int_div_zero 0
	.end_amdhsa_kernel
	.section	.text._ZL28rocblas_dot_batched_4_kernelIiLi64ELi4ELb1EddPKdEviT5_lT_lS2_lS3_liPT4_,"axG",@progbits,_ZL28rocblas_dot_batched_4_kernelIiLi64ELi4ELb1EddPKdEviT5_lT_lS2_lS3_liPT4_,comdat
.Lfunc_end623:
	.size	_ZL28rocblas_dot_batched_4_kernelIiLi64ELi4ELb1EddPKdEviT5_lT_lS2_lS3_liPT4_, .Lfunc_end623-_ZL28rocblas_dot_batched_4_kernelIiLi64ELi4ELb1EddPKdEviT5_lT_lS2_lS3_liPT4_
                                        ; -- End function
	.section	.AMDGPU.csdata,"",@progbits
; Kernel info:
; codeLenInByte = 780
; NumSgprs: 28
; NumVgprs: 16
; NumAgprs: 0
; TotalNumVgprs: 16
; ScratchSize: 0
; MemoryBound: 0
; FloatMode: 240
; IeeeMode: 1
; LDSByteSize: 0 bytes/workgroup (compile time only)
; SGPRBlocks: 3
; VGPRBlocks: 1
; NumSGPRsForWavesPerEU: 28
; NumVGPRsForWavesPerEU: 16
; AccumOffset: 16
; Occupancy: 8
; WaveLimiterHint : 0
; COMPUTE_PGM_RSRC2:SCRATCH_EN: 0
; COMPUTE_PGM_RSRC2:USER_SGPR: 6
; COMPUTE_PGM_RSRC2:TRAP_HANDLER: 0
; COMPUTE_PGM_RSRC2:TGID_X_EN: 1
; COMPUTE_PGM_RSRC2:TGID_Y_EN: 0
; COMPUTE_PGM_RSRC2:TGID_Z_EN: 0
; COMPUTE_PGM_RSRC2:TIDIG_COMP_CNT: 1
; COMPUTE_PGM_RSRC3_GFX90A:ACCUM_OFFSET: 3
; COMPUTE_PGM_RSRC3_GFX90A:TG_SPLIT: 0
	.section	.text._ZL26rocblas_dot_kernel_inc1by2ILb1ELi1024ELi32ELb1EdPKddEviT4_llS2_lliPT5_PT3_,"axG",@progbits,_ZL26rocblas_dot_kernel_inc1by2ILb1ELi1024ELi32ELb1EdPKddEviT4_llS2_lliPT5_PT3_,comdat
	.globl	_ZL26rocblas_dot_kernel_inc1by2ILb1ELi1024ELi32ELb1EdPKddEviT4_llS2_lliPT5_PT3_ ; -- Begin function _ZL26rocblas_dot_kernel_inc1by2ILb1ELi1024ELi32ELb1EdPKddEviT4_llS2_lliPT5_PT3_
	.p2align	8
	.type	_ZL26rocblas_dot_kernel_inc1by2ILb1ELi1024ELi32ELb1EdPKddEviT4_llS2_lliPT5_PT3_,@function
_ZL26rocblas_dot_kernel_inc1by2ILb1ELi1024ELi32ELb1EdPKddEviT4_llS2_lliPT5_PT3_: ; @_ZL26rocblas_dot_kernel_inc1by2ILb1ELi1024ELi32ELb1EdPKddEviT4_llS2_lliPT5_PT3_
; %bb.0:
	s_mov_b32 s2, s7
	s_load_dword s10, s[4:5], 0x0
	s_load_dwordx2 s[6:7], s[4:5], 0x48
	s_mov_b32 s3, 0
	v_pk_mov_b32 v[2:3], 0, 0
	s_waitcnt lgkmcnt(0)
	v_cmp_gt_i32_e32 vcc, s10, v0
	s_and_saveexec_b64 s[8:9], vcc
	s_cbranch_execz .LBB624_4
; %bb.1:
	s_load_dwordx4 s[12:15], s[4:5], 0x28
	s_load_dwordx2 s[0:1], s[4:5], 0x20
	s_load_dwordx2 s[20:21], s[4:5], 0x8
	s_load_dwordx4 s[16:19], s[4:5], 0x10
	v_lshlrev_b32_e32 v2, 3, v0
	s_waitcnt lgkmcnt(0)
	s_mul_i32 s4, s15, s2
	s_mul_hi_u32 s5, s14, s2
	s_add_i32 s5, s5, s4
	s_mul_i32 s4, s14, s2
	s_lshl_b64 s[4:5], s[4:5], 3
	s_lshl_b64 s[12:13], s[12:13], 3
	s_add_u32 s4, s4, s12
	s_addc_u32 s5, s5, s13
	s_add_u32 s0, s0, s4
	s_addc_u32 s1, s1, s5
	v_mov_b32_e32 v3, s1
	v_add_co_u32_e32 v4, vcc, s0, v2
	s_mul_i32 s0, s19, s2
	s_mul_hi_u32 s1, s18, s2
	s_add_i32 s1, s1, s0
	s_mul_i32 s0, s18, s2
	s_lshl_b64 s[0:1], s[0:1], 3
	s_lshl_b64 s[4:5], s[16:17], 3
	s_add_u32 s0, s0, s4
	s_addc_u32 s1, s1, s5
	s_add_u32 s0, s20, s0
	v_addc_co_u32_e32 v5, vcc, 0, v3, vcc
	s_addc_u32 s1, s21, s1
	v_mov_b32_e32 v3, s1
	v_add_co_u32_e32 v6, vcc, s0, v2
	v_or_b32_e32 v1, 0x400, v0
	v_addc_co_u32_e32 v7, vcc, 0, v3, vcc
	s_mov_b64 s[4:5], 0
	v_pk_mov_b32 v[2:3], 0, 0
	s_mov_b32 s11, s3
.LBB624_2:                              ; =>This Inner Loop Header: Depth=1
	global_load_dwordx2 v[8:9], v[4:5], off
	global_load_dwordx2 v[10:11], v[6:7], off
	s_add_i32 s12, s11, 1
	s_cmp_gt_u32 s11, 30
	v_cmp_le_i32_e64 s[0:1], s10, v1
	v_add_co_u32_e32 v4, vcc, 0x2000, v4
	s_mov_b32 s11, s12
	s_cselect_b64 s[12:13], -1, 0
	v_addc_co_u32_e32 v5, vcc, 0, v5, vcc
	s_or_b64 s[0:1], s[12:13], s[0:1]
	v_add_co_u32_e32 v6, vcc, 0x2000, v6
	s_and_b64 s[0:1], exec, s[0:1]
	v_add_u32_e32 v1, 0x400, v1
	v_addc_co_u32_e32 v7, vcc, 0, v7, vcc
	s_or_b64 s[4:5], s[0:1], s[4:5]
	s_waitcnt vmcnt(0)
	v_fmac_f64_e32 v[2:3], v[8:9], v[10:11]
	s_andn2_b64 exec, exec, s[4:5]
	s_cbranch_execnz .LBB624_2
; %bb.3:
	s_or_b64 exec, exec, s[4:5]
.LBB624_4:
	s_or_b64 exec, exec, s[8:9]
	v_and_b32_e32 v6, 63, v0
	v_cmp_gt_u32_e32 vcc, 64, v0
	v_lshlrev_b32_e32 v1, 3, v6
	s_and_saveexec_b64 s[0:1], vcc
	s_cbranch_execz .LBB624_6
; %bb.5:
	v_mov_b32_e32 v4, 0
	v_mov_b32_e32 v5, v4
	ds_write_b64 v1, v[4:5]
.LBB624_6:
	s_or_b64 exec, exec, s[0:1]
	v_mbcnt_lo_u32_b32 v4, -1, 0
	v_mbcnt_hi_u32_b32 v10, -1, v4
	v_and_b32_e32 v11, 63, v10
	v_cmp_gt_u32_e64 s[0:1], 32, v11
	v_cndmask_b32_e64 v4, 0, 1, s[0:1]
	v_lshlrev_b32_e32 v4, 5, v4
	v_add_lshl_u32 v5, v4, v10, 2
	ds_bpermute_b32 v4, v5, v2
	ds_bpermute_b32 v5, v5, v3
	v_cmp_gt_u32_e64 s[0:1], 48, v11
	v_cndmask_b32_e64 v7, 0, 1, s[0:1]
	v_cmp_gt_u32_e64 s[0:1], 56, v11
	s_waitcnt lgkmcnt(0)
	v_add_f64 v[2:3], v[2:3], v[4:5]
	v_lshlrev_b32_e32 v4, 4, v7
	v_add_lshl_u32 v5, v4, v10, 2
	ds_bpermute_b32 v4, v5, v2
	ds_bpermute_b32 v5, v5, v3
	s_barrier
	s_waitcnt lgkmcnt(0)
	v_add_f64 v[2:3], v[2:3], v[4:5]
	v_cndmask_b32_e64 v4, 0, 1, s[0:1]
	v_lshlrev_b32_e32 v4, 3, v4
	v_add_lshl_u32 v7, v4, v10, 2
	ds_bpermute_b32 v4, v7, v2
	ds_bpermute_b32 v5, v7, v3
	v_cmp_gt_u32_e64 s[0:1], 60, v11
	s_waitcnt lgkmcnt(0)
	v_add_f64 v[2:3], v[2:3], v[4:5]
	v_cndmask_b32_e64 v4, 0, 1, s[0:1]
	v_lshlrev_b32_e32 v4, 2, v4
	v_add_lshl_u32 v8, v4, v10, 2
	ds_bpermute_b32 v4, v8, v2
	ds_bpermute_b32 v5, v8, v3
	v_cmp_gt_u32_e64 s[0:1], 62, v11
	s_waitcnt lgkmcnt(0)
	v_add_f64 v[2:3], v[2:3], v[4:5]
	v_cndmask_b32_e64 v4, 0, 1, s[0:1]
	v_lshlrev_b32_e32 v4, 1, v4
	v_add_lshl_u32 v9, v4, v10, 2
	ds_bpermute_b32 v4, v9, v2
	ds_bpermute_b32 v5, v9, v3
	v_cmp_ne_u32_e64 s[0:1], 63, v11
	s_waitcnt lgkmcnt(0)
	v_add_f64 v[2:3], v[2:3], v[4:5]
	v_addc_co_u32_e64 v4, s[0:1], 0, v10, s[0:1]
	v_lshlrev_b32_e32 v10, 2, v4
	ds_bpermute_b32 v4, v10, v2
	ds_bpermute_b32 v5, v10, v3
	v_cmp_eq_u32_e64 s[0:1], 0, v6
	s_and_saveexec_b64 s[4:5], s[0:1]
	s_cbranch_execz .LBB624_8
; %bb.7:
	s_waitcnt lgkmcnt(0)
	v_add_f64 v[2:3], v[2:3], v[4:5]
	v_lshrrev_b32_e32 v4, 3, v0
	v_and_b32_e32 v4, 0x78, v4
	ds_write_b64 v4, v[2:3]
.LBB624_8:
	s_or_b64 exec, exec, s[4:5]
	v_cmp_gt_u32_e64 s[0:1], 16, v0
	v_pk_mov_b32 v[2:3], 0, 0
	s_waitcnt lgkmcnt(0)
	s_barrier
	s_and_saveexec_b64 s[4:5], s[0:1]
	s_cbranch_execnz .LBB624_12
; %bb.9:
	s_or_b64 exec, exec, s[4:5]
	s_and_saveexec_b64 s[0:1], vcc
	s_cbranch_execnz .LBB624_13
.LBB624_10:
	s_or_b64 exec, exec, s[0:1]
	v_cmp_eq_u32_e32 vcc, 0, v0
	s_and_saveexec_b64 s[0:1], vcc
	s_cbranch_execnz .LBB624_14
.LBB624_11:
	s_endpgm
.LBB624_12:
	ds_read_b64 v[2:3], v1
	s_or_b64 exec, exec, s[4:5]
	s_and_saveexec_b64 s[0:1], vcc
	s_cbranch_execz .LBB624_10
.LBB624_13:
	s_waitcnt lgkmcnt(0)
	ds_bpermute_b32 v4, v7, v2
	ds_bpermute_b32 v5, v7, v3
	s_waitcnt lgkmcnt(0)
	v_add_f64 v[2:3], v[2:3], v[4:5]
	ds_bpermute_b32 v4, v8, v2
	ds_bpermute_b32 v5, v8, v3
	s_waitcnt lgkmcnt(0)
	v_add_f64 v[2:3], v[2:3], v[4:5]
	;; [unrolled: 4-line block ×4, first 2 shown]
	s_or_b64 exec, exec, s[0:1]
	v_cmp_eq_u32_e32 vcc, 0, v0
	s_and_saveexec_b64 s[0:1], vcc
	s_cbranch_execz .LBB624_11
.LBB624_14:
	s_lshl_b64 s[0:1], s[2:3], 3
	s_add_u32 s0, s6, s0
	s_addc_u32 s1, s7, s1
	v_mov_b32_e32 v0, 0
	s_waitcnt lgkmcnt(0)
	global_store_dwordx2 v0, v[2:3], s[0:1]
	s_endpgm
	.section	.rodata,"a",@progbits
	.p2align	6, 0x0
	.amdhsa_kernel _ZL26rocblas_dot_kernel_inc1by2ILb1ELi1024ELi32ELb1EdPKddEviT4_llS2_lliPT5_PT3_
		.amdhsa_group_segment_fixed_size 512
		.amdhsa_private_segment_fixed_size 0
		.amdhsa_kernarg_size 80
		.amdhsa_user_sgpr_count 6
		.amdhsa_user_sgpr_private_segment_buffer 1
		.amdhsa_user_sgpr_dispatch_ptr 0
		.amdhsa_user_sgpr_queue_ptr 0
		.amdhsa_user_sgpr_kernarg_segment_ptr 1
		.amdhsa_user_sgpr_dispatch_id 0
		.amdhsa_user_sgpr_flat_scratch_init 0
		.amdhsa_user_sgpr_kernarg_preload_length 0
		.amdhsa_user_sgpr_kernarg_preload_offset 0
		.amdhsa_user_sgpr_private_segment_size 0
		.amdhsa_uses_dynamic_stack 0
		.amdhsa_system_sgpr_private_segment_wavefront_offset 0
		.amdhsa_system_sgpr_workgroup_id_x 1
		.amdhsa_system_sgpr_workgroup_id_y 0
		.amdhsa_system_sgpr_workgroup_id_z 1
		.amdhsa_system_sgpr_workgroup_info 0
		.amdhsa_system_vgpr_workitem_id 0
		.amdhsa_next_free_vgpr 12
		.amdhsa_next_free_sgpr 22
		.amdhsa_accum_offset 12
		.amdhsa_reserve_vcc 1
		.amdhsa_reserve_flat_scratch 0
		.amdhsa_float_round_mode_32 0
		.amdhsa_float_round_mode_16_64 0
		.amdhsa_float_denorm_mode_32 3
		.amdhsa_float_denorm_mode_16_64 3
		.amdhsa_dx10_clamp 1
		.amdhsa_ieee_mode 1
		.amdhsa_fp16_overflow 0
		.amdhsa_tg_split 0
		.amdhsa_exception_fp_ieee_invalid_op 0
		.amdhsa_exception_fp_denorm_src 0
		.amdhsa_exception_fp_ieee_div_zero 0
		.amdhsa_exception_fp_ieee_overflow 0
		.amdhsa_exception_fp_ieee_underflow 0
		.amdhsa_exception_fp_ieee_inexact 0
		.amdhsa_exception_int_div_zero 0
	.end_amdhsa_kernel
	.section	.text._ZL26rocblas_dot_kernel_inc1by2ILb1ELi1024ELi32ELb1EdPKddEviT4_llS2_lliPT5_PT3_,"axG",@progbits,_ZL26rocblas_dot_kernel_inc1by2ILb1ELi1024ELi32ELb1EdPKddEviT4_llS2_lliPT5_PT3_,comdat
.Lfunc_end624:
	.size	_ZL26rocblas_dot_kernel_inc1by2ILb1ELi1024ELi32ELb1EdPKddEviT4_llS2_lliPT5_PT3_, .Lfunc_end624-_ZL26rocblas_dot_kernel_inc1by2ILb1ELi1024ELi32ELb1EdPKddEviT4_llS2_lliPT5_PT3_
                                        ; -- End function
	.section	.AMDGPU.csdata,"",@progbits
; Kernel info:
; codeLenInByte = 1004
; NumSgprs: 26
; NumVgprs: 12
; NumAgprs: 0
; TotalNumVgprs: 12
; ScratchSize: 0
; MemoryBound: 0
; FloatMode: 240
; IeeeMode: 1
; LDSByteSize: 512 bytes/workgroup (compile time only)
; SGPRBlocks: 3
; VGPRBlocks: 1
; NumSGPRsForWavesPerEU: 26
; NumVGPRsForWavesPerEU: 12
; AccumOffset: 12
; Occupancy: 8
; WaveLimiterHint : 0
; COMPUTE_PGM_RSRC2:SCRATCH_EN: 0
; COMPUTE_PGM_RSRC2:USER_SGPR: 6
; COMPUTE_PGM_RSRC2:TRAP_HANDLER: 0
; COMPUTE_PGM_RSRC2:TGID_X_EN: 1
; COMPUTE_PGM_RSRC2:TGID_Y_EN: 0
; COMPUTE_PGM_RSRC2:TGID_Z_EN: 1
; COMPUTE_PGM_RSRC2:TIDIG_COMP_CNT: 0
; COMPUTE_PGM_RSRC3_GFX90A:ACCUM_OFFSET: 2
; COMPUTE_PGM_RSRC3_GFX90A:TG_SPLIT: 0
	.section	.text._ZL18rocblas_dot_kernelIiLb1ELi1024ELi32ELb1EdPKddEviT5_lT_lS2_lS3_liPT6_PT4_,"axG",@progbits,_ZL18rocblas_dot_kernelIiLb1ELi1024ELi32ELb1EdPKddEviT5_lT_lS2_lS3_liPT6_PT4_,comdat
	.globl	_ZL18rocblas_dot_kernelIiLb1ELi1024ELi32ELb1EdPKddEviT5_lT_lS2_lS3_liPT6_PT4_ ; -- Begin function _ZL18rocblas_dot_kernelIiLb1ELi1024ELi32ELb1EdPKddEviT5_lT_lS2_lS3_liPT6_PT4_
	.p2align	8
	.type	_ZL18rocblas_dot_kernelIiLb1ELi1024ELi32ELb1EdPKddEviT5_lT_lS2_lS3_liPT6_PT4_,@function
_ZL18rocblas_dot_kernelIiLb1ELi1024ELi32ELb1EdPKddEviT5_lT_lS2_lS3_liPT6_PT4_: ; @_ZL18rocblas_dot_kernelIiLb1ELi1024ELi32ELb1EdPKddEviT5_lT_lS2_lS3_liPT6_PT4_
; %bb.0:
	s_load_dword s14, s[4:5], 0x0
	s_load_dwordx2 s[8:9], s[4:5], 0x58
	s_mov_b32 s6, s7
	s_mov_b32 s7, 0
	v_pk_mov_b32 v[2:3], 0, 0
	s_waitcnt lgkmcnt(0)
	v_cmp_gt_i32_e32 vcc, s14, v0
	s_and_saveexec_b64 s[10:11], vcc
	s_cbranch_execz .LBB625_4
; %bb.1:
	s_load_dword s22, s[4:5], 0x38
	s_load_dwordx2 s[12:13], s[4:5], 0x40
	s_load_dword s15, s[4:5], 0x60
	s_load_dwordx4 s[0:3], s[4:5], 0x20
	s_load_dwordx4 s[16:19], s[4:5], 0x8
	s_load_dword s23, s[4:5], 0x18
	s_load_dwordx2 s[20:21], s[4:5], 0x30
	s_waitcnt lgkmcnt(0)
	s_lshl_b32 s15, s15, 10
	s_mul_i32 s1, s1, s6
	s_mul_hi_u32 s4, s0, s6
	s_add_i32 s1, s4, s1
	s_mul_i32 s0, s0, s6
	v_mad_i64_i32 v[2:3], s[4:5], s23, v0, 0
	s_lshl_b64 s[0:1], s[0:1], 3
	s_lshl_b64 s[4:5], s[18:19], 3
	s_add_u32 s4, s16, s4
	s_addc_u32 s5, s17, s5
	s_add_u32 s0, s4, s0
	v_lshlrev_b64 v[2:3], 3, v[2:3]
	s_addc_u32 s1, s5, s1
	v_mov_b32_e32 v5, s1
	v_add_co_u32_e32 v4, vcc, s0, v2
	s_mul_hi_i32 s1, s23, s15
	s_mul_i32 s0, s23, s15
	s_lshl_b64 s[4:5], s[0:1], 3
	s_mul_i32 s0, s13, s6
	s_mul_hi_u32 s1, s12, s6
	v_addc_co_u32_e32 v5, vcc, v5, v3, vcc
	s_add_i32 s1, s1, s0
	s_mul_i32 s0, s12, s6
	v_mad_i64_i32 v[2:3], s[12:13], s22, v0, 0
	s_lshl_b64 s[0:1], s[0:1], 3
	s_lshl_b64 s[12:13], s[20:21], 3
	s_add_u32 s2, s2, s12
	s_addc_u32 s3, s3, s13
	s_add_u32 s0, s2, s0
	v_lshlrev_b64 v[2:3], 3, v[2:3]
	s_addc_u32 s1, s3, s1
	v_mov_b32_e32 v7, s1
	v_add_co_u32_e32 v6, vcc, s0, v2
	s_mul_hi_i32 s1, s22, s15
	s_mul_i32 s0, s22, s15
	s_lshl_b64 s[12:13], s[0:1], 3
	v_or_b32_e32 v1, s15, v0
	v_addc_co_u32_e32 v7, vcc, v7, v3, vcc
	s_mov_b64 s[2:3], 0
	v_pk_mov_b32 v[2:3], 0, 0
	v_mov_b32_e32 v8, s5
	v_mov_b32_e32 v9, s13
	s_mov_b32 s5, s7
.LBB625_2:                              ; =>This Inner Loop Header: Depth=1
	global_load_dwordx2 v[10:11], v[6:7], off
	global_load_dwordx2 v[12:13], v[4:5], off
	v_add_co_u32_e64 v4, s[0:1], s4, v4
	v_addc_co_u32_e64 v5, s[0:1], v5, v8, s[0:1]
	s_add_i32 s13, s5, 1
	v_add_co_u32_e64 v6, s[0:1], s12, v6
	v_addc_co_u32_e64 v7, s[0:1], v7, v9, s[0:1]
	s_cmp_gt_u32 s5, 30
	v_cmp_le_i32_e32 vcc, s14, v1
	s_cselect_b64 s[0:1], -1, 0
	s_or_b64 s[0:1], s[0:1], vcc
	s_and_b64 s[0:1], exec, s[0:1]
	v_add_u32_e32 v1, s15, v1
	s_mov_b32 s5, s13
	s_or_b64 s[2:3], s[0:1], s[2:3]
	s_waitcnt vmcnt(0)
	v_fmac_f64_e32 v[2:3], v[10:11], v[12:13]
	s_andn2_b64 exec, exec, s[2:3]
	s_cbranch_execnz .LBB625_2
; %bb.3:
	s_or_b64 exec, exec, s[2:3]
.LBB625_4:
	s_or_b64 exec, exec, s[10:11]
	v_and_b32_e32 v6, 63, v0
	v_cmp_gt_u32_e32 vcc, 64, v0
	v_lshlrev_b32_e32 v1, 3, v6
	s_and_saveexec_b64 s[0:1], vcc
	s_cbranch_execz .LBB625_6
; %bb.5:
	v_mov_b32_e32 v4, 0
	v_mov_b32_e32 v5, v4
	ds_write_b64 v1, v[4:5]
.LBB625_6:
	s_or_b64 exec, exec, s[0:1]
	v_mbcnt_lo_u32_b32 v4, -1, 0
	v_mbcnt_hi_u32_b32 v10, -1, v4
	v_and_b32_e32 v11, 63, v10
	v_cmp_gt_u32_e64 s[0:1], 32, v11
	v_cndmask_b32_e64 v4, 0, 1, s[0:1]
	v_lshlrev_b32_e32 v4, 5, v4
	v_add_lshl_u32 v5, v4, v10, 2
	ds_bpermute_b32 v4, v5, v2
	ds_bpermute_b32 v5, v5, v3
	v_cmp_gt_u32_e64 s[0:1], 48, v11
	v_cndmask_b32_e64 v7, 0, 1, s[0:1]
	v_cmp_gt_u32_e64 s[0:1], 56, v11
	s_waitcnt lgkmcnt(0)
	v_add_f64 v[2:3], v[2:3], v[4:5]
	v_lshlrev_b32_e32 v4, 4, v7
	v_add_lshl_u32 v5, v4, v10, 2
	ds_bpermute_b32 v4, v5, v2
	ds_bpermute_b32 v5, v5, v3
	s_barrier
	s_waitcnt lgkmcnt(0)
	v_add_f64 v[2:3], v[2:3], v[4:5]
	v_cndmask_b32_e64 v4, 0, 1, s[0:1]
	v_lshlrev_b32_e32 v4, 3, v4
	v_add_lshl_u32 v7, v4, v10, 2
	ds_bpermute_b32 v4, v7, v2
	ds_bpermute_b32 v5, v7, v3
	v_cmp_gt_u32_e64 s[0:1], 60, v11
	s_waitcnt lgkmcnt(0)
	v_add_f64 v[2:3], v[2:3], v[4:5]
	v_cndmask_b32_e64 v4, 0, 1, s[0:1]
	v_lshlrev_b32_e32 v4, 2, v4
	v_add_lshl_u32 v8, v4, v10, 2
	ds_bpermute_b32 v4, v8, v2
	ds_bpermute_b32 v5, v8, v3
	v_cmp_gt_u32_e64 s[0:1], 62, v11
	s_waitcnt lgkmcnt(0)
	v_add_f64 v[2:3], v[2:3], v[4:5]
	v_cndmask_b32_e64 v4, 0, 1, s[0:1]
	v_lshlrev_b32_e32 v4, 1, v4
	v_add_lshl_u32 v9, v4, v10, 2
	ds_bpermute_b32 v4, v9, v2
	ds_bpermute_b32 v5, v9, v3
	v_cmp_ne_u32_e64 s[0:1], 63, v11
	s_waitcnt lgkmcnt(0)
	v_add_f64 v[2:3], v[2:3], v[4:5]
	v_addc_co_u32_e64 v4, s[0:1], 0, v10, s[0:1]
	v_lshlrev_b32_e32 v10, 2, v4
	ds_bpermute_b32 v4, v10, v2
	ds_bpermute_b32 v5, v10, v3
	v_cmp_eq_u32_e64 s[0:1], 0, v6
	s_and_saveexec_b64 s[2:3], s[0:1]
	s_cbranch_execz .LBB625_8
; %bb.7:
	s_waitcnt lgkmcnt(0)
	v_add_f64 v[2:3], v[2:3], v[4:5]
	v_lshrrev_b32_e32 v4, 3, v0
	v_and_b32_e32 v4, 0x78, v4
	ds_write_b64 v4, v[2:3]
.LBB625_8:
	s_or_b64 exec, exec, s[2:3]
	v_cmp_gt_u32_e64 s[0:1], 16, v0
	v_pk_mov_b32 v[2:3], 0, 0
	s_waitcnt lgkmcnt(0)
	s_barrier
	s_and_saveexec_b64 s[2:3], s[0:1]
	s_cbranch_execnz .LBB625_12
; %bb.9:
	s_or_b64 exec, exec, s[2:3]
	s_and_saveexec_b64 s[0:1], vcc
	s_cbranch_execnz .LBB625_13
.LBB625_10:
	s_or_b64 exec, exec, s[0:1]
	v_cmp_eq_u32_e32 vcc, 0, v0
	s_and_saveexec_b64 s[0:1], vcc
	s_cbranch_execnz .LBB625_14
.LBB625_11:
	s_endpgm
.LBB625_12:
	ds_read_b64 v[2:3], v1
	s_or_b64 exec, exec, s[2:3]
	s_and_saveexec_b64 s[0:1], vcc
	s_cbranch_execz .LBB625_10
.LBB625_13:
	s_waitcnt lgkmcnt(0)
	ds_bpermute_b32 v4, v7, v2
	ds_bpermute_b32 v5, v7, v3
	s_waitcnt lgkmcnt(0)
	v_add_f64 v[2:3], v[2:3], v[4:5]
	ds_bpermute_b32 v4, v8, v2
	ds_bpermute_b32 v5, v8, v3
	s_waitcnt lgkmcnt(0)
	v_add_f64 v[2:3], v[2:3], v[4:5]
	;; [unrolled: 4-line block ×4, first 2 shown]
	s_or_b64 exec, exec, s[0:1]
	v_cmp_eq_u32_e32 vcc, 0, v0
	s_and_saveexec_b64 s[0:1], vcc
	s_cbranch_execz .LBB625_11
.LBB625_14:
	s_lshl_b64 s[0:1], s[6:7], 3
	s_add_u32 s0, s8, s0
	s_addc_u32 s1, s9, s1
	v_mov_b32_e32 v0, 0
	s_waitcnt lgkmcnt(0)
	global_store_dwordx2 v0, v[2:3], s[0:1]
	s_endpgm
	.section	.rodata,"a",@progbits
	.p2align	6, 0x0
	.amdhsa_kernel _ZL18rocblas_dot_kernelIiLb1ELi1024ELi32ELb1EdPKddEviT5_lT_lS2_lS3_liPT6_PT4_
		.amdhsa_group_segment_fixed_size 512
		.amdhsa_private_segment_fixed_size 0
		.amdhsa_kernarg_size 352
		.amdhsa_user_sgpr_count 6
		.amdhsa_user_sgpr_private_segment_buffer 1
		.amdhsa_user_sgpr_dispatch_ptr 0
		.amdhsa_user_sgpr_queue_ptr 0
		.amdhsa_user_sgpr_kernarg_segment_ptr 1
		.amdhsa_user_sgpr_dispatch_id 0
		.amdhsa_user_sgpr_flat_scratch_init 0
		.amdhsa_user_sgpr_kernarg_preload_length 0
		.amdhsa_user_sgpr_kernarg_preload_offset 0
		.amdhsa_user_sgpr_private_segment_size 0
		.amdhsa_uses_dynamic_stack 0
		.amdhsa_system_sgpr_private_segment_wavefront_offset 0
		.amdhsa_system_sgpr_workgroup_id_x 1
		.amdhsa_system_sgpr_workgroup_id_y 0
		.amdhsa_system_sgpr_workgroup_id_z 1
		.amdhsa_system_sgpr_workgroup_info 0
		.amdhsa_system_vgpr_workitem_id 0
		.amdhsa_next_free_vgpr 14
		.amdhsa_next_free_sgpr 24
		.amdhsa_accum_offset 16
		.amdhsa_reserve_vcc 1
		.amdhsa_reserve_flat_scratch 0
		.amdhsa_float_round_mode_32 0
		.amdhsa_float_round_mode_16_64 0
		.amdhsa_float_denorm_mode_32 3
		.amdhsa_float_denorm_mode_16_64 3
		.amdhsa_dx10_clamp 1
		.amdhsa_ieee_mode 1
		.amdhsa_fp16_overflow 0
		.amdhsa_tg_split 0
		.amdhsa_exception_fp_ieee_invalid_op 0
		.amdhsa_exception_fp_denorm_src 0
		.amdhsa_exception_fp_ieee_div_zero 0
		.amdhsa_exception_fp_ieee_overflow 0
		.amdhsa_exception_fp_ieee_underflow 0
		.amdhsa_exception_fp_ieee_inexact 0
		.amdhsa_exception_int_div_zero 0
	.end_amdhsa_kernel
	.section	.text._ZL18rocblas_dot_kernelIiLb1ELi1024ELi32ELb1EdPKddEviT5_lT_lS2_lS3_liPT6_PT4_,"axG",@progbits,_ZL18rocblas_dot_kernelIiLb1ELi1024ELi32ELb1EdPKddEviT5_lT_lS2_lS3_liPT6_PT4_,comdat
.Lfunc_end625:
	.size	_ZL18rocblas_dot_kernelIiLb1ELi1024ELi32ELb1EdPKddEviT5_lT_lS2_lS3_liPT6_PT4_, .Lfunc_end625-_ZL18rocblas_dot_kernelIiLb1ELi1024ELi32ELb1EdPKddEviT5_lT_lS2_lS3_liPT6_PT4_
                                        ; -- End function
	.section	.AMDGPU.csdata,"",@progbits
; Kernel info:
; codeLenInByte = 1088
; NumSgprs: 28
; NumVgprs: 14
; NumAgprs: 0
; TotalNumVgprs: 14
; ScratchSize: 0
; MemoryBound: 0
; FloatMode: 240
; IeeeMode: 1
; LDSByteSize: 512 bytes/workgroup (compile time only)
; SGPRBlocks: 3
; VGPRBlocks: 1
; NumSGPRsForWavesPerEU: 28
; NumVGPRsForWavesPerEU: 14
; AccumOffset: 16
; Occupancy: 8
; WaveLimiterHint : 0
; COMPUTE_PGM_RSRC2:SCRATCH_EN: 0
; COMPUTE_PGM_RSRC2:USER_SGPR: 6
; COMPUTE_PGM_RSRC2:TRAP_HANDLER: 0
; COMPUTE_PGM_RSRC2:TGID_X_EN: 1
; COMPUTE_PGM_RSRC2:TGID_Y_EN: 0
; COMPUTE_PGM_RSRC2:TGID_Z_EN: 1
; COMPUTE_PGM_RSRC2:TIDIG_COMP_CNT: 0
; COMPUTE_PGM_RSRC3_GFX90A:ACCUM_OFFSET: 3
; COMPUTE_PGM_RSRC3_GFX90A:TG_SPLIT: 0
	.section	.text._ZL24rocblas_dot_kernel_magsqIiLb1ELi1024ELi32ELb1EdPKddEviT5_lT_liPT6_PT4_,"axG",@progbits,_ZL24rocblas_dot_kernel_magsqIiLb1ELi1024ELi32ELb1EdPKddEviT5_lT_liPT6_PT4_,comdat
	.globl	_ZL24rocblas_dot_kernel_magsqIiLb1ELi1024ELi32ELb1EdPKddEviT5_lT_liPT6_PT4_ ; -- Begin function _ZL24rocblas_dot_kernel_magsqIiLb1ELi1024ELi32ELb1EdPKddEviT5_lT_liPT6_PT4_
	.p2align	8
	.type	_ZL24rocblas_dot_kernel_magsqIiLb1ELi1024ELi32ELb1EdPKddEviT5_lT_liPT6_PT4_,@function
_ZL24rocblas_dot_kernel_magsqIiLb1ELi1024ELi32ELb1EdPKddEviT5_lT_liPT6_PT4_: ; @_ZL24rocblas_dot_kernel_magsqIiLb1ELi1024ELi32ELb1EdPKddEviT5_lT_liPT6_PT4_
; %bb.0:
	s_mov_b32 s2, s7
	s_load_dword s12, s[4:5], 0x0
	s_load_dwordx2 s[6:7], s[4:5], 0x38
	s_mov_b32 s3, 0
	v_pk_mov_b32 v[2:3], 0, 0
	s_waitcnt lgkmcnt(0)
	v_cmp_gt_i32_e32 vcc, s12, v0
	s_and_saveexec_b64 s[8:9], vcc
	s_cbranch_execz .LBB626_4
; %bb.1:
	s_load_dword s10, s[4:5], 0x40
	s_load_dwordx2 s[0:1], s[4:5], 0x20
	s_load_dwordx4 s[16:19], s[4:5], 0x8
	s_load_dword s11, s[4:5], 0x18
	s_waitcnt lgkmcnt(0)
	s_lshl_b32 s13, s10, 10
	s_mul_i32 s1, s1, s2
	s_mul_hi_u32 s4, s0, s2
	s_add_i32 s1, s4, s1
	s_mul_i32 s0, s0, s2
	v_mad_i64_i32 v[2:3], s[4:5], s11, v0, 0
	s_lshl_b64 s[0:1], s[0:1], 3
	s_lshl_b64 s[4:5], s[18:19], 3
	s_add_u32 s4, s16, s4
	s_addc_u32 s5, s17, s5
	s_add_u32 s0, s4, s0
	v_lshlrev_b64 v[2:3], 3, v[2:3]
	s_addc_u32 s1, s5, s1
	v_mov_b32_e32 v5, s1
	v_add_co_u32_e32 v4, vcc, s0, v2
	s_mul_hi_i32 s1, s11, s13
	s_mul_i32 s0, s11, s13
	s_lshl_b64 s[10:11], s[0:1], 3
	v_or_b32_e32 v1, s13, v0
	v_addc_co_u32_e32 v5, vcc, v5, v3, vcc
	s_mov_b64 s[4:5], 0
	v_pk_mov_b32 v[2:3], 0, 0
	v_mov_b32_e32 v6, s11
	s_mov_b32 s11, s3
.LBB626_2:                              ; =>This Inner Loop Header: Depth=1
	global_load_dwordx2 v[8:9], v[4:5], off
	s_add_i32 s14, s11, 1
	v_add_co_u32_e64 v4, s[0:1], s10, v4
	v_addc_co_u32_e64 v5, s[0:1], v5, v6, s[0:1]
	s_cmp_gt_u32 s11, 30
	v_cmp_le_i32_e32 vcc, s12, v1
	s_cselect_b64 s[0:1], -1, 0
	s_or_b64 s[0:1], s[0:1], vcc
	s_and_b64 s[0:1], exec, s[0:1]
	v_add_u32_e32 v1, s13, v1
	s_mov_b32 s11, s14
	s_or_b64 s[4:5], s[0:1], s[4:5]
	s_waitcnt vmcnt(0)
	v_fmac_f64_e32 v[2:3], v[8:9], v[8:9]
	s_andn2_b64 exec, exec, s[4:5]
	s_cbranch_execnz .LBB626_2
; %bb.3:
	s_or_b64 exec, exec, s[4:5]
.LBB626_4:
	s_or_b64 exec, exec, s[8:9]
	v_and_b32_e32 v6, 63, v0
	v_cmp_gt_u32_e32 vcc, 64, v0
	v_lshlrev_b32_e32 v1, 3, v6
	s_and_saveexec_b64 s[0:1], vcc
	s_cbranch_execz .LBB626_6
; %bb.5:
	v_mov_b32_e32 v4, 0
	v_mov_b32_e32 v5, v4
	ds_write_b64 v1, v[4:5]
.LBB626_6:
	s_or_b64 exec, exec, s[0:1]
	v_mbcnt_lo_u32_b32 v4, -1, 0
	v_mbcnt_hi_u32_b32 v10, -1, v4
	v_and_b32_e32 v11, 63, v10
	v_cmp_gt_u32_e64 s[0:1], 32, v11
	v_cndmask_b32_e64 v4, 0, 1, s[0:1]
	v_lshlrev_b32_e32 v4, 5, v4
	v_add_lshl_u32 v5, v4, v10, 2
	ds_bpermute_b32 v4, v5, v2
	ds_bpermute_b32 v5, v5, v3
	v_cmp_gt_u32_e64 s[0:1], 48, v11
	v_cndmask_b32_e64 v7, 0, 1, s[0:1]
	v_cmp_gt_u32_e64 s[0:1], 56, v11
	s_waitcnt lgkmcnt(0)
	v_add_f64 v[2:3], v[2:3], v[4:5]
	v_lshlrev_b32_e32 v4, 4, v7
	v_add_lshl_u32 v5, v4, v10, 2
	ds_bpermute_b32 v4, v5, v2
	ds_bpermute_b32 v5, v5, v3
	s_barrier
	s_waitcnt lgkmcnt(0)
	v_add_f64 v[2:3], v[2:3], v[4:5]
	v_cndmask_b32_e64 v4, 0, 1, s[0:1]
	v_lshlrev_b32_e32 v4, 3, v4
	v_add_lshl_u32 v7, v4, v10, 2
	ds_bpermute_b32 v4, v7, v2
	ds_bpermute_b32 v5, v7, v3
	v_cmp_gt_u32_e64 s[0:1], 60, v11
	s_waitcnt lgkmcnt(0)
	v_add_f64 v[2:3], v[2:3], v[4:5]
	v_cndmask_b32_e64 v4, 0, 1, s[0:1]
	v_lshlrev_b32_e32 v4, 2, v4
	v_add_lshl_u32 v8, v4, v10, 2
	ds_bpermute_b32 v4, v8, v2
	ds_bpermute_b32 v5, v8, v3
	v_cmp_gt_u32_e64 s[0:1], 62, v11
	s_waitcnt lgkmcnt(0)
	v_add_f64 v[2:3], v[2:3], v[4:5]
	v_cndmask_b32_e64 v4, 0, 1, s[0:1]
	v_lshlrev_b32_e32 v4, 1, v4
	v_add_lshl_u32 v9, v4, v10, 2
	ds_bpermute_b32 v4, v9, v2
	ds_bpermute_b32 v5, v9, v3
	v_cmp_ne_u32_e64 s[0:1], 63, v11
	s_waitcnt lgkmcnt(0)
	v_add_f64 v[2:3], v[2:3], v[4:5]
	v_addc_co_u32_e64 v4, s[0:1], 0, v10, s[0:1]
	v_lshlrev_b32_e32 v10, 2, v4
	ds_bpermute_b32 v4, v10, v2
	ds_bpermute_b32 v5, v10, v3
	v_cmp_eq_u32_e64 s[0:1], 0, v6
	s_and_saveexec_b64 s[4:5], s[0:1]
	s_cbranch_execz .LBB626_8
; %bb.7:
	s_waitcnt lgkmcnt(0)
	v_add_f64 v[2:3], v[2:3], v[4:5]
	v_lshrrev_b32_e32 v4, 3, v0
	v_and_b32_e32 v4, 0x78, v4
	ds_write_b64 v4, v[2:3]
.LBB626_8:
	s_or_b64 exec, exec, s[4:5]
	v_cmp_gt_u32_e64 s[0:1], 16, v0
	v_pk_mov_b32 v[2:3], 0, 0
	s_waitcnt lgkmcnt(0)
	s_barrier
	s_and_saveexec_b64 s[4:5], s[0:1]
	s_cbranch_execnz .LBB626_12
; %bb.9:
	s_or_b64 exec, exec, s[4:5]
	s_and_saveexec_b64 s[0:1], vcc
	s_cbranch_execnz .LBB626_13
.LBB626_10:
	s_or_b64 exec, exec, s[0:1]
	v_cmp_eq_u32_e32 vcc, 0, v0
	s_and_saveexec_b64 s[0:1], vcc
	s_cbranch_execnz .LBB626_14
.LBB626_11:
	s_endpgm
.LBB626_12:
	ds_read_b64 v[2:3], v1
	s_or_b64 exec, exec, s[4:5]
	s_and_saveexec_b64 s[0:1], vcc
	s_cbranch_execz .LBB626_10
.LBB626_13:
	s_waitcnt lgkmcnt(0)
	ds_bpermute_b32 v4, v7, v2
	ds_bpermute_b32 v5, v7, v3
	s_waitcnt lgkmcnt(0)
	v_add_f64 v[2:3], v[2:3], v[4:5]
	ds_bpermute_b32 v4, v8, v2
	ds_bpermute_b32 v5, v8, v3
	s_waitcnt lgkmcnt(0)
	v_add_f64 v[2:3], v[2:3], v[4:5]
	;; [unrolled: 4-line block ×4, first 2 shown]
	s_or_b64 exec, exec, s[0:1]
	v_cmp_eq_u32_e32 vcc, 0, v0
	s_and_saveexec_b64 s[0:1], vcc
	s_cbranch_execz .LBB626_11
.LBB626_14:
	s_lshl_b64 s[0:1], s[2:3], 3
	s_add_u32 s0, s6, s0
	s_addc_u32 s1, s7, s1
	v_mov_b32_e32 v0, 0
	s_waitcnt lgkmcnt(0)
	global_store_dwordx2 v0, v[2:3], s[0:1]
	s_endpgm
	.section	.rodata,"a",@progbits
	.p2align	6, 0x0
	.amdhsa_kernel _ZL24rocblas_dot_kernel_magsqIiLb1ELi1024ELi32ELb1EdPKddEviT5_lT_liPT6_PT4_
		.amdhsa_group_segment_fixed_size 512
		.amdhsa_private_segment_fixed_size 0
		.amdhsa_kernarg_size 320
		.amdhsa_user_sgpr_count 6
		.amdhsa_user_sgpr_private_segment_buffer 1
		.amdhsa_user_sgpr_dispatch_ptr 0
		.amdhsa_user_sgpr_queue_ptr 0
		.amdhsa_user_sgpr_kernarg_segment_ptr 1
		.amdhsa_user_sgpr_dispatch_id 0
		.amdhsa_user_sgpr_flat_scratch_init 0
		.amdhsa_user_sgpr_kernarg_preload_length 0
		.amdhsa_user_sgpr_kernarg_preload_offset 0
		.amdhsa_user_sgpr_private_segment_size 0
		.amdhsa_uses_dynamic_stack 0
		.amdhsa_system_sgpr_private_segment_wavefront_offset 0
		.amdhsa_system_sgpr_workgroup_id_x 1
		.amdhsa_system_sgpr_workgroup_id_y 0
		.amdhsa_system_sgpr_workgroup_id_z 1
		.amdhsa_system_sgpr_workgroup_info 0
		.amdhsa_system_vgpr_workitem_id 0
		.amdhsa_next_free_vgpr 12
		.amdhsa_next_free_sgpr 20
		.amdhsa_accum_offset 12
		.amdhsa_reserve_vcc 1
		.amdhsa_reserve_flat_scratch 0
		.amdhsa_float_round_mode_32 0
		.amdhsa_float_round_mode_16_64 0
		.amdhsa_float_denorm_mode_32 3
		.amdhsa_float_denorm_mode_16_64 3
		.amdhsa_dx10_clamp 1
		.amdhsa_ieee_mode 1
		.amdhsa_fp16_overflow 0
		.amdhsa_tg_split 0
		.amdhsa_exception_fp_ieee_invalid_op 0
		.amdhsa_exception_fp_denorm_src 0
		.amdhsa_exception_fp_ieee_div_zero 0
		.amdhsa_exception_fp_ieee_overflow 0
		.amdhsa_exception_fp_ieee_underflow 0
		.amdhsa_exception_fp_ieee_inexact 0
		.amdhsa_exception_int_div_zero 0
	.end_amdhsa_kernel
	.section	.text._ZL24rocblas_dot_kernel_magsqIiLb1ELi1024ELi32ELb1EdPKddEviT5_lT_liPT6_PT4_,"axG",@progbits,_ZL24rocblas_dot_kernel_magsqIiLb1ELi1024ELi32ELb1EdPKddEviT5_lT_liPT6_PT4_,comdat
.Lfunc_end626:
	.size	_ZL24rocblas_dot_kernel_magsqIiLb1ELi1024ELi32ELb1EdPKddEviT5_lT_liPT6_PT4_, .Lfunc_end626-_ZL24rocblas_dot_kernel_magsqIiLb1ELi1024ELi32ELb1EdPKddEviT5_lT_liPT6_PT4_
                                        ; -- End function
	.section	.AMDGPU.csdata,"",@progbits
; Kernel info:
; codeLenInByte = 956
; NumSgprs: 24
; NumVgprs: 12
; NumAgprs: 0
; TotalNumVgprs: 12
; ScratchSize: 0
; MemoryBound: 0
; FloatMode: 240
; IeeeMode: 1
; LDSByteSize: 512 bytes/workgroup (compile time only)
; SGPRBlocks: 2
; VGPRBlocks: 1
; NumSGPRsForWavesPerEU: 24
; NumVGPRsForWavesPerEU: 12
; AccumOffset: 12
; Occupancy: 8
; WaveLimiterHint : 0
; COMPUTE_PGM_RSRC2:SCRATCH_EN: 0
; COMPUTE_PGM_RSRC2:USER_SGPR: 6
; COMPUTE_PGM_RSRC2:TRAP_HANDLER: 0
; COMPUTE_PGM_RSRC2:TGID_X_EN: 1
; COMPUTE_PGM_RSRC2:TGID_Y_EN: 0
; COMPUTE_PGM_RSRC2:TGID_Z_EN: 1
; COMPUTE_PGM_RSRC2:TIDIG_COMP_CNT: 0
; COMPUTE_PGM_RSRC3_GFX90A:ACCUM_OFFSET: 2
; COMPUTE_PGM_RSRC3_GFX90A:TG_SPLIT: 0
	.section	.text._ZL23rocblas_dot_kernel_inc1ILb0ELi512ELi2ELb1EdPKddEviT4_llS2_lliPT5_PT3_,"axG",@progbits,_ZL23rocblas_dot_kernel_inc1ILb0ELi512ELi2ELb1EdPKddEviT4_llS2_lliPT5_PT3_,comdat
	.globl	_ZL23rocblas_dot_kernel_inc1ILb0ELi512ELi2ELb1EdPKddEviT4_llS2_lliPT5_PT3_ ; -- Begin function _ZL23rocblas_dot_kernel_inc1ILb0ELi512ELi2ELb1EdPKddEviT4_llS2_lliPT5_PT3_
	.p2align	8
	.type	_ZL23rocblas_dot_kernel_inc1ILb0ELi512ELi2ELb1EdPKddEviT4_llS2_lliPT5_PT3_,@function
_ZL23rocblas_dot_kernel_inc1ILb0ELi512ELi2ELb1EdPKddEviT4_llS2_lliPT5_PT3_: ; @_ZL23rocblas_dot_kernel_inc1ILb0ELi512ELi2ELb1EdPKddEviT4_llS2_lliPT5_PT3_
; %bb.0:
	s_mov_b32 s2, s7
	s_load_dword s7, s[4:5], 0x0
	s_load_dword s10, s[4:5], 0x50
	v_lshl_or_b32 v4, s6, 9, v0
	s_mov_b32 s3, 0
	v_pk_mov_b32 v[2:3], 0, 0
	s_waitcnt lgkmcnt(0)
	v_cmp_gt_i32_e32 vcc, s7, v4
	s_and_saveexec_b64 s[0:1], vcc
	s_cbranch_execz .LBB627_4
; %bb.1:
	s_load_dwordx4 s[12:15], s[4:5], 0x10
	s_load_dwordx2 s[8:9], s[4:5], 0x8
	s_load_dwordx2 s[20:21], s[4:5], 0x20
	s_load_dwordx4 s[16:19], s[4:5], 0x28
	v_ashrrev_i32_e32 v5, 31, v4
	s_waitcnt lgkmcnt(0)
	s_mul_i32 s11, s2, s15
	s_mul_hi_u32 s15, s2, s14
	s_add_i32 s15, s15, s11
	s_mul_i32 s14, s2, s14
	s_lshl_b64 s[14:15], s[14:15], 3
	s_add_u32 s11, s8, s14
	s_addc_u32 s14, s9, s15
	s_lshl_b64 s[8:9], s[12:13], 3
	s_add_u32 s11, s11, s8
	s_addc_u32 s12, s14, s9
	s_mul_i32 s8, s2, s19
	s_mul_hi_u32 s9, s2, s18
	s_add_i32 s9, s9, s8
	s_mul_i32 s8, s2, s18
	s_lshl_b64 s[8:9], s[8:9], 3
	s_add_u32 s13, s20, s8
	s_addc_u32 s14, s21, s9
	s_lshl_b64 s[8:9], s[16:17], 3
	s_add_u32 s13, s13, s8
	s_addc_u32 s14, s14, s9
	v_lshlrev_b64 v[2:3], 3, v[4:5]
	v_mov_b32_e32 v1, s14
	v_add_co_u32_e32 v4, vcc, s13, v2
	v_addc_co_u32_e32 v5, vcc, v1, v3, vcc
	v_mov_b32_e32 v1, s12
	v_add_co_u32_e32 v2, vcc, s11, v2
	v_addc_co_u32_e32 v3, vcc, v1, v3, vcc
	global_load_dwordx2 v[6:7], v[2:3], off
	global_load_dwordx2 v[8:9], v[4:5], off
	s_add_i32 s8, s6, s10
	v_lshl_or_b32 v4, s8, 9, v0
	v_cmp_gt_i32_e32 vcc, s7, v4
	s_waitcnt vmcnt(0)
	v_fma_f64 v[2:3], v[8:9], v[6:7], 0
	s_and_saveexec_b64 s[8:9], vcc
	s_cbranch_execz .LBB627_3
; %bb.2:
	v_ashrrev_i32_e32 v5, 31, v4
	v_lshlrev_b64 v[4:5], 3, v[4:5]
	v_mov_b32_e32 v1, s14
	v_add_co_u32_e32 v6, vcc, s13, v4
	v_addc_co_u32_e32 v7, vcc, v1, v5, vcc
	v_mov_b32_e32 v1, s12
	v_add_co_u32_e32 v4, vcc, s11, v4
	v_addc_co_u32_e32 v5, vcc, v1, v5, vcc
	global_load_dwordx2 v[6:7], v[6:7], off
	s_nop 0
	global_load_dwordx2 v[4:5], v[4:5], off
	s_waitcnt vmcnt(0)
	v_fmac_f64_e32 v[2:3], v[6:7], v[4:5]
.LBB627_3:
	s_or_b64 exec, exec, s[8:9]
.LBB627_4:
	s_or_b64 exec, exec, s[0:1]
	v_and_b32_e32 v6, 63, v0
	v_cmp_gt_u32_e32 vcc, 64, v0
	v_lshlrev_b32_e32 v1, 3, v6
	s_and_saveexec_b64 s[0:1], vcc
	s_cbranch_execz .LBB627_6
; %bb.5:
	v_mov_b32_e32 v4, 0
	v_mov_b32_e32 v5, v4
	ds_write_b64 v1, v[4:5]
.LBB627_6:
	s_or_b64 exec, exec, s[0:1]
	v_mbcnt_lo_u32_b32 v4, -1, 0
	v_mbcnt_hi_u32_b32 v9, -1, v4
	v_and_b32_e32 v10, 63, v9
	v_cmp_gt_u32_e64 s[0:1], 32, v10
	v_cndmask_b32_e64 v4, 0, 1, s[0:1]
	v_lshlrev_b32_e32 v4, 5, v4
	v_add_lshl_u32 v5, v4, v9, 2
	ds_bpermute_b32 v4, v5, v2
	ds_bpermute_b32 v5, v5, v3
	v_cmp_gt_u32_e64 s[0:1], 48, v10
	v_cndmask_b32_e64 v7, 0, 1, s[0:1]
	v_cmp_gt_u32_e64 s[0:1], 56, v10
	s_waitcnt lgkmcnt(0)
	v_add_f64 v[2:3], v[2:3], v[4:5]
	v_lshlrev_b32_e32 v4, 4, v7
	v_add_lshl_u32 v5, v4, v9, 2
	ds_bpermute_b32 v4, v5, v2
	ds_bpermute_b32 v5, v5, v3
	s_barrier
	s_waitcnt lgkmcnt(0)
	v_add_f64 v[2:3], v[2:3], v[4:5]
	v_cndmask_b32_e64 v4, 0, 1, s[0:1]
	v_lshlrev_b32_e32 v4, 3, v4
	v_add_lshl_u32 v5, v4, v9, 2
	ds_bpermute_b32 v4, v5, v2
	ds_bpermute_b32 v5, v5, v3
	v_cmp_gt_u32_e64 s[0:1], 60, v10
	s_waitcnt lgkmcnt(0)
	v_add_f64 v[2:3], v[2:3], v[4:5]
	v_cndmask_b32_e64 v4, 0, 1, s[0:1]
	v_lshlrev_b32_e32 v4, 2, v4
	v_add_lshl_u32 v7, v4, v9, 2
	ds_bpermute_b32 v4, v7, v2
	ds_bpermute_b32 v5, v7, v3
	v_cmp_gt_u32_e64 s[0:1], 62, v10
	s_waitcnt lgkmcnt(0)
	v_add_f64 v[2:3], v[2:3], v[4:5]
	v_cndmask_b32_e64 v4, 0, 1, s[0:1]
	v_lshlrev_b32_e32 v4, 1, v4
	v_add_lshl_u32 v8, v4, v9, 2
	ds_bpermute_b32 v4, v8, v2
	ds_bpermute_b32 v5, v8, v3
	v_cmp_ne_u32_e64 s[0:1], 63, v10
	s_waitcnt lgkmcnt(0)
	v_add_f64 v[2:3], v[2:3], v[4:5]
	v_addc_co_u32_e64 v4, s[0:1], 0, v9, s[0:1]
	v_lshlrev_b32_e32 v9, 2, v4
	ds_bpermute_b32 v4, v9, v2
	ds_bpermute_b32 v5, v9, v3
	v_cmp_eq_u32_e64 s[0:1], 0, v6
	s_and_saveexec_b64 s[8:9], s[0:1]
	s_cbranch_execz .LBB627_8
; %bb.7:
	s_waitcnt lgkmcnt(0)
	v_add_f64 v[2:3], v[2:3], v[4:5]
	v_lshrrev_b32_e32 v4, 3, v0
	v_and_b32_e32 v4, 56, v4
	ds_write_b64 v4, v[2:3]
.LBB627_8:
	s_or_b64 exec, exec, s[8:9]
	v_cmp_gt_u32_e64 s[0:1], 8, v0
	v_pk_mov_b32 v[2:3], 0, 0
	s_waitcnt lgkmcnt(0)
	s_barrier
	s_and_saveexec_b64 s[8:9], s[0:1]
	s_cbranch_execnz .LBB627_12
; %bb.9:
	s_or_b64 exec, exec, s[8:9]
	s_and_saveexec_b64 s[0:1], vcc
	s_cbranch_execnz .LBB627_13
.LBB627_10:
	s_or_b64 exec, exec, s[0:1]
	v_cmp_eq_u32_e32 vcc, 0, v0
	s_and_saveexec_b64 s[0:1], vcc
	s_cbranch_execnz .LBB627_14
.LBB627_11:
	s_endpgm
.LBB627_12:
	ds_read_b64 v[2:3], v1
	s_or_b64 exec, exec, s[8:9]
	s_and_saveexec_b64 s[0:1], vcc
	s_cbranch_execz .LBB627_10
.LBB627_13:
	s_waitcnt lgkmcnt(0)
	ds_bpermute_b32 v4, v7, v2
	ds_bpermute_b32 v5, v7, v3
	s_waitcnt lgkmcnt(0)
	v_add_f64 v[2:3], v[2:3], v[4:5]
	ds_bpermute_b32 v4, v8, v2
	ds_bpermute_b32 v5, v8, v3
	s_waitcnt lgkmcnt(0)
	v_add_f64 v[2:3], v[2:3], v[4:5]
	;; [unrolled: 4-line block ×3, first 2 shown]
	s_or_b64 exec, exec, s[0:1]
	v_cmp_eq_u32_e32 vcc, 0, v0
	s_and_saveexec_b64 s[0:1], vcc
	s_cbranch_execz .LBB627_11
.LBB627_14:
	s_cmp_lg_u32 s10, 1
	s_cbranch_scc0 .LBB627_16
; %bb.15:
	s_load_dwordx2 s[0:1], s[4:5], 0x40
	s_mul_hi_u32 s9, s10, s2
	s_mul_i32 s8, s10, s2
	s_lshl_b64 s[8:9], s[8:9], 3
	s_mov_b32 s7, 0
	s_waitcnt lgkmcnt(0)
	s_add_u32 s8, s0, s8
	s_addc_u32 s9, s1, s9
	s_lshl_b64 s[0:1], s[6:7], 3
	s_add_u32 s0, s8, s0
	s_addc_u32 s1, s9, s1
	s_cbranch_execz .LBB627_17
	s_branch .LBB627_18
.LBB627_16:
                                        ; implicit-def: $sgpr0_sgpr1
.LBB627_17:
	s_load_dwordx2 s[0:1], s[4:5], 0x48
	s_lshl_b64 s[2:3], s[2:3], 3
	s_waitcnt lgkmcnt(0)
	s_add_u32 s0, s0, s2
	s_addc_u32 s1, s1, s3
.LBB627_18:
	v_mov_b32_e32 v0, 0
	s_waitcnt lgkmcnt(0)
	global_store_dwordx2 v0, v[2:3], s[0:1]
	s_endpgm
	.section	.rodata,"a",@progbits
	.p2align	6, 0x0
	.amdhsa_kernel _ZL23rocblas_dot_kernel_inc1ILb0ELi512ELi2ELb1EdPKddEviT4_llS2_lliPT5_PT3_
		.amdhsa_group_segment_fixed_size 512
		.amdhsa_private_segment_fixed_size 0
		.amdhsa_kernarg_size 336
		.amdhsa_user_sgpr_count 6
		.amdhsa_user_sgpr_private_segment_buffer 1
		.amdhsa_user_sgpr_dispatch_ptr 0
		.amdhsa_user_sgpr_queue_ptr 0
		.amdhsa_user_sgpr_kernarg_segment_ptr 1
		.amdhsa_user_sgpr_dispatch_id 0
		.amdhsa_user_sgpr_flat_scratch_init 0
		.amdhsa_user_sgpr_kernarg_preload_length 0
		.amdhsa_user_sgpr_kernarg_preload_offset 0
		.amdhsa_user_sgpr_private_segment_size 0
		.amdhsa_uses_dynamic_stack 0
		.amdhsa_system_sgpr_private_segment_wavefront_offset 0
		.amdhsa_system_sgpr_workgroup_id_x 1
		.amdhsa_system_sgpr_workgroup_id_y 0
		.amdhsa_system_sgpr_workgroup_id_z 1
		.amdhsa_system_sgpr_workgroup_info 0
		.amdhsa_system_vgpr_workitem_id 0
		.amdhsa_next_free_vgpr 11
		.amdhsa_next_free_sgpr 22
		.amdhsa_accum_offset 12
		.amdhsa_reserve_vcc 1
		.amdhsa_reserve_flat_scratch 0
		.amdhsa_float_round_mode_32 0
		.amdhsa_float_round_mode_16_64 0
		.amdhsa_float_denorm_mode_32 3
		.amdhsa_float_denorm_mode_16_64 3
		.amdhsa_dx10_clamp 1
		.amdhsa_ieee_mode 1
		.amdhsa_fp16_overflow 0
		.amdhsa_tg_split 0
		.amdhsa_exception_fp_ieee_invalid_op 0
		.amdhsa_exception_fp_denorm_src 0
		.amdhsa_exception_fp_ieee_div_zero 0
		.amdhsa_exception_fp_ieee_overflow 0
		.amdhsa_exception_fp_ieee_underflow 0
		.amdhsa_exception_fp_ieee_inexact 0
		.amdhsa_exception_int_div_zero 0
	.end_amdhsa_kernel
	.section	.text._ZL23rocblas_dot_kernel_inc1ILb0ELi512ELi2ELb1EdPKddEviT4_llS2_lliPT5_PT3_,"axG",@progbits,_ZL23rocblas_dot_kernel_inc1ILb0ELi512ELi2ELb1EdPKddEviT4_llS2_lliPT5_PT3_,comdat
.Lfunc_end627:
	.size	_ZL23rocblas_dot_kernel_inc1ILb0ELi512ELi2ELb1EdPKddEviT4_llS2_lliPT5_PT3_, .Lfunc_end627-_ZL23rocblas_dot_kernel_inc1ILb0ELi512ELi2ELb1EdPKddEviT4_llS2_lliPT5_PT3_
                                        ; -- End function
	.section	.AMDGPU.csdata,"",@progbits
; Kernel info:
; codeLenInByte = 1056
; NumSgprs: 26
; NumVgprs: 11
; NumAgprs: 0
; TotalNumVgprs: 11
; ScratchSize: 0
; MemoryBound: 0
; FloatMode: 240
; IeeeMode: 1
; LDSByteSize: 512 bytes/workgroup (compile time only)
; SGPRBlocks: 3
; VGPRBlocks: 1
; NumSGPRsForWavesPerEU: 26
; NumVGPRsForWavesPerEU: 11
; AccumOffset: 12
; Occupancy: 8
; WaveLimiterHint : 0
; COMPUTE_PGM_RSRC2:SCRATCH_EN: 0
; COMPUTE_PGM_RSRC2:USER_SGPR: 6
; COMPUTE_PGM_RSRC2:TRAP_HANDLER: 0
; COMPUTE_PGM_RSRC2:TGID_X_EN: 1
; COMPUTE_PGM_RSRC2:TGID_Y_EN: 0
; COMPUTE_PGM_RSRC2:TGID_Z_EN: 1
; COMPUTE_PGM_RSRC2:TIDIG_COMP_CNT: 0
; COMPUTE_PGM_RSRC3_GFX90A:ACCUM_OFFSET: 2
; COMPUTE_PGM_RSRC3_GFX90A:TG_SPLIT: 0
	.section	.text._ZL18rocblas_dot_kernelIiLb0ELi512ELi2ELb1EdPKddEviT5_lT_lS2_lS3_liPT6_PT4_,"axG",@progbits,_ZL18rocblas_dot_kernelIiLb0ELi512ELi2ELb1EdPKddEviT5_lT_lS2_lS3_liPT6_PT4_,comdat
	.globl	_ZL18rocblas_dot_kernelIiLb0ELi512ELi2ELb1EdPKddEviT5_lT_lS2_lS3_liPT6_PT4_ ; -- Begin function _ZL18rocblas_dot_kernelIiLb0ELi512ELi2ELb1EdPKddEviT5_lT_lS2_lS3_liPT6_PT4_
	.p2align	8
	.type	_ZL18rocblas_dot_kernelIiLb0ELi512ELi2ELb1EdPKddEviT5_lT_lS2_lS3_liPT6_PT4_,@function
_ZL18rocblas_dot_kernelIiLb0ELi512ELi2ELb1EdPKddEviT5_lT_lS2_lS3_liPT6_PT4_: ; @_ZL18rocblas_dot_kernelIiLb0ELi512ELi2ELb1EdPKddEviT5_lT_lS2_lS3_liPT6_PT4_
; %bb.0:
	s_mov_b32 s2, s7
	s_load_dword s7, s[4:5], 0x0
	s_load_dword s10, s[4:5], 0x60
	v_lshl_or_b32 v1, s6, 9, v0
	s_mov_b32 s3, 0
	v_pk_mov_b32 v[2:3], 0, 0
	s_waitcnt lgkmcnt(0)
	v_cmp_gt_i32_e32 vcc, s7, v1
	s_and_saveexec_b64 s[0:1], vcc
	s_cbranch_execz .LBB628_4
; %bb.1:
	s_load_dwordx4 s[16:19], s[4:5], 0x20
	s_load_dwordx4 s[20:23], s[4:5], 0x8
	s_load_dword s11, s[4:5], 0x18
	s_load_dwordx2 s[8:9], s[4:5], 0x30
	s_load_dword s14, s[4:5], 0x38
	s_load_dwordx2 s[24:25], s[4:5], 0x40
	s_waitcnt lgkmcnt(0)
	s_mul_i32 s12, s2, s17
	s_mul_hi_u32 s13, s2, s16
	s_add_i32 s13, s13, s12
	s_mul_i32 s12, s2, s16
	s_lshl_b64 s[12:13], s[12:13], 3
	s_add_u32 s15, s20, s12
	s_addc_u32 s16, s21, s13
	s_lshl_b64 s[12:13], s[22:23], 3
	s_add_u32 s12, s15, s12
	s_addc_u32 s13, s16, s13
	s_mul_i32 s15, s2, s25
	s_mul_hi_u32 s16, s2, s24
	s_add_i32 s17, s16, s15
	s_mul_i32 s16, s2, s24
	s_lshl_b64 s[16:17], s[16:17], 3
	s_add_u32 s15, s18, s16
	s_addc_u32 s16, s19, s17
	s_lshl_b64 s[8:9], s[8:9], 3
	s_add_u32 s15, s15, s8
	s_addc_u32 s16, s16, s9
	v_mad_i64_i32 v[2:3], s[8:9], v1, s14, 0
	v_lshlrev_b64 v[2:3], 3, v[2:3]
	v_mov_b32_e32 v4, s16
	v_add_co_u32_e32 v2, vcc, s15, v2
	v_addc_co_u32_e32 v3, vcc, v4, v3, vcc
	v_mad_i64_i32 v[4:5], s[8:9], v1, s11, 0
	v_lshlrev_b64 v[4:5], 3, v[4:5]
	v_mov_b32_e32 v1, s13
	v_add_co_u32_e32 v4, vcc, s12, v4
	v_addc_co_u32_e32 v5, vcc, v1, v5, vcc
	global_load_dwordx2 v[6:7], v[4:5], off
	global_load_dwordx2 v[8:9], v[2:3], off
	s_add_i32 s8, s6, s10
	v_lshl_or_b32 v1, s8, 9, v0
	v_cmp_gt_i32_e32 vcc, s7, v1
	s_waitcnt vmcnt(0)
	v_fma_f64 v[2:3], v[8:9], v[6:7], 0
	s_and_saveexec_b64 s[8:9], vcc
	s_cbranch_execz .LBB628_3
; %bb.2:
	v_mad_i64_i32 v[4:5], s[18:19], v1, s14, 0
	v_lshlrev_b64 v[4:5], 3, v[4:5]
	v_mov_b32_e32 v6, s16
	v_add_co_u32_e32 v4, vcc, s15, v4
	v_addc_co_u32_e32 v5, vcc, v6, v5, vcc
	v_mad_i64_i32 v[6:7], s[14:15], v1, s11, 0
	v_lshlrev_b64 v[6:7], 3, v[6:7]
	v_mov_b32_e32 v1, s13
	v_add_co_u32_e32 v6, vcc, s12, v6
	v_addc_co_u32_e32 v7, vcc, v1, v7, vcc
	global_load_dwordx2 v[4:5], v[4:5], off
	s_nop 0
	global_load_dwordx2 v[6:7], v[6:7], off
	s_waitcnt vmcnt(0)
	v_fmac_f64_e32 v[2:3], v[4:5], v[6:7]
.LBB628_3:
	s_or_b64 exec, exec, s[8:9]
.LBB628_4:
	s_or_b64 exec, exec, s[0:1]
	v_and_b32_e32 v6, 63, v0
	v_cmp_gt_u32_e32 vcc, 64, v0
	v_lshlrev_b32_e32 v1, 3, v6
	s_and_saveexec_b64 s[0:1], vcc
	s_cbranch_execz .LBB628_6
; %bb.5:
	v_mov_b32_e32 v4, 0
	v_mov_b32_e32 v5, v4
	ds_write_b64 v1, v[4:5]
.LBB628_6:
	s_or_b64 exec, exec, s[0:1]
	v_mbcnt_lo_u32_b32 v4, -1, 0
	v_mbcnt_hi_u32_b32 v9, -1, v4
	v_and_b32_e32 v10, 63, v9
	v_cmp_gt_u32_e64 s[0:1], 32, v10
	v_cndmask_b32_e64 v4, 0, 1, s[0:1]
	v_lshlrev_b32_e32 v4, 5, v4
	v_add_lshl_u32 v5, v4, v9, 2
	ds_bpermute_b32 v4, v5, v2
	ds_bpermute_b32 v5, v5, v3
	v_cmp_gt_u32_e64 s[0:1], 48, v10
	v_cndmask_b32_e64 v7, 0, 1, s[0:1]
	v_cmp_gt_u32_e64 s[0:1], 56, v10
	s_waitcnt lgkmcnt(0)
	v_add_f64 v[2:3], v[2:3], v[4:5]
	v_lshlrev_b32_e32 v4, 4, v7
	v_add_lshl_u32 v5, v4, v9, 2
	ds_bpermute_b32 v4, v5, v2
	ds_bpermute_b32 v5, v5, v3
	s_barrier
	s_waitcnt lgkmcnt(0)
	v_add_f64 v[2:3], v[2:3], v[4:5]
	v_cndmask_b32_e64 v4, 0, 1, s[0:1]
	v_lshlrev_b32_e32 v4, 3, v4
	v_add_lshl_u32 v5, v4, v9, 2
	ds_bpermute_b32 v4, v5, v2
	ds_bpermute_b32 v5, v5, v3
	v_cmp_gt_u32_e64 s[0:1], 60, v10
	s_waitcnt lgkmcnt(0)
	v_add_f64 v[2:3], v[2:3], v[4:5]
	v_cndmask_b32_e64 v4, 0, 1, s[0:1]
	v_lshlrev_b32_e32 v4, 2, v4
	v_add_lshl_u32 v7, v4, v9, 2
	ds_bpermute_b32 v4, v7, v2
	ds_bpermute_b32 v5, v7, v3
	v_cmp_gt_u32_e64 s[0:1], 62, v10
	s_waitcnt lgkmcnt(0)
	v_add_f64 v[2:3], v[2:3], v[4:5]
	v_cndmask_b32_e64 v4, 0, 1, s[0:1]
	v_lshlrev_b32_e32 v4, 1, v4
	v_add_lshl_u32 v8, v4, v9, 2
	ds_bpermute_b32 v4, v8, v2
	ds_bpermute_b32 v5, v8, v3
	v_cmp_ne_u32_e64 s[0:1], 63, v10
	s_waitcnt lgkmcnt(0)
	v_add_f64 v[2:3], v[2:3], v[4:5]
	v_addc_co_u32_e64 v4, s[0:1], 0, v9, s[0:1]
	v_lshlrev_b32_e32 v9, 2, v4
	ds_bpermute_b32 v4, v9, v2
	ds_bpermute_b32 v5, v9, v3
	v_cmp_eq_u32_e64 s[0:1], 0, v6
	s_and_saveexec_b64 s[8:9], s[0:1]
	s_cbranch_execz .LBB628_8
; %bb.7:
	s_waitcnt lgkmcnt(0)
	v_add_f64 v[2:3], v[2:3], v[4:5]
	v_lshrrev_b32_e32 v4, 3, v0
	v_and_b32_e32 v4, 56, v4
	ds_write_b64 v4, v[2:3]
.LBB628_8:
	s_or_b64 exec, exec, s[8:9]
	v_cmp_gt_u32_e64 s[0:1], 8, v0
	v_pk_mov_b32 v[2:3], 0, 0
	s_waitcnt lgkmcnt(0)
	s_barrier
	s_and_saveexec_b64 s[8:9], s[0:1]
	s_cbranch_execnz .LBB628_12
; %bb.9:
	s_or_b64 exec, exec, s[8:9]
	s_and_saveexec_b64 s[0:1], vcc
	s_cbranch_execnz .LBB628_13
.LBB628_10:
	s_or_b64 exec, exec, s[0:1]
	v_cmp_eq_u32_e32 vcc, 0, v0
	s_and_saveexec_b64 s[0:1], vcc
	s_cbranch_execnz .LBB628_14
.LBB628_11:
	s_endpgm
.LBB628_12:
	ds_read_b64 v[2:3], v1
	s_or_b64 exec, exec, s[8:9]
	s_and_saveexec_b64 s[0:1], vcc
	s_cbranch_execz .LBB628_10
.LBB628_13:
	s_waitcnt lgkmcnt(0)
	ds_bpermute_b32 v4, v7, v2
	ds_bpermute_b32 v5, v7, v3
	s_waitcnt lgkmcnt(0)
	v_add_f64 v[2:3], v[2:3], v[4:5]
	ds_bpermute_b32 v4, v8, v2
	ds_bpermute_b32 v5, v8, v3
	s_waitcnt lgkmcnt(0)
	v_add_f64 v[2:3], v[2:3], v[4:5]
	;; [unrolled: 4-line block ×3, first 2 shown]
	s_or_b64 exec, exec, s[0:1]
	v_cmp_eq_u32_e32 vcc, 0, v0
	s_and_saveexec_b64 s[0:1], vcc
	s_cbranch_execz .LBB628_11
.LBB628_14:
	s_cmp_lg_u32 s10, 1
	s_cbranch_scc0 .LBB628_16
; %bb.15:
	s_load_dwordx2 s[0:1], s[4:5], 0x50
	s_mul_hi_u32 s9, s10, s2
	s_mul_i32 s8, s10, s2
	s_lshl_b64 s[8:9], s[8:9], 3
	s_mov_b32 s7, 0
	s_waitcnt lgkmcnt(0)
	s_add_u32 s8, s0, s8
	s_addc_u32 s9, s1, s9
	s_lshl_b64 s[0:1], s[6:7], 3
	s_add_u32 s0, s8, s0
	s_addc_u32 s1, s9, s1
	s_cbranch_execz .LBB628_17
	s_branch .LBB628_18
.LBB628_16:
                                        ; implicit-def: $sgpr0_sgpr1
.LBB628_17:
	s_load_dwordx2 s[0:1], s[4:5], 0x58
	s_lshl_b64 s[2:3], s[2:3], 3
	s_waitcnt lgkmcnt(0)
	s_add_u32 s0, s0, s2
	s_addc_u32 s1, s1, s3
.LBB628_18:
	v_mov_b32_e32 v0, 0
	s_waitcnt lgkmcnt(0)
	global_store_dwordx2 v0, v[2:3], s[0:1]
	s_endpgm
	.section	.rodata,"a",@progbits
	.p2align	6, 0x0
	.amdhsa_kernel _ZL18rocblas_dot_kernelIiLb0ELi512ELi2ELb1EdPKddEviT5_lT_lS2_lS3_liPT6_PT4_
		.amdhsa_group_segment_fixed_size 512
		.amdhsa_private_segment_fixed_size 0
		.amdhsa_kernarg_size 352
		.amdhsa_user_sgpr_count 6
		.amdhsa_user_sgpr_private_segment_buffer 1
		.amdhsa_user_sgpr_dispatch_ptr 0
		.amdhsa_user_sgpr_queue_ptr 0
		.amdhsa_user_sgpr_kernarg_segment_ptr 1
		.amdhsa_user_sgpr_dispatch_id 0
		.amdhsa_user_sgpr_flat_scratch_init 0
		.amdhsa_user_sgpr_kernarg_preload_length 0
		.amdhsa_user_sgpr_kernarg_preload_offset 0
		.amdhsa_user_sgpr_private_segment_size 0
		.amdhsa_uses_dynamic_stack 0
		.amdhsa_system_sgpr_private_segment_wavefront_offset 0
		.amdhsa_system_sgpr_workgroup_id_x 1
		.amdhsa_system_sgpr_workgroup_id_y 0
		.amdhsa_system_sgpr_workgroup_id_z 1
		.amdhsa_system_sgpr_workgroup_info 0
		.amdhsa_system_vgpr_workitem_id 0
		.amdhsa_next_free_vgpr 11
		.amdhsa_next_free_sgpr 26
		.amdhsa_accum_offset 12
		.amdhsa_reserve_vcc 1
		.amdhsa_reserve_flat_scratch 0
		.amdhsa_float_round_mode_32 0
		.amdhsa_float_round_mode_16_64 0
		.amdhsa_float_denorm_mode_32 3
		.amdhsa_float_denorm_mode_16_64 3
		.amdhsa_dx10_clamp 1
		.amdhsa_ieee_mode 1
		.amdhsa_fp16_overflow 0
		.amdhsa_tg_split 0
		.amdhsa_exception_fp_ieee_invalid_op 0
		.amdhsa_exception_fp_denorm_src 0
		.amdhsa_exception_fp_ieee_div_zero 0
		.amdhsa_exception_fp_ieee_overflow 0
		.amdhsa_exception_fp_ieee_underflow 0
		.amdhsa_exception_fp_ieee_inexact 0
		.amdhsa_exception_int_div_zero 0
	.end_amdhsa_kernel
	.section	.text._ZL18rocblas_dot_kernelIiLb0ELi512ELi2ELb1EdPKddEviT5_lT_lS2_lS3_liPT6_PT4_,"axG",@progbits,_ZL18rocblas_dot_kernelIiLb0ELi512ELi2ELb1EdPKddEviT5_lT_lS2_lS3_liPT6_PT4_,comdat
.Lfunc_end628:
	.size	_ZL18rocblas_dot_kernelIiLb0ELi512ELi2ELb1EdPKddEviT5_lT_lS2_lS3_liPT6_PT4_, .Lfunc_end628-_ZL18rocblas_dot_kernelIiLb0ELi512ELi2ELb1EdPKddEviT5_lT_lS2_lS3_liPT6_PT4_
                                        ; -- End function
	.section	.AMDGPU.csdata,"",@progbits
; Kernel info:
; codeLenInByte = 1112
; NumSgprs: 30
; NumVgprs: 11
; NumAgprs: 0
; TotalNumVgprs: 11
; ScratchSize: 0
; MemoryBound: 0
; FloatMode: 240
; IeeeMode: 1
; LDSByteSize: 512 bytes/workgroup (compile time only)
; SGPRBlocks: 3
; VGPRBlocks: 1
; NumSGPRsForWavesPerEU: 30
; NumVGPRsForWavesPerEU: 11
; AccumOffset: 12
; Occupancy: 8
; WaveLimiterHint : 0
; COMPUTE_PGM_RSRC2:SCRATCH_EN: 0
; COMPUTE_PGM_RSRC2:USER_SGPR: 6
; COMPUTE_PGM_RSRC2:TRAP_HANDLER: 0
; COMPUTE_PGM_RSRC2:TGID_X_EN: 1
; COMPUTE_PGM_RSRC2:TGID_Y_EN: 0
; COMPUTE_PGM_RSRC2:TGID_Z_EN: 1
; COMPUTE_PGM_RSRC2:TIDIG_COMP_CNT: 0
; COMPUTE_PGM_RSRC3_GFX90A:ACCUM_OFFSET: 2
; COMPUTE_PGM_RSRC3_GFX90A:TG_SPLIT: 0
	.section	.text._ZL24rocblas_dot_kernel_magsqIiLb0ELi512ELi2ELb1EdPKddEviT5_lT_liPT6_PT4_,"axG",@progbits,_ZL24rocblas_dot_kernel_magsqIiLb0ELi512ELi2ELb1EdPKddEviT5_lT_liPT6_PT4_,comdat
	.globl	_ZL24rocblas_dot_kernel_magsqIiLb0ELi512ELi2ELb1EdPKddEviT5_lT_liPT6_PT4_ ; -- Begin function _ZL24rocblas_dot_kernel_magsqIiLb0ELi512ELi2ELb1EdPKddEviT5_lT_liPT6_PT4_
	.p2align	8
	.type	_ZL24rocblas_dot_kernel_magsqIiLb0ELi512ELi2ELb1EdPKddEviT5_lT_liPT6_PT4_,@function
_ZL24rocblas_dot_kernel_magsqIiLb0ELi512ELi2ELb1EdPKddEviT5_lT_liPT6_PT4_: ; @_ZL24rocblas_dot_kernel_magsqIiLb0ELi512ELi2ELb1EdPKddEviT5_lT_liPT6_PT4_
; %bb.0:
	s_mov_b32 s2, s7
	s_load_dword s7, s[4:5], 0x0
	s_load_dword s10, s[4:5], 0x40
	v_lshl_or_b32 v1, s6, 9, v0
	s_mov_b32 s3, 0
	v_pk_mov_b32 v[2:3], 0, 0
	s_waitcnt lgkmcnt(0)
	v_cmp_gt_i32_e32 vcc, s7, v1
	s_and_saveexec_b64 s[0:1], vcc
	s_cbranch_execz .LBB629_4
; %bb.1:
	s_load_dwordx2 s[8:9], s[4:5], 0x20
	s_load_dwordx4 s[12:15], s[4:5], 0x8
	s_load_dword s11, s[4:5], 0x18
	s_waitcnt lgkmcnt(0)
	s_mul_i32 s9, s2, s9
	s_mul_hi_u32 s16, s2, s8
	s_mul_i32 s8, s2, s8
	s_add_i32 s9, s16, s9
	s_lshl_b64 s[8:9], s[8:9], 3
	s_add_u32 s12, s12, s8
	s_addc_u32 s13, s13, s9
	s_lshl_b64 s[8:9], s[14:15], 3
	s_add_u32 s12, s12, s8
	s_addc_u32 s13, s13, s9
	v_mad_i64_i32 v[2:3], s[8:9], v1, s11, 0
	v_lshlrev_b64 v[2:3], 3, v[2:3]
	v_mov_b32_e32 v1, s13
	v_add_co_u32_e32 v2, vcc, s12, v2
	v_addc_co_u32_e32 v3, vcc, v1, v3, vcc
	global_load_dwordx2 v[2:3], v[2:3], off
	s_add_i32 s8, s6, s10
	v_lshl_or_b32 v1, s8, 9, v0
	v_cmp_gt_i32_e32 vcc, s7, v1
	s_waitcnt vmcnt(0)
	v_mul_f64 v[2:3], v[2:3], v[2:3]
	s_and_saveexec_b64 s[8:9], vcc
	s_cbranch_execz .LBB629_3
; %bb.2:
	v_mad_i64_i32 v[4:5], s[14:15], v1, s11, 0
	v_lshlrev_b64 v[4:5], 3, v[4:5]
	v_mov_b32_e32 v1, s13
	v_add_co_u32_e32 v4, vcc, s12, v4
	v_addc_co_u32_e32 v5, vcc, v1, v5, vcc
	global_load_dwordx2 v[4:5], v[4:5], off
	s_waitcnt vmcnt(0)
	v_fmac_f64_e32 v[2:3], v[4:5], v[4:5]
.LBB629_3:
	s_or_b64 exec, exec, s[8:9]
.LBB629_4:
	s_or_b64 exec, exec, s[0:1]
	v_and_b32_e32 v6, 63, v0
	v_cmp_gt_u32_e32 vcc, 64, v0
	v_lshlrev_b32_e32 v1, 3, v6
	s_and_saveexec_b64 s[0:1], vcc
	s_cbranch_execz .LBB629_6
; %bb.5:
	v_mov_b32_e32 v4, 0
	v_mov_b32_e32 v5, v4
	ds_write_b64 v1, v[4:5]
.LBB629_6:
	s_or_b64 exec, exec, s[0:1]
	v_mbcnt_lo_u32_b32 v4, -1, 0
	v_mbcnt_hi_u32_b32 v9, -1, v4
	v_and_b32_e32 v10, 63, v9
	v_cmp_gt_u32_e64 s[0:1], 32, v10
	v_cndmask_b32_e64 v4, 0, 1, s[0:1]
	v_lshlrev_b32_e32 v4, 5, v4
	v_add_lshl_u32 v5, v4, v9, 2
	ds_bpermute_b32 v4, v5, v2
	ds_bpermute_b32 v5, v5, v3
	v_cmp_gt_u32_e64 s[0:1], 48, v10
	v_cndmask_b32_e64 v7, 0, 1, s[0:1]
	v_cmp_gt_u32_e64 s[0:1], 56, v10
	s_waitcnt lgkmcnt(0)
	v_add_f64 v[2:3], v[2:3], v[4:5]
	v_lshlrev_b32_e32 v4, 4, v7
	v_add_lshl_u32 v5, v4, v9, 2
	ds_bpermute_b32 v4, v5, v2
	ds_bpermute_b32 v5, v5, v3
	s_barrier
	s_waitcnt lgkmcnt(0)
	v_add_f64 v[2:3], v[2:3], v[4:5]
	v_cndmask_b32_e64 v4, 0, 1, s[0:1]
	v_lshlrev_b32_e32 v4, 3, v4
	v_add_lshl_u32 v5, v4, v9, 2
	ds_bpermute_b32 v4, v5, v2
	ds_bpermute_b32 v5, v5, v3
	v_cmp_gt_u32_e64 s[0:1], 60, v10
	s_waitcnt lgkmcnt(0)
	v_add_f64 v[2:3], v[2:3], v[4:5]
	v_cndmask_b32_e64 v4, 0, 1, s[0:1]
	v_lshlrev_b32_e32 v4, 2, v4
	v_add_lshl_u32 v7, v4, v9, 2
	ds_bpermute_b32 v4, v7, v2
	ds_bpermute_b32 v5, v7, v3
	v_cmp_gt_u32_e64 s[0:1], 62, v10
	s_waitcnt lgkmcnt(0)
	v_add_f64 v[2:3], v[2:3], v[4:5]
	v_cndmask_b32_e64 v4, 0, 1, s[0:1]
	v_lshlrev_b32_e32 v4, 1, v4
	v_add_lshl_u32 v8, v4, v9, 2
	ds_bpermute_b32 v4, v8, v2
	ds_bpermute_b32 v5, v8, v3
	v_cmp_ne_u32_e64 s[0:1], 63, v10
	s_waitcnt lgkmcnt(0)
	v_add_f64 v[2:3], v[2:3], v[4:5]
	v_addc_co_u32_e64 v4, s[0:1], 0, v9, s[0:1]
	v_lshlrev_b32_e32 v9, 2, v4
	ds_bpermute_b32 v4, v9, v2
	ds_bpermute_b32 v5, v9, v3
	v_cmp_eq_u32_e64 s[0:1], 0, v6
	s_and_saveexec_b64 s[8:9], s[0:1]
	s_cbranch_execz .LBB629_8
; %bb.7:
	s_waitcnt lgkmcnt(0)
	v_add_f64 v[2:3], v[2:3], v[4:5]
	v_lshrrev_b32_e32 v4, 3, v0
	v_and_b32_e32 v4, 56, v4
	ds_write_b64 v4, v[2:3]
.LBB629_8:
	s_or_b64 exec, exec, s[8:9]
	v_cmp_gt_u32_e64 s[0:1], 8, v0
	v_pk_mov_b32 v[2:3], 0, 0
	s_waitcnt lgkmcnt(0)
	s_barrier
	s_and_saveexec_b64 s[8:9], s[0:1]
	s_cbranch_execnz .LBB629_12
; %bb.9:
	s_or_b64 exec, exec, s[8:9]
	s_and_saveexec_b64 s[0:1], vcc
	s_cbranch_execnz .LBB629_13
.LBB629_10:
	s_or_b64 exec, exec, s[0:1]
	v_cmp_eq_u32_e32 vcc, 0, v0
	s_and_saveexec_b64 s[0:1], vcc
	s_cbranch_execnz .LBB629_14
.LBB629_11:
	s_endpgm
.LBB629_12:
	ds_read_b64 v[2:3], v1
	s_or_b64 exec, exec, s[8:9]
	s_and_saveexec_b64 s[0:1], vcc
	s_cbranch_execz .LBB629_10
.LBB629_13:
	s_waitcnt lgkmcnt(0)
	ds_bpermute_b32 v4, v7, v2
	ds_bpermute_b32 v5, v7, v3
	s_waitcnt lgkmcnt(0)
	v_add_f64 v[2:3], v[2:3], v[4:5]
	ds_bpermute_b32 v4, v8, v2
	ds_bpermute_b32 v5, v8, v3
	s_waitcnt lgkmcnt(0)
	v_add_f64 v[2:3], v[2:3], v[4:5]
	ds_bpermute_b32 v4, v9, v2
	ds_bpermute_b32 v5, v9, v3
	s_waitcnt lgkmcnt(0)
	v_add_f64 v[2:3], v[2:3], v[4:5]
	s_or_b64 exec, exec, s[0:1]
	v_cmp_eq_u32_e32 vcc, 0, v0
	s_and_saveexec_b64 s[0:1], vcc
	s_cbranch_execz .LBB629_11
.LBB629_14:
	s_cmp_lg_u32 s10, 1
	s_cbranch_scc0 .LBB629_16
; %bb.15:
	s_load_dwordx2 s[0:1], s[4:5], 0x30
	s_mul_hi_u32 s9, s10, s2
	s_mul_i32 s8, s10, s2
	s_lshl_b64 s[8:9], s[8:9], 3
	s_mov_b32 s7, 0
	s_waitcnt lgkmcnt(0)
	s_add_u32 s8, s0, s8
	s_addc_u32 s9, s1, s9
	s_lshl_b64 s[0:1], s[6:7], 3
	s_add_u32 s0, s8, s0
	s_addc_u32 s1, s9, s1
	s_cbranch_execz .LBB629_17
	s_branch .LBB629_18
.LBB629_16:
                                        ; implicit-def: $sgpr0_sgpr1
.LBB629_17:
	s_load_dwordx2 s[0:1], s[4:5], 0x38
	s_lshl_b64 s[2:3], s[2:3], 3
	s_waitcnt lgkmcnt(0)
	s_add_u32 s0, s0, s2
	s_addc_u32 s1, s1, s3
.LBB629_18:
	v_mov_b32_e32 v0, 0
	s_waitcnt lgkmcnt(0)
	global_store_dwordx2 v0, v[2:3], s[0:1]
	s_endpgm
	.section	.rodata,"a",@progbits
	.p2align	6, 0x0
	.amdhsa_kernel _ZL24rocblas_dot_kernel_magsqIiLb0ELi512ELi2ELb1EdPKddEviT5_lT_liPT6_PT4_
		.amdhsa_group_segment_fixed_size 512
		.amdhsa_private_segment_fixed_size 0
		.amdhsa_kernarg_size 320
		.amdhsa_user_sgpr_count 6
		.amdhsa_user_sgpr_private_segment_buffer 1
		.amdhsa_user_sgpr_dispatch_ptr 0
		.amdhsa_user_sgpr_queue_ptr 0
		.amdhsa_user_sgpr_kernarg_segment_ptr 1
		.amdhsa_user_sgpr_dispatch_id 0
		.amdhsa_user_sgpr_flat_scratch_init 0
		.amdhsa_user_sgpr_kernarg_preload_length 0
		.amdhsa_user_sgpr_kernarg_preload_offset 0
		.amdhsa_user_sgpr_private_segment_size 0
		.amdhsa_uses_dynamic_stack 0
		.amdhsa_system_sgpr_private_segment_wavefront_offset 0
		.amdhsa_system_sgpr_workgroup_id_x 1
		.amdhsa_system_sgpr_workgroup_id_y 0
		.amdhsa_system_sgpr_workgroup_id_z 1
		.amdhsa_system_sgpr_workgroup_info 0
		.amdhsa_system_vgpr_workitem_id 0
		.amdhsa_next_free_vgpr 11
		.amdhsa_next_free_sgpr 17
		.amdhsa_accum_offset 12
		.amdhsa_reserve_vcc 1
		.amdhsa_reserve_flat_scratch 0
		.amdhsa_float_round_mode_32 0
		.amdhsa_float_round_mode_16_64 0
		.amdhsa_float_denorm_mode_32 3
		.amdhsa_float_denorm_mode_16_64 3
		.amdhsa_dx10_clamp 1
		.amdhsa_ieee_mode 1
		.amdhsa_fp16_overflow 0
		.amdhsa_tg_split 0
		.amdhsa_exception_fp_ieee_invalid_op 0
		.amdhsa_exception_fp_denorm_src 0
		.amdhsa_exception_fp_ieee_div_zero 0
		.amdhsa_exception_fp_ieee_overflow 0
		.amdhsa_exception_fp_ieee_underflow 0
		.amdhsa_exception_fp_ieee_inexact 0
		.amdhsa_exception_int_div_zero 0
	.end_amdhsa_kernel
	.section	.text._ZL24rocblas_dot_kernel_magsqIiLb0ELi512ELi2ELb1EdPKddEviT5_lT_liPT6_PT4_,"axG",@progbits,_ZL24rocblas_dot_kernel_magsqIiLb0ELi512ELi2ELb1EdPKddEviT5_lT_liPT6_PT4_,comdat
.Lfunc_end629:
	.size	_ZL24rocblas_dot_kernel_magsqIiLb0ELi512ELi2ELb1EdPKddEviT5_lT_liPT6_PT4_, .Lfunc_end629-_ZL24rocblas_dot_kernel_magsqIiLb0ELi512ELi2ELb1EdPKddEviT5_lT_liPT6_PT4_
                                        ; -- End function
	.section	.AMDGPU.csdata,"",@progbits
; Kernel info:
; codeLenInByte = 972
; NumSgprs: 21
; NumVgprs: 11
; NumAgprs: 0
; TotalNumVgprs: 11
; ScratchSize: 0
; MemoryBound: 0
; FloatMode: 240
; IeeeMode: 1
; LDSByteSize: 512 bytes/workgroup (compile time only)
; SGPRBlocks: 2
; VGPRBlocks: 1
; NumSGPRsForWavesPerEU: 21
; NumVGPRsForWavesPerEU: 11
; AccumOffset: 12
; Occupancy: 8
; WaveLimiterHint : 0
; COMPUTE_PGM_RSRC2:SCRATCH_EN: 0
; COMPUTE_PGM_RSRC2:USER_SGPR: 6
; COMPUTE_PGM_RSRC2:TRAP_HANDLER: 0
; COMPUTE_PGM_RSRC2:TGID_X_EN: 1
; COMPUTE_PGM_RSRC2:TGID_Y_EN: 0
; COMPUTE_PGM_RSRC2:TGID_Z_EN: 1
; COMPUTE_PGM_RSRC2:TIDIG_COMP_CNT: 0
; COMPUTE_PGM_RSRC3_GFX90A:ACCUM_OFFSET: 2
; COMPUTE_PGM_RSRC3_GFX90A:TG_SPLIT: 0
	.section	.text._ZL28rocblas_dot_batched_4_kernelIlLi32ELi4ELb1EddPKdEviT5_lT_lS2_lS3_liPT4_,"axG",@progbits,_ZL28rocblas_dot_batched_4_kernelIlLi32ELi4ELb1EddPKdEviT5_lT_lS2_lS3_liPT4_,comdat
	.globl	_ZL28rocblas_dot_batched_4_kernelIlLi32ELi4ELb1EddPKdEviT5_lT_lS2_lS3_liPT4_ ; -- Begin function _ZL28rocblas_dot_batched_4_kernelIlLi32ELi4ELb1EddPKdEviT5_lT_lS2_lS3_liPT4_
	.p2align	8
	.type	_ZL28rocblas_dot_batched_4_kernelIlLi32ELi4ELb1EddPKdEviT5_lT_lS2_lS3_liPT4_,@function
_ZL28rocblas_dot_batched_4_kernelIlLi32ELi4ELb1EddPKdEviT5_lT_lS2_lS3_liPT4_: ; @_ZL28rocblas_dot_batched_4_kernelIlLi32ELi4ELb1EddPKdEviT5_lT_lS2_lS3_liPT4_
; %bb.0:
	s_load_dword s0, s[4:5], 0x48
	v_bfe_u32 v1, v0, 10, 10
	v_lshl_add_u32 v2, s6, 2, v1
	s_waitcnt lgkmcnt(0)
	v_cmp_gt_u32_e32 vcc, s0, v2
	s_and_saveexec_b64 s[0:1], vcc
	s_cbranch_execz .LBB630_7
; %bb.1:
	s_load_dword s16, s[4:5], 0x0
	s_load_dwordx2 s[0:1], s[4:5], 0x50
	v_and_b32_e32 v8, 0x3ff, v0
	v_mov_b32_e32 v3, 0
	v_pk_mov_b32 v[0:1], 0, 0
	s_waitcnt lgkmcnt(0)
	v_cmp_gt_i32_e32 vcc, s16, v8
	s_and_saveexec_b64 s[2:3], vcc
	s_cbranch_execz .LBB630_5
; %bb.2:
	s_load_dwordx4 s[20:23], s[4:5], 0x10
	s_load_dwordx2 s[6:7], s[4:5], 0x8
	s_load_dwordx8 s[8:15], s[4:5], 0x20
	s_load_dwordx2 s[18:19], s[4:5], 0x40
	s_waitcnt lgkmcnt(0)
	v_mad_u64_u32 v[0:1], s[4:5], s22, v8, 0
	v_mov_b32_e32 v4, v1
	v_mad_u64_u32 v[4:5], s[4:5], s23, v8, v[4:5]
	v_mov_b32_e32 v1, v4
	;; [unrolled: 2-line block ×4, first 2 shown]
	v_lshlrev_b64 v[0:1], 3, v[0:1]
	v_lshlrev_b64 v[4:5], 3, v[4:5]
	s_lshl_b64 s[4:5], s[20:21], 3
	v_add_co_u32_e32 v0, vcc, v0, v4
	s_add_u32 s4, s6, s4
	v_addc_co_u32_e32 v1, vcc, v1, v5, vcc
	s_addc_u32 s5, s7, s5
	v_mov_b32_e32 v5, s5
	v_add_co_u32_e32 v4, vcc, s4, v0
	v_addc_co_u32_e32 v5, vcc, v5, v1, vcc
	v_mad_u64_u32 v[0:1], s[6:7], s14, v8, 0
	v_mov_b32_e32 v6, v1
	v_mad_u64_u32 v[6:7], s[6:7], s15, v8, v[6:7]
	v_mov_b32_e32 v1, v6
	;; [unrolled: 2-line block ×4, first 2 shown]
	s_lshl_b64 s[4:5], s[22:23], 8
	v_lshlrev_b64 v[0:1], 3, v[0:1]
	v_lshlrev_b64 v[6:7], 3, v[6:7]
	s_lshl_b64 s[6:7], s[12:13], 3
	v_add_co_u32_e32 v0, vcc, v0, v6
	s_add_u32 s6, s10, s6
	v_addc_co_u32_e32 v1, vcc, v1, v7, vcc
	s_addc_u32 s7, s11, s7
	v_mov_b32_e32 v7, s7
	v_add_co_u32_e32 v6, vcc, s6, v0
	s_lshl_b64 s[8:9], s[14:15], 8
	v_addc_co_u32_e32 v7, vcc, v7, v1, vcc
	s_mov_b64 s[6:7], 0
	v_pk_mov_b32 v[0:1], 0, 0
	v_mov_b32_e32 v9, s5
	v_mov_b32_e32 v10, s9
	;; [unrolled: 1-line block ×3, first 2 shown]
.LBB630_3:                              ; =>This Inner Loop Header: Depth=1
	global_load_dwordx2 v[12:13], v[4:5], off
	global_load_dwordx2 v[14:15], v[6:7], off
	v_add_co_u32_e32 v4, vcc, s4, v4
	v_addc_co_u32_e32 v5, vcc, v5, v9, vcc
	v_add_co_u32_e32 v6, vcc, s8, v6
	v_add_u32_e32 v11, 32, v11
	v_addc_co_u32_e32 v7, vcc, v7, v10, vcc
	v_cmp_le_i32_e32 vcc, s16, v11
	s_or_b64 s[6:7], vcc, s[6:7]
	s_waitcnt vmcnt(0)
	v_fmac_f64_e32 v[0:1], v[12:13], v[14:15]
	s_andn2_b64 exec, exec, s[6:7]
	s_cbranch_execnz .LBB630_3
; %bb.4:
	s_or_b64 exec, exec, s[6:7]
.LBB630_5:
	s_or_b64 exec, exec, s[2:3]
	v_mbcnt_lo_u32_b32 v4, -1, 0
	v_mbcnt_hi_u32_b32 v6, -1, v4
	v_and_b32_e32 v7, 63, v6
	v_cmp_gt_u32_e32 vcc, 48, v7
	v_cndmask_b32_e64 v4, 0, 1, vcc
	v_lshlrev_b32_e32 v4, 4, v4
	v_add_lshl_u32 v5, v4, v6, 2
	ds_bpermute_b32 v4, v5, v0
	ds_bpermute_b32 v5, v5, v1
	v_cmp_gt_u32_e32 vcc, 56, v7
	v_cndmask_b32_e64 v9, 0, 1, vcc
	v_cmp_gt_u32_e32 vcc, 60, v7
	s_waitcnt lgkmcnt(0)
	v_add_f64 v[0:1], v[0:1], v[4:5]
	v_lshlrev_b32_e32 v4, 3, v9
	v_add_lshl_u32 v5, v4, v6, 2
	ds_bpermute_b32 v4, v5, v0
	ds_bpermute_b32 v5, v5, v1
	s_barrier
	s_waitcnt lgkmcnt(0)
	v_add_f64 v[0:1], v[0:1], v[4:5]
	v_cndmask_b32_e64 v4, 0, 1, vcc
	v_lshlrev_b32_e32 v4, 2, v4
	v_add_lshl_u32 v5, v4, v6, 2
	ds_bpermute_b32 v4, v5, v0
	ds_bpermute_b32 v5, v5, v1
	v_cmp_gt_u32_e32 vcc, 62, v7
	s_waitcnt lgkmcnt(0)
	v_add_f64 v[0:1], v[0:1], v[4:5]
	v_cndmask_b32_e64 v4, 0, 1, vcc
	v_lshlrev_b32_e32 v4, 1, v4
	v_add_lshl_u32 v5, v4, v6, 2
	ds_bpermute_b32 v4, v5, v0
	ds_bpermute_b32 v5, v5, v1
	v_cmp_ne_u32_e32 vcc, 63, v7
	s_waitcnt lgkmcnt(0)
	v_add_f64 v[0:1], v[0:1], v[4:5]
	v_addc_co_u32_e32 v4, vcc, 0, v6, vcc
	v_lshlrev_b32_e32 v5, 2, v4
	ds_bpermute_b32 v4, v5, v0
	ds_bpermute_b32 v5, v5, v1
	v_cmp_eq_u32_e32 vcc, 0, v8
	s_and_b64 exec, exec, vcc
	s_cbranch_execz .LBB630_7
; %bb.6:
	v_lshlrev_b64 v[2:3], 3, v[2:3]
	v_mov_b32_e32 v6, s1
	v_add_co_u32_e32 v2, vcc, s0, v2
	v_addc_co_u32_e32 v3, vcc, v6, v3, vcc
	s_waitcnt lgkmcnt(0)
	v_add_f64 v[0:1], v[0:1], v[4:5]
	global_store_dwordx2 v[2:3], v[0:1], off
.LBB630_7:
	s_endpgm
	.section	.rodata,"a",@progbits
	.p2align	6, 0x0
	.amdhsa_kernel _ZL28rocblas_dot_batched_4_kernelIlLi32ELi4ELb1EddPKdEviT5_lT_lS2_lS3_liPT4_
		.amdhsa_group_segment_fixed_size 0
		.amdhsa_private_segment_fixed_size 0
		.amdhsa_kernarg_size 88
		.amdhsa_user_sgpr_count 6
		.amdhsa_user_sgpr_private_segment_buffer 1
		.amdhsa_user_sgpr_dispatch_ptr 0
		.amdhsa_user_sgpr_queue_ptr 0
		.amdhsa_user_sgpr_kernarg_segment_ptr 1
		.amdhsa_user_sgpr_dispatch_id 0
		.amdhsa_user_sgpr_flat_scratch_init 0
		.amdhsa_user_sgpr_kernarg_preload_length 0
		.amdhsa_user_sgpr_kernarg_preload_offset 0
		.amdhsa_user_sgpr_private_segment_size 0
		.amdhsa_uses_dynamic_stack 0
		.amdhsa_system_sgpr_private_segment_wavefront_offset 0
		.amdhsa_system_sgpr_workgroup_id_x 1
		.amdhsa_system_sgpr_workgroup_id_y 0
		.amdhsa_system_sgpr_workgroup_id_z 0
		.amdhsa_system_sgpr_workgroup_info 0
		.amdhsa_system_vgpr_workitem_id 1
		.amdhsa_next_free_vgpr 16
		.amdhsa_next_free_sgpr 24
		.amdhsa_accum_offset 16
		.amdhsa_reserve_vcc 1
		.amdhsa_reserve_flat_scratch 0
		.amdhsa_float_round_mode_32 0
		.amdhsa_float_round_mode_16_64 0
		.amdhsa_float_denorm_mode_32 3
		.amdhsa_float_denorm_mode_16_64 3
		.amdhsa_dx10_clamp 1
		.amdhsa_ieee_mode 1
		.amdhsa_fp16_overflow 0
		.amdhsa_tg_split 0
		.amdhsa_exception_fp_ieee_invalid_op 0
		.amdhsa_exception_fp_denorm_src 0
		.amdhsa_exception_fp_ieee_div_zero 0
		.amdhsa_exception_fp_ieee_overflow 0
		.amdhsa_exception_fp_ieee_underflow 0
		.amdhsa_exception_fp_ieee_inexact 0
		.amdhsa_exception_int_div_zero 0
	.end_amdhsa_kernel
	.section	.text._ZL28rocblas_dot_batched_4_kernelIlLi32ELi4ELb1EddPKdEviT5_lT_lS2_lS3_liPT4_,"axG",@progbits,_ZL28rocblas_dot_batched_4_kernelIlLi32ELi4ELb1EddPKdEviT5_lT_lS2_lS3_liPT4_,comdat
.Lfunc_end630:
	.size	_ZL28rocblas_dot_batched_4_kernelIlLi32ELi4ELb1EddPKdEviT5_lT_lS2_lS3_liPT4_, .Lfunc_end630-_ZL28rocblas_dot_batched_4_kernelIlLi32ELi4ELb1EddPKdEviT5_lT_lS2_lS3_liPT4_
                                        ; -- End function
	.section	.AMDGPU.csdata,"",@progbits
; Kernel info:
; codeLenInByte = 736
; NumSgprs: 28
; NumVgprs: 16
; NumAgprs: 0
; TotalNumVgprs: 16
; ScratchSize: 0
; MemoryBound: 0
; FloatMode: 240
; IeeeMode: 1
; LDSByteSize: 0 bytes/workgroup (compile time only)
; SGPRBlocks: 3
; VGPRBlocks: 1
; NumSGPRsForWavesPerEU: 28
; NumVGPRsForWavesPerEU: 16
; AccumOffset: 16
; Occupancy: 8
; WaveLimiterHint : 0
; COMPUTE_PGM_RSRC2:SCRATCH_EN: 0
; COMPUTE_PGM_RSRC2:USER_SGPR: 6
; COMPUTE_PGM_RSRC2:TRAP_HANDLER: 0
; COMPUTE_PGM_RSRC2:TGID_X_EN: 1
; COMPUTE_PGM_RSRC2:TGID_Y_EN: 0
; COMPUTE_PGM_RSRC2:TGID_Z_EN: 0
; COMPUTE_PGM_RSRC2:TIDIG_COMP_CNT: 1
; COMPUTE_PGM_RSRC3_GFX90A:ACCUM_OFFSET: 3
; COMPUTE_PGM_RSRC3_GFX90A:TG_SPLIT: 0
	.section	.text._ZL28rocblas_dot_batched_4_kernelIlLi64ELi4ELb1EddPKdEviT5_lT_lS2_lS3_liPT4_,"axG",@progbits,_ZL28rocblas_dot_batched_4_kernelIlLi64ELi4ELb1EddPKdEviT5_lT_lS2_lS3_liPT4_,comdat
	.globl	_ZL28rocblas_dot_batched_4_kernelIlLi64ELi4ELb1EddPKdEviT5_lT_lS2_lS3_liPT4_ ; -- Begin function _ZL28rocblas_dot_batched_4_kernelIlLi64ELi4ELb1EddPKdEviT5_lT_lS2_lS3_liPT4_
	.p2align	8
	.type	_ZL28rocblas_dot_batched_4_kernelIlLi64ELi4ELb1EddPKdEviT5_lT_lS2_lS3_liPT4_,@function
_ZL28rocblas_dot_batched_4_kernelIlLi64ELi4ELb1EddPKdEviT5_lT_lS2_lS3_liPT4_: ; @_ZL28rocblas_dot_batched_4_kernelIlLi64ELi4ELb1EddPKdEviT5_lT_lS2_lS3_liPT4_
; %bb.0:
	s_load_dword s0, s[4:5], 0x48
	v_bfe_u32 v1, v0, 10, 10
	v_lshl_add_u32 v2, s6, 2, v1
	s_waitcnt lgkmcnt(0)
	v_cmp_gt_u32_e32 vcc, s0, v2
	s_and_saveexec_b64 s[0:1], vcc
	s_cbranch_execz .LBB631_7
; %bb.1:
	s_load_dword s16, s[4:5], 0x0
	s_load_dwordx2 s[0:1], s[4:5], 0x50
	v_and_b32_e32 v8, 0x3ff, v0
	v_mov_b32_e32 v3, 0
	v_pk_mov_b32 v[0:1], 0, 0
	s_waitcnt lgkmcnt(0)
	v_cmp_gt_i32_e32 vcc, s16, v8
	s_and_saveexec_b64 s[2:3], vcc
	s_cbranch_execz .LBB631_5
; %bb.2:
	s_load_dwordx4 s[20:23], s[4:5], 0x10
	s_load_dwordx2 s[6:7], s[4:5], 0x8
	s_load_dwordx8 s[8:15], s[4:5], 0x20
	s_load_dwordx2 s[18:19], s[4:5], 0x40
	s_waitcnt lgkmcnt(0)
	v_mad_u64_u32 v[0:1], s[4:5], s22, v8, 0
	v_mov_b32_e32 v4, v1
	v_mad_u64_u32 v[4:5], s[4:5], s23, v8, v[4:5]
	v_mov_b32_e32 v1, v4
	;; [unrolled: 2-line block ×4, first 2 shown]
	v_lshlrev_b64 v[0:1], 3, v[0:1]
	v_lshlrev_b64 v[4:5], 3, v[4:5]
	s_lshl_b64 s[4:5], s[20:21], 3
	v_add_co_u32_e32 v0, vcc, v0, v4
	s_add_u32 s4, s6, s4
	v_addc_co_u32_e32 v1, vcc, v1, v5, vcc
	s_addc_u32 s5, s7, s5
	v_mov_b32_e32 v5, s5
	v_add_co_u32_e32 v4, vcc, s4, v0
	v_addc_co_u32_e32 v5, vcc, v5, v1, vcc
	v_mad_u64_u32 v[0:1], s[6:7], s14, v8, 0
	v_mov_b32_e32 v6, v1
	v_mad_u64_u32 v[6:7], s[6:7], s15, v8, v[6:7]
	v_mov_b32_e32 v1, v6
	;; [unrolled: 2-line block ×4, first 2 shown]
	s_lshl_b64 s[4:5], s[22:23], 9
	v_lshlrev_b64 v[0:1], 3, v[0:1]
	v_lshlrev_b64 v[6:7], 3, v[6:7]
	s_lshl_b64 s[6:7], s[12:13], 3
	v_add_co_u32_e32 v0, vcc, v0, v6
	s_add_u32 s6, s10, s6
	v_addc_co_u32_e32 v1, vcc, v1, v7, vcc
	s_addc_u32 s7, s11, s7
	v_mov_b32_e32 v7, s7
	v_add_co_u32_e32 v6, vcc, s6, v0
	s_lshl_b64 s[8:9], s[14:15], 9
	v_addc_co_u32_e32 v7, vcc, v7, v1, vcc
	s_mov_b64 s[6:7], 0
	v_pk_mov_b32 v[0:1], 0, 0
	v_mov_b32_e32 v9, s5
	v_mov_b32_e32 v10, s9
	;; [unrolled: 1-line block ×3, first 2 shown]
.LBB631_3:                              ; =>This Inner Loop Header: Depth=1
	global_load_dwordx2 v[12:13], v[4:5], off
	global_load_dwordx2 v[14:15], v[6:7], off
	v_add_co_u32_e32 v4, vcc, s4, v4
	v_addc_co_u32_e32 v5, vcc, v5, v9, vcc
	v_add_co_u32_e32 v6, vcc, s8, v6
	v_add_u32_e32 v11, 64, v11
	v_addc_co_u32_e32 v7, vcc, v7, v10, vcc
	v_cmp_le_i32_e32 vcc, s16, v11
	s_or_b64 s[6:7], vcc, s[6:7]
	s_waitcnt vmcnt(0)
	v_fmac_f64_e32 v[0:1], v[12:13], v[14:15]
	s_andn2_b64 exec, exec, s[6:7]
	s_cbranch_execnz .LBB631_3
; %bb.4:
	s_or_b64 exec, exec, s[6:7]
.LBB631_5:
	s_or_b64 exec, exec, s[2:3]
	v_mbcnt_lo_u32_b32 v4, -1, 0
	v_mbcnt_hi_u32_b32 v6, -1, v4
	v_and_b32_e32 v7, 63, v6
	v_cmp_gt_u32_e32 vcc, 32, v7
	v_cndmask_b32_e64 v4, 0, 1, vcc
	v_lshlrev_b32_e32 v4, 5, v4
	v_add_lshl_u32 v5, v4, v6, 2
	ds_bpermute_b32 v4, v5, v0
	ds_bpermute_b32 v5, v5, v1
	v_cmp_gt_u32_e32 vcc, 48, v7
	v_cndmask_b32_e64 v9, 0, 1, vcc
	v_cmp_gt_u32_e32 vcc, 56, v7
	s_waitcnt lgkmcnt(0)
	v_add_f64 v[0:1], v[0:1], v[4:5]
	v_lshlrev_b32_e32 v4, 4, v9
	v_add_lshl_u32 v5, v4, v6, 2
	ds_bpermute_b32 v4, v5, v0
	ds_bpermute_b32 v5, v5, v1
	s_barrier
	s_waitcnt lgkmcnt(0)
	v_add_f64 v[0:1], v[0:1], v[4:5]
	v_cndmask_b32_e64 v4, 0, 1, vcc
	v_lshlrev_b32_e32 v4, 3, v4
	v_add_lshl_u32 v5, v4, v6, 2
	ds_bpermute_b32 v4, v5, v0
	ds_bpermute_b32 v5, v5, v1
	v_cmp_gt_u32_e32 vcc, 60, v7
	s_waitcnt lgkmcnt(0)
	v_add_f64 v[0:1], v[0:1], v[4:5]
	v_cndmask_b32_e64 v4, 0, 1, vcc
	v_lshlrev_b32_e32 v4, 2, v4
	v_add_lshl_u32 v5, v4, v6, 2
	ds_bpermute_b32 v4, v5, v0
	ds_bpermute_b32 v5, v5, v1
	v_cmp_gt_u32_e32 vcc, 62, v7
	s_waitcnt lgkmcnt(0)
	v_add_f64 v[0:1], v[0:1], v[4:5]
	v_cndmask_b32_e64 v4, 0, 1, vcc
	v_lshlrev_b32_e32 v4, 1, v4
	v_add_lshl_u32 v5, v4, v6, 2
	ds_bpermute_b32 v4, v5, v0
	ds_bpermute_b32 v5, v5, v1
	v_cmp_ne_u32_e32 vcc, 63, v7
	s_waitcnt lgkmcnt(0)
	v_add_f64 v[0:1], v[0:1], v[4:5]
	v_addc_co_u32_e32 v4, vcc, 0, v6, vcc
	v_lshlrev_b32_e32 v5, 2, v4
	ds_bpermute_b32 v4, v5, v0
	ds_bpermute_b32 v5, v5, v1
	v_cmp_eq_u32_e32 vcc, 0, v8
	s_and_b64 exec, exec, vcc
	s_cbranch_execz .LBB631_7
; %bb.6:
	v_lshlrev_b64 v[2:3], 3, v[2:3]
	v_mov_b32_e32 v6, s1
	v_add_co_u32_e32 v2, vcc, s0, v2
	v_addc_co_u32_e32 v3, vcc, v6, v3, vcc
	s_waitcnt lgkmcnt(0)
	v_add_f64 v[0:1], v[0:1], v[4:5]
	global_store_dwordx2 v[2:3], v[0:1], off
.LBB631_7:
	s_endpgm
	.section	.rodata,"a",@progbits
	.p2align	6, 0x0
	.amdhsa_kernel _ZL28rocblas_dot_batched_4_kernelIlLi64ELi4ELb1EddPKdEviT5_lT_lS2_lS3_liPT4_
		.amdhsa_group_segment_fixed_size 0
		.amdhsa_private_segment_fixed_size 0
		.amdhsa_kernarg_size 88
		.amdhsa_user_sgpr_count 6
		.amdhsa_user_sgpr_private_segment_buffer 1
		.amdhsa_user_sgpr_dispatch_ptr 0
		.amdhsa_user_sgpr_queue_ptr 0
		.amdhsa_user_sgpr_kernarg_segment_ptr 1
		.amdhsa_user_sgpr_dispatch_id 0
		.amdhsa_user_sgpr_flat_scratch_init 0
		.amdhsa_user_sgpr_kernarg_preload_length 0
		.amdhsa_user_sgpr_kernarg_preload_offset 0
		.amdhsa_user_sgpr_private_segment_size 0
		.amdhsa_uses_dynamic_stack 0
		.amdhsa_system_sgpr_private_segment_wavefront_offset 0
		.amdhsa_system_sgpr_workgroup_id_x 1
		.amdhsa_system_sgpr_workgroup_id_y 0
		.amdhsa_system_sgpr_workgroup_id_z 0
		.amdhsa_system_sgpr_workgroup_info 0
		.amdhsa_system_vgpr_workitem_id 1
		.amdhsa_next_free_vgpr 16
		.amdhsa_next_free_sgpr 24
		.amdhsa_accum_offset 16
		.amdhsa_reserve_vcc 1
		.amdhsa_reserve_flat_scratch 0
		.amdhsa_float_round_mode_32 0
		.amdhsa_float_round_mode_16_64 0
		.amdhsa_float_denorm_mode_32 3
		.amdhsa_float_denorm_mode_16_64 3
		.amdhsa_dx10_clamp 1
		.amdhsa_ieee_mode 1
		.amdhsa_fp16_overflow 0
		.amdhsa_tg_split 0
		.amdhsa_exception_fp_ieee_invalid_op 0
		.amdhsa_exception_fp_denorm_src 0
		.amdhsa_exception_fp_ieee_div_zero 0
		.amdhsa_exception_fp_ieee_overflow 0
		.amdhsa_exception_fp_ieee_underflow 0
		.amdhsa_exception_fp_ieee_inexact 0
		.amdhsa_exception_int_div_zero 0
	.end_amdhsa_kernel
	.section	.text._ZL28rocblas_dot_batched_4_kernelIlLi64ELi4ELb1EddPKdEviT5_lT_lS2_lS3_liPT4_,"axG",@progbits,_ZL28rocblas_dot_batched_4_kernelIlLi64ELi4ELb1EddPKdEviT5_lT_lS2_lS3_liPT4_,comdat
.Lfunc_end631:
	.size	_ZL28rocblas_dot_batched_4_kernelIlLi64ELi4ELb1EddPKdEviT5_lT_lS2_lS3_liPT4_, .Lfunc_end631-_ZL28rocblas_dot_batched_4_kernelIlLi64ELi4ELb1EddPKdEviT5_lT_lS2_lS3_liPT4_
                                        ; -- End function
	.section	.AMDGPU.csdata,"",@progbits
; Kernel info:
; codeLenInByte = 788
; NumSgprs: 28
; NumVgprs: 16
; NumAgprs: 0
; TotalNumVgprs: 16
; ScratchSize: 0
; MemoryBound: 0
; FloatMode: 240
; IeeeMode: 1
; LDSByteSize: 0 bytes/workgroup (compile time only)
; SGPRBlocks: 3
; VGPRBlocks: 1
; NumSGPRsForWavesPerEU: 28
; NumVGPRsForWavesPerEU: 16
; AccumOffset: 16
; Occupancy: 8
; WaveLimiterHint : 0
; COMPUTE_PGM_RSRC2:SCRATCH_EN: 0
; COMPUTE_PGM_RSRC2:USER_SGPR: 6
; COMPUTE_PGM_RSRC2:TRAP_HANDLER: 0
; COMPUTE_PGM_RSRC2:TGID_X_EN: 1
; COMPUTE_PGM_RSRC2:TGID_Y_EN: 0
; COMPUTE_PGM_RSRC2:TGID_Z_EN: 0
; COMPUTE_PGM_RSRC2:TIDIG_COMP_CNT: 1
; COMPUTE_PGM_RSRC3_GFX90A:ACCUM_OFFSET: 3
; COMPUTE_PGM_RSRC3_GFX90A:TG_SPLIT: 0
	.section	.text._ZL18rocblas_dot_kernelIlLb1ELi1024ELi32ELb1EdPKddEviT5_lT_lS2_lS3_liPT6_PT4_,"axG",@progbits,_ZL18rocblas_dot_kernelIlLb1ELi1024ELi32ELb1EdPKddEviT5_lT_lS2_lS3_liPT6_PT4_,comdat
	.globl	_ZL18rocblas_dot_kernelIlLb1ELi1024ELi32ELb1EdPKddEviT5_lT_lS2_lS3_liPT6_PT4_ ; -- Begin function _ZL18rocblas_dot_kernelIlLb1ELi1024ELi32ELb1EdPKddEviT5_lT_lS2_lS3_liPT6_PT4_
	.p2align	8
	.type	_ZL18rocblas_dot_kernelIlLb1ELi1024ELi32ELb1EdPKddEviT5_lT_lS2_lS3_liPT6_PT4_,@function
_ZL18rocblas_dot_kernelIlLb1ELi1024ELi32ELb1EdPKddEviT5_lT_lS2_lS3_liPT6_PT4_: ; @_ZL18rocblas_dot_kernelIlLb1ELi1024ELi32ELb1EdPKddEviT5_lT_lS2_lS3_liPT6_PT4_
; %bb.0:
	s_mov_b32 s2, s7
	s_load_dword s18, s[4:5], 0x0
	s_load_dwordx2 s[6:7], s[4:5], 0x58
	s_mov_b32 s3, 0
	v_pk_mov_b32 v[2:3], 0, 0
	s_waitcnt lgkmcnt(0)
	v_cmp_gt_i32_e32 vcc, s18, v0
	s_and_saveexec_b64 s[16:17], vcc
	s_cbranch_execz .LBB632_4
; %bb.1:
	s_load_dword s19, s[4:5], 0x60
	s_load_dwordx2 s[0:1], s[4:5], 0x40
	s_load_dwordx8 s[8:15], s[4:5], 0x20
	s_load_dwordx2 s[24:25], s[4:5], 0x8
	s_load_dwordx4 s[20:23], s[4:5], 0x10
	s_waitcnt lgkmcnt(0)
	s_lshl_b32 s19, s19, 10
	s_mul_i32 s1, s1, s2
	s_mul_i32 s4, s9, s2
	s_mul_hi_u32 s5, s8, s2
	s_add_i32 s5, s5, s4
	s_mul_i32 s4, s8, s2
	v_mad_u64_u32 v[2:3], s[8:9], s22, v0, 0
	v_mov_b32_e32 v4, v3
	v_mad_u64_u32 v[4:5], s[8:9], s23, v0, v[4:5]
	s_lshl_b64 s[4:5], s[4:5], 3
	s_lshl_b64 s[8:9], s[20:21], 3
	s_add_u32 s8, s24, s8
	s_addc_u32 s9, s25, s9
	v_mov_b32_e32 v3, v4
	s_add_u32 s4, s8, s4
	v_lshlrev_b64 v[2:3], 3, v[2:3]
	s_addc_u32 s5, s9, s5
	v_mov_b32_e32 v5, s5
	v_add_co_u32_e32 v4, vcc, s4, v2
	s_ashr_i32 s20, s19, 31
	s_mul_hi_u32 s8, s0, s2
	v_addc_co_u32_e32 v5, vcc, v5, v3, vcc
	s_mul_i32 s4, s22, s20
	s_mul_hi_u32 s5, s22, s19
	s_add_i32 s1, s8, s1
	v_mad_u64_u32 v[2:3], s[8:9], s14, v0, 0
	s_add_i32 s4, s5, s4
	s_mul_i32 s5, s23, s19
	v_mov_b32_e32 v6, v3
	s_add_i32 s5, s4, s5
	s_mul_i32 s4, s22, s19
	s_mul_i32 s0, s0, s2
	v_mad_u64_u32 v[6:7], s[8:9], s15, v0, v[6:7]
	s_lshl_b64 s[4:5], s[4:5], 3
	s_lshl_b64 s[0:1], s[0:1], 3
	;; [unrolled: 1-line block ×3, first 2 shown]
	s_add_u32 s8, s10, s8
	s_addc_u32 s9, s11, s9
	v_mov_b32_e32 v3, v6
	s_add_u32 s0, s8, s0
	v_lshlrev_b64 v[2:3], 3, v[2:3]
	s_addc_u32 s1, s9, s1
	v_mov_b32_e32 v7, s1
	v_add_co_u32_e32 v6, vcc, s0, v2
	s_mul_i32 s0, s14, s20
	s_mul_hi_u32 s1, s14, s19
	s_add_i32 s0, s1, s0
	s_mul_i32 s1, s15, s19
	s_add_i32 s1, s0, s1
	s_mul_i32 s0, s14, s19
	s_lshl_b64 s[10:11], s[0:1], 3
	v_or_b32_e32 v1, s19, v0
	v_addc_co_u32_e32 v7, vcc, v7, v3, vcc
	s_mov_b64 s[8:9], 0
	v_pk_mov_b32 v[2:3], 0, 0
	v_mov_b32_e32 v8, s5
	v_mov_b32_e32 v9, s11
	s_mov_b32 s5, s3
.LBB632_2:                              ; =>This Inner Loop Header: Depth=1
	global_load_dwordx2 v[10:11], v[6:7], off
	global_load_dwordx2 v[12:13], v[4:5], off
	v_add_co_u32_e64 v4, s[0:1], s4, v4
	v_addc_co_u32_e64 v5, s[0:1], v5, v8, s[0:1]
	s_add_i32 s11, s5, 1
	v_add_co_u32_e64 v6, s[0:1], s10, v6
	v_addc_co_u32_e64 v7, s[0:1], v7, v9, s[0:1]
	s_cmp_gt_u32 s5, 30
	v_cmp_le_i32_e32 vcc, s18, v1
	s_cselect_b64 s[0:1], -1, 0
	s_or_b64 s[0:1], s[0:1], vcc
	s_and_b64 s[0:1], exec, s[0:1]
	v_add_u32_e32 v1, s19, v1
	s_mov_b32 s5, s11
	s_or_b64 s[8:9], s[0:1], s[8:9]
	s_waitcnt vmcnt(0)
	v_fmac_f64_e32 v[2:3], v[10:11], v[12:13]
	s_andn2_b64 exec, exec, s[8:9]
	s_cbranch_execnz .LBB632_2
; %bb.3:
	s_or_b64 exec, exec, s[8:9]
.LBB632_4:
	s_or_b64 exec, exec, s[16:17]
	v_and_b32_e32 v6, 63, v0
	v_cmp_gt_u32_e32 vcc, 64, v0
	v_lshlrev_b32_e32 v1, 3, v6
	s_and_saveexec_b64 s[0:1], vcc
	s_cbranch_execz .LBB632_6
; %bb.5:
	v_mov_b32_e32 v4, 0
	v_mov_b32_e32 v5, v4
	ds_write_b64 v1, v[4:5]
.LBB632_6:
	s_or_b64 exec, exec, s[0:1]
	v_mbcnt_lo_u32_b32 v4, -1, 0
	v_mbcnt_hi_u32_b32 v10, -1, v4
	v_and_b32_e32 v11, 63, v10
	v_cmp_gt_u32_e64 s[0:1], 32, v11
	v_cndmask_b32_e64 v4, 0, 1, s[0:1]
	v_lshlrev_b32_e32 v4, 5, v4
	v_add_lshl_u32 v5, v4, v10, 2
	ds_bpermute_b32 v4, v5, v2
	ds_bpermute_b32 v5, v5, v3
	v_cmp_gt_u32_e64 s[0:1], 48, v11
	v_cndmask_b32_e64 v7, 0, 1, s[0:1]
	v_cmp_gt_u32_e64 s[0:1], 56, v11
	s_waitcnt lgkmcnt(0)
	v_add_f64 v[2:3], v[2:3], v[4:5]
	v_lshlrev_b32_e32 v4, 4, v7
	v_add_lshl_u32 v5, v4, v10, 2
	ds_bpermute_b32 v4, v5, v2
	ds_bpermute_b32 v5, v5, v3
	s_barrier
	s_waitcnt lgkmcnt(0)
	v_add_f64 v[2:3], v[2:3], v[4:5]
	v_cndmask_b32_e64 v4, 0, 1, s[0:1]
	v_lshlrev_b32_e32 v4, 3, v4
	v_add_lshl_u32 v7, v4, v10, 2
	ds_bpermute_b32 v4, v7, v2
	ds_bpermute_b32 v5, v7, v3
	v_cmp_gt_u32_e64 s[0:1], 60, v11
	s_waitcnt lgkmcnt(0)
	v_add_f64 v[2:3], v[2:3], v[4:5]
	v_cndmask_b32_e64 v4, 0, 1, s[0:1]
	v_lshlrev_b32_e32 v4, 2, v4
	v_add_lshl_u32 v8, v4, v10, 2
	ds_bpermute_b32 v4, v8, v2
	ds_bpermute_b32 v5, v8, v3
	v_cmp_gt_u32_e64 s[0:1], 62, v11
	s_waitcnt lgkmcnt(0)
	v_add_f64 v[2:3], v[2:3], v[4:5]
	v_cndmask_b32_e64 v4, 0, 1, s[0:1]
	v_lshlrev_b32_e32 v4, 1, v4
	v_add_lshl_u32 v9, v4, v10, 2
	ds_bpermute_b32 v4, v9, v2
	ds_bpermute_b32 v5, v9, v3
	v_cmp_ne_u32_e64 s[0:1], 63, v11
	s_waitcnt lgkmcnt(0)
	v_add_f64 v[2:3], v[2:3], v[4:5]
	v_addc_co_u32_e64 v4, s[0:1], 0, v10, s[0:1]
	v_lshlrev_b32_e32 v10, 2, v4
	ds_bpermute_b32 v4, v10, v2
	ds_bpermute_b32 v5, v10, v3
	v_cmp_eq_u32_e64 s[0:1], 0, v6
	s_and_saveexec_b64 s[4:5], s[0:1]
	s_cbranch_execz .LBB632_8
; %bb.7:
	s_waitcnt lgkmcnt(0)
	v_add_f64 v[2:3], v[2:3], v[4:5]
	v_lshrrev_b32_e32 v4, 3, v0
	v_and_b32_e32 v4, 0x78, v4
	ds_write_b64 v4, v[2:3]
.LBB632_8:
	s_or_b64 exec, exec, s[4:5]
	v_cmp_gt_u32_e64 s[0:1], 16, v0
	v_pk_mov_b32 v[2:3], 0, 0
	s_waitcnt lgkmcnt(0)
	s_barrier
	s_and_saveexec_b64 s[4:5], s[0:1]
	s_cbranch_execnz .LBB632_12
; %bb.9:
	s_or_b64 exec, exec, s[4:5]
	s_and_saveexec_b64 s[0:1], vcc
	s_cbranch_execnz .LBB632_13
.LBB632_10:
	s_or_b64 exec, exec, s[0:1]
	v_cmp_eq_u32_e32 vcc, 0, v0
	s_and_saveexec_b64 s[0:1], vcc
	s_cbranch_execnz .LBB632_14
.LBB632_11:
	s_endpgm
.LBB632_12:
	ds_read_b64 v[2:3], v1
	s_or_b64 exec, exec, s[4:5]
	s_and_saveexec_b64 s[0:1], vcc
	s_cbranch_execz .LBB632_10
.LBB632_13:
	s_waitcnt lgkmcnt(0)
	ds_bpermute_b32 v4, v7, v2
	ds_bpermute_b32 v5, v7, v3
	s_waitcnt lgkmcnt(0)
	v_add_f64 v[2:3], v[2:3], v[4:5]
	ds_bpermute_b32 v4, v8, v2
	ds_bpermute_b32 v5, v8, v3
	s_waitcnt lgkmcnt(0)
	v_add_f64 v[2:3], v[2:3], v[4:5]
	;; [unrolled: 4-line block ×4, first 2 shown]
	s_or_b64 exec, exec, s[0:1]
	v_cmp_eq_u32_e32 vcc, 0, v0
	s_and_saveexec_b64 s[0:1], vcc
	s_cbranch_execz .LBB632_11
.LBB632_14:
	s_lshl_b64 s[0:1], s[2:3], 3
	s_add_u32 s0, s6, s0
	s_addc_u32 s1, s7, s1
	v_mov_b32_e32 v0, 0
	s_waitcnt lgkmcnt(0)
	global_store_dwordx2 v0, v[2:3], s[0:1]
	s_endpgm
	.section	.rodata,"a",@progbits
	.p2align	6, 0x0
	.amdhsa_kernel _ZL18rocblas_dot_kernelIlLb1ELi1024ELi32ELb1EdPKddEviT5_lT_lS2_lS3_liPT6_PT4_
		.amdhsa_group_segment_fixed_size 512
		.amdhsa_private_segment_fixed_size 0
		.amdhsa_kernarg_size 352
		.amdhsa_user_sgpr_count 6
		.amdhsa_user_sgpr_private_segment_buffer 1
		.amdhsa_user_sgpr_dispatch_ptr 0
		.amdhsa_user_sgpr_queue_ptr 0
		.amdhsa_user_sgpr_kernarg_segment_ptr 1
		.amdhsa_user_sgpr_dispatch_id 0
		.amdhsa_user_sgpr_flat_scratch_init 0
		.amdhsa_user_sgpr_kernarg_preload_length 0
		.amdhsa_user_sgpr_kernarg_preload_offset 0
		.amdhsa_user_sgpr_private_segment_size 0
		.amdhsa_uses_dynamic_stack 0
		.amdhsa_system_sgpr_private_segment_wavefront_offset 0
		.amdhsa_system_sgpr_workgroup_id_x 1
		.amdhsa_system_sgpr_workgroup_id_y 0
		.amdhsa_system_sgpr_workgroup_id_z 1
		.amdhsa_system_sgpr_workgroup_info 0
		.amdhsa_system_vgpr_workitem_id 0
		.amdhsa_next_free_vgpr 14
		.amdhsa_next_free_sgpr 26
		.amdhsa_accum_offset 16
		.amdhsa_reserve_vcc 1
		.amdhsa_reserve_flat_scratch 0
		.amdhsa_float_round_mode_32 0
		.amdhsa_float_round_mode_16_64 0
		.amdhsa_float_denorm_mode_32 3
		.amdhsa_float_denorm_mode_16_64 3
		.amdhsa_dx10_clamp 1
		.amdhsa_ieee_mode 1
		.amdhsa_fp16_overflow 0
		.amdhsa_tg_split 0
		.amdhsa_exception_fp_ieee_invalid_op 0
		.amdhsa_exception_fp_denorm_src 0
		.amdhsa_exception_fp_ieee_div_zero 0
		.amdhsa_exception_fp_ieee_overflow 0
		.amdhsa_exception_fp_ieee_underflow 0
		.amdhsa_exception_fp_ieee_inexact 0
		.amdhsa_exception_int_div_zero 0
	.end_amdhsa_kernel
	.section	.text._ZL18rocblas_dot_kernelIlLb1ELi1024ELi32ELb1EdPKddEviT5_lT_lS2_lS3_liPT6_PT4_,"axG",@progbits,_ZL18rocblas_dot_kernelIlLb1ELi1024ELi32ELb1EdPKddEviT5_lT_lS2_lS3_liPT6_PT4_,comdat
.Lfunc_end632:
	.size	_ZL18rocblas_dot_kernelIlLb1ELi1024ELi32ELb1EdPKddEviT5_lT_lS2_lS3_liPT6_PT4_, .Lfunc_end632-_ZL18rocblas_dot_kernelIlLb1ELi1024ELi32ELb1EdPKddEviT5_lT_lS2_lS3_liPT6_PT4_
                                        ; -- End function
	.section	.AMDGPU.csdata,"",@progbits
; Kernel info:
; codeLenInByte = 1140
; NumSgprs: 30
; NumVgprs: 14
; NumAgprs: 0
; TotalNumVgprs: 14
; ScratchSize: 0
; MemoryBound: 0
; FloatMode: 240
; IeeeMode: 1
; LDSByteSize: 512 bytes/workgroup (compile time only)
; SGPRBlocks: 3
; VGPRBlocks: 1
; NumSGPRsForWavesPerEU: 30
; NumVGPRsForWavesPerEU: 14
; AccumOffset: 16
; Occupancy: 8
; WaveLimiterHint : 0
; COMPUTE_PGM_RSRC2:SCRATCH_EN: 0
; COMPUTE_PGM_RSRC2:USER_SGPR: 6
; COMPUTE_PGM_RSRC2:TRAP_HANDLER: 0
; COMPUTE_PGM_RSRC2:TGID_X_EN: 1
; COMPUTE_PGM_RSRC2:TGID_Y_EN: 0
; COMPUTE_PGM_RSRC2:TGID_Z_EN: 1
; COMPUTE_PGM_RSRC2:TIDIG_COMP_CNT: 0
; COMPUTE_PGM_RSRC3_GFX90A:ACCUM_OFFSET: 3
; COMPUTE_PGM_RSRC3_GFX90A:TG_SPLIT: 0
	.section	.text._ZL24rocblas_dot_kernel_magsqIlLb1ELi1024ELi32ELb1EdPKddEviT5_lT_liPT6_PT4_,"axG",@progbits,_ZL24rocblas_dot_kernel_magsqIlLb1ELi1024ELi32ELb1EdPKddEviT5_lT_liPT6_PT4_,comdat
	.globl	_ZL24rocblas_dot_kernel_magsqIlLb1ELi1024ELi32ELb1EdPKddEviT5_lT_liPT6_PT4_ ; -- Begin function _ZL24rocblas_dot_kernel_magsqIlLb1ELi1024ELi32ELb1EdPKddEviT5_lT_liPT6_PT4_
	.p2align	8
	.type	_ZL24rocblas_dot_kernel_magsqIlLb1ELi1024ELi32ELb1EdPKddEviT5_lT_liPT6_PT4_,@function
_ZL24rocblas_dot_kernel_magsqIlLb1ELi1024ELi32ELb1EdPKddEviT5_lT_liPT6_PT4_: ; @_ZL24rocblas_dot_kernel_magsqIlLb1ELi1024ELi32ELb1EdPKddEviT5_lT_liPT6_PT4_
; %bb.0:
	s_mov_b32 s2, s7
	s_load_dword s12, s[4:5], 0x0
	s_load_dwordx2 s[6:7], s[4:5], 0x38
	s_mov_b32 s3, 0
	v_pk_mov_b32 v[2:3], 0, 0
	s_waitcnt lgkmcnt(0)
	v_cmp_gt_i32_e32 vcc, s12, v0
	s_and_saveexec_b64 s[8:9], vcc
	s_cbranch_execz .LBB633_4
; %bb.1:
	s_load_dword s13, s[4:5], 0x40
	s_load_dwordx2 s[0:1], s[4:5], 0x20
	s_load_dwordx2 s[10:11], s[4:5], 0x8
	s_load_dwordx4 s[16:19], s[4:5], 0x10
	s_waitcnt lgkmcnt(0)
	s_lshl_b32 s13, s13, 10
	s_mul_i32 s1, s1, s2
	s_mul_hi_u32 s4, s0, s2
	s_add_i32 s1, s4, s1
	v_mad_u64_u32 v[2:3], s[4:5], s18, v0, 0
	v_mov_b32_e32 v4, v3
	s_mul_i32 s0, s0, s2
	v_mad_u64_u32 v[4:5], s[4:5], s19, v0, v[4:5]
	s_lshl_b64 s[0:1], s[0:1], 3
	s_lshl_b64 s[4:5], s[16:17], 3
	s_add_u32 s4, s10, s4
	v_mov_b32_e32 v3, v4
	s_addc_u32 s5, s11, s5
	v_lshlrev_b64 v[2:3], 3, v[2:3]
	s_add_u32 s0, s4, s0
	s_addc_u32 s1, s5, s1
	v_add_co_u32_e32 v4, vcc, s0, v2
	s_ashr_i32 s0, s13, 31
	v_mov_b32_e32 v5, s1
	s_mul_i32 s0, s18, s0
	s_mul_hi_u32 s1, s18, s13
	s_add_i32 s0, s1, s0
	s_mul_i32 s1, s19, s13
	s_add_i32 s1, s0, s1
	s_mul_i32 s0, s18, s13
	s_lshl_b64 s[10:11], s[0:1], 3
	v_or_b32_e32 v1, s13, v0
	v_addc_co_u32_e32 v5, vcc, v5, v3, vcc
	s_mov_b64 s[4:5], 0
	v_pk_mov_b32 v[2:3], 0, 0
	v_mov_b32_e32 v6, s11
	s_mov_b32 s11, s3
.LBB633_2:                              ; =>This Inner Loop Header: Depth=1
	global_load_dwordx2 v[8:9], v[4:5], off
	s_add_i32 s14, s11, 1
	v_add_co_u32_e64 v4, s[0:1], s10, v4
	v_addc_co_u32_e64 v5, s[0:1], v5, v6, s[0:1]
	s_cmp_gt_u32 s11, 30
	v_cmp_le_i32_e32 vcc, s12, v1
	s_cselect_b64 s[0:1], -1, 0
	s_or_b64 s[0:1], s[0:1], vcc
	s_and_b64 s[0:1], exec, s[0:1]
	v_add_u32_e32 v1, s13, v1
	s_mov_b32 s11, s14
	s_or_b64 s[4:5], s[0:1], s[4:5]
	s_waitcnt vmcnt(0)
	v_fmac_f64_e32 v[2:3], v[8:9], v[8:9]
	s_andn2_b64 exec, exec, s[4:5]
	s_cbranch_execnz .LBB633_2
; %bb.3:
	s_or_b64 exec, exec, s[4:5]
.LBB633_4:
	s_or_b64 exec, exec, s[8:9]
	v_and_b32_e32 v6, 63, v0
	v_cmp_gt_u32_e32 vcc, 64, v0
	v_lshlrev_b32_e32 v1, 3, v6
	s_and_saveexec_b64 s[0:1], vcc
	s_cbranch_execz .LBB633_6
; %bb.5:
	v_mov_b32_e32 v4, 0
	v_mov_b32_e32 v5, v4
	ds_write_b64 v1, v[4:5]
.LBB633_6:
	s_or_b64 exec, exec, s[0:1]
	v_mbcnt_lo_u32_b32 v4, -1, 0
	v_mbcnt_hi_u32_b32 v10, -1, v4
	v_and_b32_e32 v11, 63, v10
	v_cmp_gt_u32_e64 s[0:1], 32, v11
	v_cndmask_b32_e64 v4, 0, 1, s[0:1]
	v_lshlrev_b32_e32 v4, 5, v4
	v_add_lshl_u32 v5, v4, v10, 2
	ds_bpermute_b32 v4, v5, v2
	ds_bpermute_b32 v5, v5, v3
	v_cmp_gt_u32_e64 s[0:1], 48, v11
	v_cndmask_b32_e64 v7, 0, 1, s[0:1]
	v_cmp_gt_u32_e64 s[0:1], 56, v11
	s_waitcnt lgkmcnt(0)
	v_add_f64 v[2:3], v[2:3], v[4:5]
	v_lshlrev_b32_e32 v4, 4, v7
	v_add_lshl_u32 v5, v4, v10, 2
	ds_bpermute_b32 v4, v5, v2
	ds_bpermute_b32 v5, v5, v3
	s_barrier
	s_waitcnt lgkmcnt(0)
	v_add_f64 v[2:3], v[2:3], v[4:5]
	v_cndmask_b32_e64 v4, 0, 1, s[0:1]
	v_lshlrev_b32_e32 v4, 3, v4
	v_add_lshl_u32 v7, v4, v10, 2
	ds_bpermute_b32 v4, v7, v2
	ds_bpermute_b32 v5, v7, v3
	v_cmp_gt_u32_e64 s[0:1], 60, v11
	s_waitcnt lgkmcnt(0)
	v_add_f64 v[2:3], v[2:3], v[4:5]
	v_cndmask_b32_e64 v4, 0, 1, s[0:1]
	v_lshlrev_b32_e32 v4, 2, v4
	v_add_lshl_u32 v8, v4, v10, 2
	ds_bpermute_b32 v4, v8, v2
	ds_bpermute_b32 v5, v8, v3
	v_cmp_gt_u32_e64 s[0:1], 62, v11
	s_waitcnt lgkmcnt(0)
	v_add_f64 v[2:3], v[2:3], v[4:5]
	v_cndmask_b32_e64 v4, 0, 1, s[0:1]
	v_lshlrev_b32_e32 v4, 1, v4
	v_add_lshl_u32 v9, v4, v10, 2
	ds_bpermute_b32 v4, v9, v2
	ds_bpermute_b32 v5, v9, v3
	v_cmp_ne_u32_e64 s[0:1], 63, v11
	s_waitcnt lgkmcnt(0)
	v_add_f64 v[2:3], v[2:3], v[4:5]
	v_addc_co_u32_e64 v4, s[0:1], 0, v10, s[0:1]
	v_lshlrev_b32_e32 v10, 2, v4
	ds_bpermute_b32 v4, v10, v2
	ds_bpermute_b32 v5, v10, v3
	v_cmp_eq_u32_e64 s[0:1], 0, v6
	s_and_saveexec_b64 s[4:5], s[0:1]
	s_cbranch_execz .LBB633_8
; %bb.7:
	s_waitcnt lgkmcnt(0)
	v_add_f64 v[2:3], v[2:3], v[4:5]
	v_lshrrev_b32_e32 v4, 3, v0
	v_and_b32_e32 v4, 0x78, v4
	ds_write_b64 v4, v[2:3]
.LBB633_8:
	s_or_b64 exec, exec, s[4:5]
	v_cmp_gt_u32_e64 s[0:1], 16, v0
	v_pk_mov_b32 v[2:3], 0, 0
	s_waitcnt lgkmcnt(0)
	s_barrier
	s_and_saveexec_b64 s[4:5], s[0:1]
	s_cbranch_execnz .LBB633_12
; %bb.9:
	s_or_b64 exec, exec, s[4:5]
	s_and_saveexec_b64 s[0:1], vcc
	s_cbranch_execnz .LBB633_13
.LBB633_10:
	s_or_b64 exec, exec, s[0:1]
	v_cmp_eq_u32_e32 vcc, 0, v0
	s_and_saveexec_b64 s[0:1], vcc
	s_cbranch_execnz .LBB633_14
.LBB633_11:
	s_endpgm
.LBB633_12:
	ds_read_b64 v[2:3], v1
	s_or_b64 exec, exec, s[4:5]
	s_and_saveexec_b64 s[0:1], vcc
	s_cbranch_execz .LBB633_10
.LBB633_13:
	s_waitcnt lgkmcnt(0)
	ds_bpermute_b32 v4, v7, v2
	ds_bpermute_b32 v5, v7, v3
	s_waitcnt lgkmcnt(0)
	v_add_f64 v[2:3], v[2:3], v[4:5]
	ds_bpermute_b32 v4, v8, v2
	ds_bpermute_b32 v5, v8, v3
	s_waitcnt lgkmcnt(0)
	v_add_f64 v[2:3], v[2:3], v[4:5]
	;; [unrolled: 4-line block ×4, first 2 shown]
	s_or_b64 exec, exec, s[0:1]
	v_cmp_eq_u32_e32 vcc, 0, v0
	s_and_saveexec_b64 s[0:1], vcc
	s_cbranch_execz .LBB633_11
.LBB633_14:
	s_lshl_b64 s[0:1], s[2:3], 3
	s_add_u32 s0, s6, s0
	s_addc_u32 s1, s7, s1
	v_mov_b32_e32 v0, 0
	s_waitcnt lgkmcnt(0)
	global_store_dwordx2 v0, v[2:3], s[0:1]
	s_endpgm
	.section	.rodata,"a",@progbits
	.p2align	6, 0x0
	.amdhsa_kernel _ZL24rocblas_dot_kernel_magsqIlLb1ELi1024ELi32ELb1EdPKddEviT5_lT_liPT6_PT4_
		.amdhsa_group_segment_fixed_size 512
		.amdhsa_private_segment_fixed_size 0
		.amdhsa_kernarg_size 320
		.amdhsa_user_sgpr_count 6
		.amdhsa_user_sgpr_private_segment_buffer 1
		.amdhsa_user_sgpr_dispatch_ptr 0
		.amdhsa_user_sgpr_queue_ptr 0
		.amdhsa_user_sgpr_kernarg_segment_ptr 1
		.amdhsa_user_sgpr_dispatch_id 0
		.amdhsa_user_sgpr_flat_scratch_init 0
		.amdhsa_user_sgpr_kernarg_preload_length 0
		.amdhsa_user_sgpr_kernarg_preload_offset 0
		.amdhsa_user_sgpr_private_segment_size 0
		.amdhsa_uses_dynamic_stack 0
		.amdhsa_system_sgpr_private_segment_wavefront_offset 0
		.amdhsa_system_sgpr_workgroup_id_x 1
		.amdhsa_system_sgpr_workgroup_id_y 0
		.amdhsa_system_sgpr_workgroup_id_z 1
		.amdhsa_system_sgpr_workgroup_info 0
		.amdhsa_system_vgpr_workitem_id 0
		.amdhsa_next_free_vgpr 12
		.amdhsa_next_free_sgpr 20
		.amdhsa_accum_offset 12
		.amdhsa_reserve_vcc 1
		.amdhsa_reserve_flat_scratch 0
		.amdhsa_float_round_mode_32 0
		.amdhsa_float_round_mode_16_64 0
		.amdhsa_float_denorm_mode_32 3
		.amdhsa_float_denorm_mode_16_64 3
		.amdhsa_dx10_clamp 1
		.amdhsa_ieee_mode 1
		.amdhsa_fp16_overflow 0
		.amdhsa_tg_split 0
		.amdhsa_exception_fp_ieee_invalid_op 0
		.amdhsa_exception_fp_denorm_src 0
		.amdhsa_exception_fp_ieee_div_zero 0
		.amdhsa_exception_fp_ieee_overflow 0
		.amdhsa_exception_fp_ieee_underflow 0
		.amdhsa_exception_fp_ieee_inexact 0
		.amdhsa_exception_int_div_zero 0
	.end_amdhsa_kernel
	.section	.text._ZL24rocblas_dot_kernel_magsqIlLb1ELi1024ELi32ELb1EdPKddEviT5_lT_liPT6_PT4_,"axG",@progbits,_ZL24rocblas_dot_kernel_magsqIlLb1ELi1024ELi32ELb1EdPKddEviT5_lT_liPT6_PT4_,comdat
.Lfunc_end633:
	.size	_ZL24rocblas_dot_kernel_magsqIlLb1ELi1024ELi32ELb1EdPKddEviT5_lT_liPT6_PT4_, .Lfunc_end633-_ZL24rocblas_dot_kernel_magsqIlLb1ELi1024ELi32ELb1EdPKddEviT5_lT_liPT6_PT4_
                                        ; -- End function
	.section	.AMDGPU.csdata,"",@progbits
; Kernel info:
; codeLenInByte = 992
; NumSgprs: 24
; NumVgprs: 12
; NumAgprs: 0
; TotalNumVgprs: 12
; ScratchSize: 0
; MemoryBound: 0
; FloatMode: 240
; IeeeMode: 1
; LDSByteSize: 512 bytes/workgroup (compile time only)
; SGPRBlocks: 2
; VGPRBlocks: 1
; NumSGPRsForWavesPerEU: 24
; NumVGPRsForWavesPerEU: 12
; AccumOffset: 12
; Occupancy: 8
; WaveLimiterHint : 0
; COMPUTE_PGM_RSRC2:SCRATCH_EN: 0
; COMPUTE_PGM_RSRC2:USER_SGPR: 6
; COMPUTE_PGM_RSRC2:TRAP_HANDLER: 0
; COMPUTE_PGM_RSRC2:TGID_X_EN: 1
; COMPUTE_PGM_RSRC2:TGID_Y_EN: 0
; COMPUTE_PGM_RSRC2:TGID_Z_EN: 1
; COMPUTE_PGM_RSRC2:TIDIG_COMP_CNT: 0
; COMPUTE_PGM_RSRC3_GFX90A:ACCUM_OFFSET: 2
; COMPUTE_PGM_RSRC3_GFX90A:TG_SPLIT: 0
	.section	.text._ZL18rocblas_dot_kernelIlLb0ELi512ELi2ELb1EdPKddEviT5_lT_lS2_lS3_liPT6_PT4_,"axG",@progbits,_ZL18rocblas_dot_kernelIlLb0ELi512ELi2ELb1EdPKddEviT5_lT_lS2_lS3_liPT6_PT4_,comdat
	.globl	_ZL18rocblas_dot_kernelIlLb0ELi512ELi2ELb1EdPKddEviT5_lT_lS2_lS3_liPT6_PT4_ ; -- Begin function _ZL18rocblas_dot_kernelIlLb0ELi512ELi2ELb1EdPKddEviT5_lT_lS2_lS3_liPT6_PT4_
	.p2align	8
	.type	_ZL18rocblas_dot_kernelIlLb0ELi512ELi2ELb1EdPKddEviT5_lT_lS2_lS3_liPT6_PT4_,@function
_ZL18rocblas_dot_kernelIlLb0ELi512ELi2ELb1EdPKddEviT5_lT_lS2_lS3_liPT6_PT4_: ; @_ZL18rocblas_dot_kernelIlLb0ELi512ELi2ELb1EdPKddEviT5_lT_lS2_lS3_liPT6_PT4_
; %bb.0:
	s_mov_b32 s16, s7
	s_load_dword s7, s[4:5], 0x0
	s_load_dword s20, s[4:5], 0x60
	v_lshl_or_b32 v1, s6, 9, v0
	s_mov_b32 s17, 0
	v_pk_mov_b32 v[2:3], 0, 0
	s_waitcnt lgkmcnt(0)
	v_cmp_gt_i32_e32 vcc, s7, v1
	s_and_saveexec_b64 s[18:19], vcc
	s_cbranch_execz .LBB634_4
; %bb.1:
	s_load_dwordx8 s[8:15], s[4:5], 0x20
	s_load_dwordx2 s[22:23], s[4:5], 0x8
	s_load_dwordx4 s[0:3], s[4:5], 0x10
	s_load_dwordx2 s[24:25], s[4:5], 0x40
	v_ashrrev_i32_e32 v4, 31, v1
	s_waitcnt lgkmcnt(0)
	s_mul_i32 s9, s16, s9
	s_mul_hi_u32 s21, s16, s8
	s_add_i32 s9, s21, s9
	s_mul_i32 s8, s16, s8
	s_lshl_b64 s[8:9], s[8:9], 3
	s_add_u32 s8, s22, s8
	s_addc_u32 s9, s23, s9
	s_lshl_b64 s[0:1], s[0:1], 3
	s_add_u32 s8, s8, s0
	s_addc_u32 s9, s9, s1
	s_mul_i32 s0, s16, s25
	s_mul_hi_u32 s1, s16, s24
	s_add_i32 s1, s1, s0
	s_mul_i32 s0, s16, s24
	s_lshl_b64 s[0:1], s[0:1], 3
	s_add_u32 s10, s10, s0
	s_addc_u32 s11, s11, s1
	s_lshl_b64 s[0:1], s[12:13], 3
	s_add_u32 s10, s10, s0
	s_addc_u32 s11, s11, s1
	v_mul_lo_u32 v5, v1, s15
	v_mul_lo_u32 v6, v4, s14
	v_mad_u64_u32 v[2:3], s[0:1], v1, s14, 0
	v_add3_u32 v3, v3, v5, v6
	v_lshlrev_b64 v[2:3], 3, v[2:3]
	v_mov_b32_e32 v5, s11
	v_add_co_u32_e32 v2, vcc, s10, v2
	v_addc_co_u32_e32 v3, vcc, v5, v3, vcc
	v_mul_lo_u32 v6, v1, s3
	v_mul_lo_u32 v7, v4, s2
	v_mad_u64_u32 v[4:5], s[0:1], v1, s2, 0
	v_add3_u32 v5, v5, v6, v7
	v_lshlrev_b64 v[4:5], 3, v[4:5]
	v_mov_b32_e32 v1, s9
	v_add_co_u32_e32 v4, vcc, s8, v4
	v_addc_co_u32_e32 v5, vcc, v1, v5, vcc
	global_load_dwordx2 v[6:7], v[4:5], off
	global_load_dwordx2 v[8:9], v[2:3], off
	s_add_i32 s0, s6, s20
	v_lshl_or_b32 v1, s0, 9, v0
	v_cmp_gt_i32_e32 vcc, s7, v1
	s_waitcnt vmcnt(0)
	v_fma_f64 v[2:3], v[8:9], v[6:7], 0
	s_and_saveexec_b64 s[0:1], vcc
	s_cbranch_execz .LBB634_3
; %bb.2:
	v_ashrrev_i32_e32 v6, 31, v1
	v_mul_lo_u32 v7, v1, s15
	v_mul_lo_u32 v8, v6, s14
	v_mad_u64_u32 v[4:5], s[12:13], v1, s14, 0
	v_add3_u32 v5, v5, v7, v8
	v_lshlrev_b64 v[4:5], 3, v[4:5]
	v_mov_b32_e32 v7, s11
	v_add_co_u32_e32 v4, vcc, s10, v4
	v_addc_co_u32_e32 v5, vcc, v7, v5, vcc
	v_mul_lo_u32 v8, v1, s3
	v_mul_lo_u32 v9, v6, s2
	v_mad_u64_u32 v[6:7], s[2:3], v1, s2, 0
	v_add3_u32 v7, v7, v8, v9
	v_lshlrev_b64 v[6:7], 3, v[6:7]
	v_mov_b32_e32 v1, s9
	v_add_co_u32_e32 v6, vcc, s8, v6
	v_addc_co_u32_e32 v7, vcc, v1, v7, vcc
	global_load_dwordx2 v[4:5], v[4:5], off
	s_nop 0
	global_load_dwordx2 v[6:7], v[6:7], off
	s_waitcnt vmcnt(0)
	v_fmac_f64_e32 v[2:3], v[4:5], v[6:7]
.LBB634_3:
	s_or_b64 exec, exec, s[0:1]
.LBB634_4:
	s_or_b64 exec, exec, s[18:19]
	v_and_b32_e32 v6, 63, v0
	v_cmp_gt_u32_e32 vcc, 64, v0
	v_lshlrev_b32_e32 v1, 3, v6
	s_and_saveexec_b64 s[0:1], vcc
	s_cbranch_execz .LBB634_6
; %bb.5:
	v_mov_b32_e32 v4, 0
	v_mov_b32_e32 v5, v4
	ds_write_b64 v1, v[4:5]
.LBB634_6:
	s_or_b64 exec, exec, s[0:1]
	v_mbcnt_lo_u32_b32 v4, -1, 0
	v_mbcnt_hi_u32_b32 v9, -1, v4
	v_and_b32_e32 v10, 63, v9
	v_cmp_gt_u32_e64 s[0:1], 32, v10
	v_cndmask_b32_e64 v4, 0, 1, s[0:1]
	v_lshlrev_b32_e32 v4, 5, v4
	v_add_lshl_u32 v5, v4, v9, 2
	ds_bpermute_b32 v4, v5, v2
	ds_bpermute_b32 v5, v5, v3
	v_cmp_gt_u32_e64 s[0:1], 48, v10
	v_cndmask_b32_e64 v7, 0, 1, s[0:1]
	v_cmp_gt_u32_e64 s[0:1], 56, v10
	s_waitcnt lgkmcnt(0)
	v_add_f64 v[2:3], v[2:3], v[4:5]
	v_lshlrev_b32_e32 v4, 4, v7
	v_add_lshl_u32 v5, v4, v9, 2
	ds_bpermute_b32 v4, v5, v2
	ds_bpermute_b32 v5, v5, v3
	s_barrier
	s_waitcnt lgkmcnt(0)
	v_add_f64 v[2:3], v[2:3], v[4:5]
	v_cndmask_b32_e64 v4, 0, 1, s[0:1]
	v_lshlrev_b32_e32 v4, 3, v4
	v_add_lshl_u32 v5, v4, v9, 2
	ds_bpermute_b32 v4, v5, v2
	ds_bpermute_b32 v5, v5, v3
	v_cmp_gt_u32_e64 s[0:1], 60, v10
	s_waitcnt lgkmcnt(0)
	v_add_f64 v[2:3], v[2:3], v[4:5]
	v_cndmask_b32_e64 v4, 0, 1, s[0:1]
	v_lshlrev_b32_e32 v4, 2, v4
	v_add_lshl_u32 v7, v4, v9, 2
	ds_bpermute_b32 v4, v7, v2
	ds_bpermute_b32 v5, v7, v3
	v_cmp_gt_u32_e64 s[0:1], 62, v10
	s_waitcnt lgkmcnt(0)
	v_add_f64 v[2:3], v[2:3], v[4:5]
	v_cndmask_b32_e64 v4, 0, 1, s[0:1]
	v_lshlrev_b32_e32 v4, 1, v4
	v_add_lshl_u32 v8, v4, v9, 2
	ds_bpermute_b32 v4, v8, v2
	ds_bpermute_b32 v5, v8, v3
	v_cmp_ne_u32_e64 s[0:1], 63, v10
	s_waitcnt lgkmcnt(0)
	v_add_f64 v[2:3], v[2:3], v[4:5]
	v_addc_co_u32_e64 v4, s[0:1], 0, v9, s[0:1]
	v_lshlrev_b32_e32 v9, 2, v4
	ds_bpermute_b32 v4, v9, v2
	ds_bpermute_b32 v5, v9, v3
	v_cmp_eq_u32_e64 s[0:1], 0, v6
	s_and_saveexec_b64 s[2:3], s[0:1]
	s_cbranch_execz .LBB634_8
; %bb.7:
	s_waitcnt lgkmcnt(0)
	v_add_f64 v[2:3], v[2:3], v[4:5]
	v_lshrrev_b32_e32 v4, 3, v0
	v_and_b32_e32 v4, 56, v4
	ds_write_b64 v4, v[2:3]
.LBB634_8:
	s_or_b64 exec, exec, s[2:3]
	v_cmp_gt_u32_e64 s[0:1], 8, v0
	v_pk_mov_b32 v[2:3], 0, 0
	s_waitcnt lgkmcnt(0)
	s_barrier
	s_and_saveexec_b64 s[2:3], s[0:1]
	s_cbranch_execnz .LBB634_12
; %bb.9:
	s_or_b64 exec, exec, s[2:3]
	s_and_saveexec_b64 s[0:1], vcc
	s_cbranch_execnz .LBB634_13
.LBB634_10:
	s_or_b64 exec, exec, s[0:1]
	v_cmp_eq_u32_e32 vcc, 0, v0
	s_and_saveexec_b64 s[0:1], vcc
	s_cbranch_execnz .LBB634_14
.LBB634_11:
	s_endpgm
.LBB634_12:
	ds_read_b64 v[2:3], v1
	s_or_b64 exec, exec, s[2:3]
	s_and_saveexec_b64 s[0:1], vcc
	s_cbranch_execz .LBB634_10
.LBB634_13:
	s_waitcnt lgkmcnt(0)
	ds_bpermute_b32 v4, v7, v2
	ds_bpermute_b32 v5, v7, v3
	s_waitcnt lgkmcnt(0)
	v_add_f64 v[2:3], v[2:3], v[4:5]
	ds_bpermute_b32 v4, v8, v2
	ds_bpermute_b32 v5, v8, v3
	s_waitcnt lgkmcnt(0)
	v_add_f64 v[2:3], v[2:3], v[4:5]
	;; [unrolled: 4-line block ×3, first 2 shown]
	s_or_b64 exec, exec, s[0:1]
	v_cmp_eq_u32_e32 vcc, 0, v0
	s_and_saveexec_b64 s[0:1], vcc
	s_cbranch_execz .LBB634_11
.LBB634_14:
	s_cmp_lg_u32 s20, 1
	s_cbranch_scc0 .LBB634_16
; %bb.15:
	s_load_dwordx2 s[0:1], s[4:5], 0x50
	s_mul_hi_u32 s3, s20, s16
	s_mul_i32 s2, s20, s16
	s_lshl_b64 s[2:3], s[2:3], 3
	s_mov_b32 s7, 0
	s_waitcnt lgkmcnt(0)
	s_add_u32 s2, s0, s2
	s_addc_u32 s3, s1, s3
	s_lshl_b64 s[0:1], s[6:7], 3
	s_add_u32 s0, s2, s0
	s_addc_u32 s1, s3, s1
	s_cbranch_execz .LBB634_17
	s_branch .LBB634_18
.LBB634_16:
                                        ; implicit-def: $sgpr0_sgpr1
.LBB634_17:
	s_load_dwordx2 s[0:1], s[4:5], 0x58
	s_lshl_b64 s[2:3], s[16:17], 3
	s_waitcnt lgkmcnt(0)
	s_add_u32 s0, s0, s2
	s_addc_u32 s1, s1, s3
.LBB634_18:
	v_mov_b32_e32 v0, 0
	s_waitcnt lgkmcnt(0)
	global_store_dwordx2 v0, v[2:3], s[0:1]
	s_endpgm
	.section	.rodata,"a",@progbits
	.p2align	6, 0x0
	.amdhsa_kernel _ZL18rocblas_dot_kernelIlLb0ELi512ELi2ELb1EdPKddEviT5_lT_lS2_lS3_liPT6_PT4_
		.amdhsa_group_segment_fixed_size 512
		.amdhsa_private_segment_fixed_size 0
		.amdhsa_kernarg_size 352
		.amdhsa_user_sgpr_count 6
		.amdhsa_user_sgpr_private_segment_buffer 1
		.amdhsa_user_sgpr_dispatch_ptr 0
		.amdhsa_user_sgpr_queue_ptr 0
		.amdhsa_user_sgpr_kernarg_segment_ptr 1
		.amdhsa_user_sgpr_dispatch_id 0
		.amdhsa_user_sgpr_flat_scratch_init 0
		.amdhsa_user_sgpr_kernarg_preload_length 0
		.amdhsa_user_sgpr_kernarg_preload_offset 0
		.amdhsa_user_sgpr_private_segment_size 0
		.amdhsa_uses_dynamic_stack 0
		.amdhsa_system_sgpr_private_segment_wavefront_offset 0
		.amdhsa_system_sgpr_workgroup_id_x 1
		.amdhsa_system_sgpr_workgroup_id_y 0
		.amdhsa_system_sgpr_workgroup_id_z 1
		.amdhsa_system_sgpr_workgroup_info 0
		.amdhsa_system_vgpr_workitem_id 0
		.amdhsa_next_free_vgpr 11
		.amdhsa_next_free_sgpr 26
		.amdhsa_accum_offset 12
		.amdhsa_reserve_vcc 1
		.amdhsa_reserve_flat_scratch 0
		.amdhsa_float_round_mode_32 0
		.amdhsa_float_round_mode_16_64 0
		.amdhsa_float_denorm_mode_32 3
		.amdhsa_float_denorm_mode_16_64 3
		.amdhsa_dx10_clamp 1
		.amdhsa_ieee_mode 1
		.amdhsa_fp16_overflow 0
		.amdhsa_tg_split 0
		.amdhsa_exception_fp_ieee_invalid_op 0
		.amdhsa_exception_fp_denorm_src 0
		.amdhsa_exception_fp_ieee_div_zero 0
		.amdhsa_exception_fp_ieee_overflow 0
		.amdhsa_exception_fp_ieee_underflow 0
		.amdhsa_exception_fp_ieee_inexact 0
		.amdhsa_exception_int_div_zero 0
	.end_amdhsa_kernel
	.section	.text._ZL18rocblas_dot_kernelIlLb0ELi512ELi2ELb1EdPKddEviT5_lT_lS2_lS3_liPT6_PT4_,"axG",@progbits,_ZL18rocblas_dot_kernelIlLb0ELi512ELi2ELb1EdPKddEviT5_lT_lS2_lS3_liPT6_PT4_,comdat
.Lfunc_end634:
	.size	_ZL18rocblas_dot_kernelIlLb0ELi512ELi2ELb1EdPKddEviT5_lT_lS2_lS3_liPT6_PT4_, .Lfunc_end634-_ZL18rocblas_dot_kernelIlLb0ELi512ELi2ELb1EdPKddEviT5_lT_lS2_lS3_liPT6_PT4_
                                        ; -- End function
	.section	.AMDGPU.csdata,"",@progbits
; Kernel info:
; codeLenInByte = 1200
; NumSgprs: 30
; NumVgprs: 11
; NumAgprs: 0
; TotalNumVgprs: 11
; ScratchSize: 0
; MemoryBound: 0
; FloatMode: 240
; IeeeMode: 1
; LDSByteSize: 512 bytes/workgroup (compile time only)
; SGPRBlocks: 3
; VGPRBlocks: 1
; NumSGPRsForWavesPerEU: 30
; NumVGPRsForWavesPerEU: 11
; AccumOffset: 12
; Occupancy: 8
; WaveLimiterHint : 0
; COMPUTE_PGM_RSRC2:SCRATCH_EN: 0
; COMPUTE_PGM_RSRC2:USER_SGPR: 6
; COMPUTE_PGM_RSRC2:TRAP_HANDLER: 0
; COMPUTE_PGM_RSRC2:TGID_X_EN: 1
; COMPUTE_PGM_RSRC2:TGID_Y_EN: 0
; COMPUTE_PGM_RSRC2:TGID_Z_EN: 1
; COMPUTE_PGM_RSRC2:TIDIG_COMP_CNT: 0
; COMPUTE_PGM_RSRC3_GFX90A:ACCUM_OFFSET: 2
; COMPUTE_PGM_RSRC3_GFX90A:TG_SPLIT: 0
	.section	.text._ZL24rocblas_dot_kernel_magsqIlLb0ELi512ELi2ELb1EdPKddEviT5_lT_liPT6_PT4_,"axG",@progbits,_ZL24rocblas_dot_kernel_magsqIlLb0ELi512ELi2ELb1EdPKddEviT5_lT_liPT6_PT4_,comdat
	.globl	_ZL24rocblas_dot_kernel_magsqIlLb0ELi512ELi2ELb1EdPKddEviT5_lT_liPT6_PT4_ ; -- Begin function _ZL24rocblas_dot_kernel_magsqIlLb0ELi512ELi2ELb1EdPKddEviT5_lT_liPT6_PT4_
	.p2align	8
	.type	_ZL24rocblas_dot_kernel_magsqIlLb0ELi512ELi2ELb1EdPKddEviT5_lT_liPT6_PT4_,@function
_ZL24rocblas_dot_kernel_magsqIlLb0ELi512ELi2ELb1EdPKddEviT5_lT_liPT6_PT4_: ; @_ZL24rocblas_dot_kernel_magsqIlLb0ELi512ELi2ELb1EdPKddEviT5_lT_liPT6_PT4_
; %bb.0:
	s_mov_b32 s8, s7
	s_load_dword s7, s[4:5], 0x0
	s_load_dword s12, s[4:5], 0x40
	v_lshl_or_b32 v1, s6, 9, v0
	s_mov_b32 s9, 0
	v_pk_mov_b32 v[2:3], 0, 0
	s_waitcnt lgkmcnt(0)
	v_cmp_gt_i32_e32 vcc, s7, v1
	s_and_saveexec_b64 s[10:11], vcc
	s_cbranch_execz .LBB635_4
; %bb.1:
	s_load_dwordx2 s[14:15], s[4:5], 0x20
	s_load_dwordx2 s[16:17], s[4:5], 0x8
	s_load_dwordx4 s[0:3], s[4:5], 0x10
	v_ashrrev_i32_e32 v2, 31, v1
	s_waitcnt lgkmcnt(0)
	s_mul_i32 s13, s8, s15
	s_mul_hi_u32 s15, s8, s14
	s_mul_i32 s14, s8, s14
	s_add_i32 s15, s15, s13
	s_lshl_b64 s[14:15], s[14:15], 3
	s_add_u32 s13, s16, s14
	s_addc_u32 s14, s17, s15
	s_lshl_b64 s[0:1], s[0:1], 3
	s_add_u32 s13, s13, s0
	s_addc_u32 s14, s14, s1
	v_mul_lo_u32 v4, v1, s3
	v_mul_lo_u32 v5, v2, s2
	v_mad_u64_u32 v[2:3], s[0:1], v1, s2, 0
	v_add3_u32 v3, v3, v4, v5
	v_lshlrev_b64 v[2:3], 3, v[2:3]
	v_mov_b32_e32 v1, s14
	v_add_co_u32_e32 v2, vcc, s13, v2
	v_addc_co_u32_e32 v3, vcc, v1, v3, vcc
	global_load_dwordx2 v[2:3], v[2:3], off
	s_add_i32 s0, s6, s12
	v_lshl_or_b32 v1, s0, 9, v0
	v_cmp_gt_i32_e32 vcc, s7, v1
	s_waitcnt vmcnt(0)
	v_mul_f64 v[2:3], v[2:3], v[2:3]
	s_and_saveexec_b64 s[0:1], vcc
	s_cbranch_execz .LBB635_3
; %bb.2:
	v_ashrrev_i32_e32 v4, 31, v1
	v_mul_lo_u32 v6, v1, s3
	v_mul_lo_u32 v7, v4, s2
	v_mad_u64_u32 v[4:5], s[2:3], v1, s2, 0
	v_add3_u32 v5, v5, v6, v7
	v_lshlrev_b64 v[4:5], 3, v[4:5]
	v_mov_b32_e32 v1, s14
	v_add_co_u32_e32 v4, vcc, s13, v4
	v_addc_co_u32_e32 v5, vcc, v1, v5, vcc
	global_load_dwordx2 v[4:5], v[4:5], off
	s_waitcnt vmcnt(0)
	v_fmac_f64_e32 v[2:3], v[4:5], v[4:5]
.LBB635_3:
	s_or_b64 exec, exec, s[0:1]
.LBB635_4:
	s_or_b64 exec, exec, s[10:11]
	v_and_b32_e32 v6, 63, v0
	v_cmp_gt_u32_e32 vcc, 64, v0
	v_lshlrev_b32_e32 v1, 3, v6
	s_and_saveexec_b64 s[0:1], vcc
	s_cbranch_execz .LBB635_6
; %bb.5:
	v_mov_b32_e32 v4, 0
	v_mov_b32_e32 v5, v4
	ds_write_b64 v1, v[4:5]
.LBB635_6:
	s_or_b64 exec, exec, s[0:1]
	v_mbcnt_lo_u32_b32 v4, -1, 0
	v_mbcnt_hi_u32_b32 v9, -1, v4
	v_and_b32_e32 v10, 63, v9
	v_cmp_gt_u32_e64 s[0:1], 32, v10
	v_cndmask_b32_e64 v4, 0, 1, s[0:1]
	v_lshlrev_b32_e32 v4, 5, v4
	v_add_lshl_u32 v5, v4, v9, 2
	ds_bpermute_b32 v4, v5, v2
	ds_bpermute_b32 v5, v5, v3
	v_cmp_gt_u32_e64 s[0:1], 48, v10
	v_cndmask_b32_e64 v7, 0, 1, s[0:1]
	v_cmp_gt_u32_e64 s[0:1], 56, v10
	s_waitcnt lgkmcnt(0)
	v_add_f64 v[2:3], v[2:3], v[4:5]
	v_lshlrev_b32_e32 v4, 4, v7
	v_add_lshl_u32 v5, v4, v9, 2
	ds_bpermute_b32 v4, v5, v2
	ds_bpermute_b32 v5, v5, v3
	s_barrier
	s_waitcnt lgkmcnt(0)
	v_add_f64 v[2:3], v[2:3], v[4:5]
	v_cndmask_b32_e64 v4, 0, 1, s[0:1]
	v_lshlrev_b32_e32 v4, 3, v4
	v_add_lshl_u32 v5, v4, v9, 2
	ds_bpermute_b32 v4, v5, v2
	ds_bpermute_b32 v5, v5, v3
	v_cmp_gt_u32_e64 s[0:1], 60, v10
	s_waitcnt lgkmcnt(0)
	v_add_f64 v[2:3], v[2:3], v[4:5]
	v_cndmask_b32_e64 v4, 0, 1, s[0:1]
	v_lshlrev_b32_e32 v4, 2, v4
	v_add_lshl_u32 v7, v4, v9, 2
	ds_bpermute_b32 v4, v7, v2
	ds_bpermute_b32 v5, v7, v3
	v_cmp_gt_u32_e64 s[0:1], 62, v10
	s_waitcnt lgkmcnt(0)
	v_add_f64 v[2:3], v[2:3], v[4:5]
	v_cndmask_b32_e64 v4, 0, 1, s[0:1]
	v_lshlrev_b32_e32 v4, 1, v4
	v_add_lshl_u32 v8, v4, v9, 2
	ds_bpermute_b32 v4, v8, v2
	ds_bpermute_b32 v5, v8, v3
	v_cmp_ne_u32_e64 s[0:1], 63, v10
	s_waitcnt lgkmcnt(0)
	v_add_f64 v[2:3], v[2:3], v[4:5]
	v_addc_co_u32_e64 v4, s[0:1], 0, v9, s[0:1]
	v_lshlrev_b32_e32 v9, 2, v4
	ds_bpermute_b32 v4, v9, v2
	ds_bpermute_b32 v5, v9, v3
	v_cmp_eq_u32_e64 s[0:1], 0, v6
	s_and_saveexec_b64 s[2:3], s[0:1]
	s_cbranch_execz .LBB635_8
; %bb.7:
	s_waitcnt lgkmcnt(0)
	v_add_f64 v[2:3], v[2:3], v[4:5]
	v_lshrrev_b32_e32 v4, 3, v0
	v_and_b32_e32 v4, 56, v4
	ds_write_b64 v4, v[2:3]
.LBB635_8:
	s_or_b64 exec, exec, s[2:3]
	v_cmp_gt_u32_e64 s[0:1], 8, v0
	v_pk_mov_b32 v[2:3], 0, 0
	s_waitcnt lgkmcnt(0)
	s_barrier
	s_and_saveexec_b64 s[2:3], s[0:1]
	s_cbranch_execnz .LBB635_12
; %bb.9:
	s_or_b64 exec, exec, s[2:3]
	s_and_saveexec_b64 s[0:1], vcc
	s_cbranch_execnz .LBB635_13
.LBB635_10:
	s_or_b64 exec, exec, s[0:1]
	v_cmp_eq_u32_e32 vcc, 0, v0
	s_and_saveexec_b64 s[0:1], vcc
	s_cbranch_execnz .LBB635_14
.LBB635_11:
	s_endpgm
.LBB635_12:
	ds_read_b64 v[2:3], v1
	s_or_b64 exec, exec, s[2:3]
	s_and_saveexec_b64 s[0:1], vcc
	s_cbranch_execz .LBB635_10
.LBB635_13:
	s_waitcnt lgkmcnt(0)
	ds_bpermute_b32 v4, v7, v2
	ds_bpermute_b32 v5, v7, v3
	s_waitcnt lgkmcnt(0)
	v_add_f64 v[2:3], v[2:3], v[4:5]
	ds_bpermute_b32 v4, v8, v2
	ds_bpermute_b32 v5, v8, v3
	s_waitcnt lgkmcnt(0)
	v_add_f64 v[2:3], v[2:3], v[4:5]
	;; [unrolled: 4-line block ×3, first 2 shown]
	s_or_b64 exec, exec, s[0:1]
	v_cmp_eq_u32_e32 vcc, 0, v0
	s_and_saveexec_b64 s[0:1], vcc
	s_cbranch_execz .LBB635_11
.LBB635_14:
	s_cmp_lg_u32 s12, 1
	s_cbranch_scc0 .LBB635_16
; %bb.15:
	s_load_dwordx2 s[0:1], s[4:5], 0x30
	s_mul_hi_u32 s3, s12, s8
	s_mul_i32 s2, s12, s8
	s_lshl_b64 s[2:3], s[2:3], 3
	s_mov_b32 s7, 0
	s_waitcnt lgkmcnt(0)
	s_add_u32 s2, s0, s2
	s_addc_u32 s3, s1, s3
	s_lshl_b64 s[0:1], s[6:7], 3
	s_add_u32 s0, s2, s0
	s_addc_u32 s1, s3, s1
	s_cbranch_execz .LBB635_17
	s_branch .LBB635_18
.LBB635_16:
                                        ; implicit-def: $sgpr0_sgpr1
.LBB635_17:
	s_load_dwordx2 s[0:1], s[4:5], 0x38
	s_lshl_b64 s[2:3], s[8:9], 3
	s_waitcnt lgkmcnt(0)
	s_add_u32 s0, s0, s2
	s_addc_u32 s1, s1, s3
.LBB635_18:
	v_mov_b32_e32 v0, 0
	s_waitcnt lgkmcnt(0)
	global_store_dwordx2 v0, v[2:3], s[0:1]
	s_endpgm
	.section	.rodata,"a",@progbits
	.p2align	6, 0x0
	.amdhsa_kernel _ZL24rocblas_dot_kernel_magsqIlLb0ELi512ELi2ELb1EdPKddEviT5_lT_liPT6_PT4_
		.amdhsa_group_segment_fixed_size 512
		.amdhsa_private_segment_fixed_size 0
		.amdhsa_kernarg_size 320
		.amdhsa_user_sgpr_count 6
		.amdhsa_user_sgpr_private_segment_buffer 1
		.amdhsa_user_sgpr_dispatch_ptr 0
		.amdhsa_user_sgpr_queue_ptr 0
		.amdhsa_user_sgpr_kernarg_segment_ptr 1
		.amdhsa_user_sgpr_dispatch_id 0
		.amdhsa_user_sgpr_flat_scratch_init 0
		.amdhsa_user_sgpr_kernarg_preload_length 0
		.amdhsa_user_sgpr_kernarg_preload_offset 0
		.amdhsa_user_sgpr_private_segment_size 0
		.amdhsa_uses_dynamic_stack 0
		.amdhsa_system_sgpr_private_segment_wavefront_offset 0
		.amdhsa_system_sgpr_workgroup_id_x 1
		.amdhsa_system_sgpr_workgroup_id_y 0
		.amdhsa_system_sgpr_workgroup_id_z 1
		.amdhsa_system_sgpr_workgroup_info 0
		.amdhsa_system_vgpr_workitem_id 0
		.amdhsa_next_free_vgpr 11
		.amdhsa_next_free_sgpr 18
		.amdhsa_accum_offset 12
		.amdhsa_reserve_vcc 1
		.amdhsa_reserve_flat_scratch 0
		.amdhsa_float_round_mode_32 0
		.amdhsa_float_round_mode_16_64 0
		.amdhsa_float_denorm_mode_32 3
		.amdhsa_float_denorm_mode_16_64 3
		.amdhsa_dx10_clamp 1
		.amdhsa_ieee_mode 1
		.amdhsa_fp16_overflow 0
		.amdhsa_tg_split 0
		.amdhsa_exception_fp_ieee_invalid_op 0
		.amdhsa_exception_fp_denorm_src 0
		.amdhsa_exception_fp_ieee_div_zero 0
		.amdhsa_exception_fp_ieee_overflow 0
		.amdhsa_exception_fp_ieee_underflow 0
		.amdhsa_exception_fp_ieee_inexact 0
		.amdhsa_exception_int_div_zero 0
	.end_amdhsa_kernel
	.section	.text._ZL24rocblas_dot_kernel_magsqIlLb0ELi512ELi2ELb1EdPKddEviT5_lT_liPT6_PT4_,"axG",@progbits,_ZL24rocblas_dot_kernel_magsqIlLb0ELi512ELi2ELb1EdPKddEviT5_lT_liPT6_PT4_,comdat
.Lfunc_end635:
	.size	_ZL24rocblas_dot_kernel_magsqIlLb0ELi512ELi2ELb1EdPKddEviT5_lT_liPT6_PT4_, .Lfunc_end635-_ZL24rocblas_dot_kernel_magsqIlLb0ELi512ELi2ELb1EdPKddEviT5_lT_liPT6_PT4_
                                        ; -- End function
	.section	.AMDGPU.csdata,"",@progbits
; Kernel info:
; codeLenInByte = 1028
; NumSgprs: 22
; NumVgprs: 11
; NumAgprs: 0
; TotalNumVgprs: 11
; ScratchSize: 0
; MemoryBound: 0
; FloatMode: 240
; IeeeMode: 1
; LDSByteSize: 512 bytes/workgroup (compile time only)
; SGPRBlocks: 2
; VGPRBlocks: 1
; NumSGPRsForWavesPerEU: 22
; NumVGPRsForWavesPerEU: 11
; AccumOffset: 12
; Occupancy: 8
; WaveLimiterHint : 0
; COMPUTE_PGM_RSRC2:SCRATCH_EN: 0
; COMPUTE_PGM_RSRC2:USER_SGPR: 6
; COMPUTE_PGM_RSRC2:TRAP_HANDLER: 0
; COMPUTE_PGM_RSRC2:TGID_X_EN: 1
; COMPUTE_PGM_RSRC2:TGID_Y_EN: 0
; COMPUTE_PGM_RSRC2:TGID_Z_EN: 1
; COMPUTE_PGM_RSRC2:TIDIG_COMP_CNT: 0
; COMPUTE_PGM_RSRC3_GFX90A:ACCUM_OFFSET: 2
; COMPUTE_PGM_RSRC3_GFX90A:TG_SPLIT: 0
	.section	.text._ZL28rocblas_dot_batched_4_kernelIiLi32ELi4ELb1EddPKPKdEviT5_lT_lS4_lS5_liPT4_,"axG",@progbits,_ZL28rocblas_dot_batched_4_kernelIiLi32ELi4ELb1EddPKPKdEviT5_lT_lS4_lS5_liPT4_,comdat
	.globl	_ZL28rocblas_dot_batched_4_kernelIiLi32ELi4ELb1EddPKPKdEviT5_lT_lS4_lS5_liPT4_ ; -- Begin function _ZL28rocblas_dot_batched_4_kernelIiLi32ELi4ELb1EddPKPKdEviT5_lT_lS4_lS5_liPT4_
	.p2align	8
	.type	_ZL28rocblas_dot_batched_4_kernelIiLi32ELi4ELb1EddPKPKdEviT5_lT_lS4_lS5_liPT4_,@function
_ZL28rocblas_dot_batched_4_kernelIiLi32ELi4ELb1EddPKPKdEviT5_lT_lS4_lS5_liPT4_: ; @_ZL28rocblas_dot_batched_4_kernelIiLi32ELi4ELb1EddPKPKdEviT5_lT_lS4_lS5_liPT4_
; %bb.0:
	s_load_dword s0, s[4:5], 0x48
	v_bfe_u32 v1, v0, 10, 10
	v_lshl_add_u32 v4, s6, 2, v1
	s_waitcnt lgkmcnt(0)
	v_cmp_gt_u32_e32 vcc, s0, v4
	s_and_saveexec_b64 s[0:1], vcc
	s_cbranch_execz .LBB636_7
; %bb.1:
	s_load_dword s14, s[4:5], 0x0
	s_load_dwordx2 s[6:7], s[4:5], 0x50
	v_mov_b32_e32 v5, 0
	v_and_b32_e32 v8, 0x3ff, v0
	v_pk_mov_b32 v[2:3], 0, 0
	s_waitcnt lgkmcnt(0)
	v_cmp_gt_i32_e32 vcc, s14, v8
	v_lshlrev_b64 v[0:1], 3, v[4:5]
	s_and_saveexec_b64 s[12:13], vcc
	s_cbranch_execz .LBB636_5
; %bb.2:
	s_load_dwordx4 s[0:3], s[4:5], 0x8
	s_load_dwordx4 s[8:11], s[4:5], 0x28
	s_load_dword s16, s[4:5], 0x18
	s_waitcnt lgkmcnt(0)
	v_mov_b32_e32 v3, s1
	v_add_co_u32_e32 v2, vcc, s0, v0
	v_addc_co_u32_e32 v3, vcc, v3, v1, vcc
	global_load_dwordx2 v[4:5], v[2:3], off
	v_mov_b32_e32 v3, s9
	v_add_co_u32_e32 v2, vcc, s8, v0
	v_addc_co_u32_e32 v3, vcc, v3, v1, vcc
	global_load_dwordx2 v[6:7], v[2:3], off
	s_load_dword s4, s[4:5], 0x38
	v_mad_i64_i32 v[10:11], s[8:9], s16, v8, 0
	s_lshl_b64 s[8:9], s[2:3], 3
	v_lshlrev_b64 v[10:11], 3, v[10:11]
	s_waitcnt lgkmcnt(0)
	v_mad_i64_i32 v[12:13], s[2:3], s4, v8, 0
	v_mov_b32_e32 v9, s9
	v_add_co_u32_e32 v15, vcc, s8, v10
	s_lshl_b64 s[10:11], s[10:11], 3
	v_lshlrev_b64 v[12:13], 3, v[12:13]
	v_addc_co_u32_e32 v11, vcc, v11, v9, vcc
	v_mov_b32_e32 v14, s11
	v_add_co_u32_e32 v12, vcc, s10, v12
	v_addc_co_u32_e32 v13, vcc, v13, v14, vcc
	s_ashr_i32 s17, s16, 31
	s_ashr_i32 s5, s4, 31
	s_lshl_b64 s[2:3], s[16:17], 8
	s_lshl_b64 s[4:5], s[4:5], 8
	s_mov_b64 s[0:1], 0
	v_pk_mov_b32 v[2:3], 0, 0
	v_mov_b32_e32 v9, s3
	v_mov_b32_e32 v10, s5
	s_waitcnt vmcnt(1)
	v_add_co_u32_e32 v4, vcc, v4, v15
	v_addc_co_u32_e32 v5, vcc, v5, v11, vcc
	v_mov_b32_e32 v11, v8
	s_waitcnt vmcnt(0)
	v_add_co_u32_e32 v6, vcc, v6, v12
	v_addc_co_u32_e32 v7, vcc, v7, v13, vcc
.LBB636_3:                              ; =>This Inner Loop Header: Depth=1
	global_load_dwordx2 v[12:13], v[4:5], off
	global_load_dwordx2 v[14:15], v[6:7], off
	v_add_co_u32_e32 v4, vcc, s2, v4
	v_addc_co_u32_e32 v5, vcc, v5, v9, vcc
	v_add_co_u32_e32 v6, vcc, s4, v6
	v_add_u32_e32 v11, 32, v11
	v_addc_co_u32_e32 v7, vcc, v7, v10, vcc
	v_cmp_le_i32_e32 vcc, s14, v11
	s_or_b64 s[0:1], vcc, s[0:1]
	s_waitcnt vmcnt(0)
	v_fmac_f64_e32 v[2:3], v[12:13], v[14:15]
	s_andn2_b64 exec, exec, s[0:1]
	s_cbranch_execnz .LBB636_3
; %bb.4:
	s_or_b64 exec, exec, s[0:1]
.LBB636_5:
	s_or_b64 exec, exec, s[12:13]
	v_mbcnt_lo_u32_b32 v4, -1, 0
	v_mbcnt_hi_u32_b32 v6, -1, v4
	v_and_b32_e32 v7, 63, v6
	v_cmp_gt_u32_e32 vcc, 48, v7
	v_cndmask_b32_e64 v4, 0, 1, vcc
	v_lshlrev_b32_e32 v4, 4, v4
	v_add_lshl_u32 v5, v4, v6, 2
	ds_bpermute_b32 v4, v5, v2
	ds_bpermute_b32 v5, v5, v3
	v_cmp_gt_u32_e32 vcc, 56, v7
	v_cndmask_b32_e64 v9, 0, 1, vcc
	v_cmp_gt_u32_e32 vcc, 60, v7
	s_waitcnt lgkmcnt(0)
	v_add_f64 v[2:3], v[2:3], v[4:5]
	v_lshlrev_b32_e32 v4, 3, v9
	v_add_lshl_u32 v5, v4, v6, 2
	ds_bpermute_b32 v4, v5, v2
	ds_bpermute_b32 v5, v5, v3
	s_barrier
	s_waitcnt lgkmcnt(0)
	v_add_f64 v[2:3], v[2:3], v[4:5]
	v_cndmask_b32_e64 v4, 0, 1, vcc
	v_lshlrev_b32_e32 v4, 2, v4
	v_add_lshl_u32 v5, v4, v6, 2
	ds_bpermute_b32 v4, v5, v2
	ds_bpermute_b32 v5, v5, v3
	v_cmp_gt_u32_e32 vcc, 62, v7
	s_waitcnt lgkmcnt(0)
	v_add_f64 v[2:3], v[2:3], v[4:5]
	v_cndmask_b32_e64 v4, 0, 1, vcc
	v_lshlrev_b32_e32 v4, 1, v4
	v_add_lshl_u32 v5, v4, v6, 2
	ds_bpermute_b32 v4, v5, v2
	ds_bpermute_b32 v5, v5, v3
	v_cmp_ne_u32_e32 vcc, 63, v7
	s_waitcnt lgkmcnt(0)
	v_add_f64 v[2:3], v[2:3], v[4:5]
	v_addc_co_u32_e32 v4, vcc, 0, v6, vcc
	v_lshlrev_b32_e32 v5, 2, v4
	ds_bpermute_b32 v4, v5, v2
	ds_bpermute_b32 v5, v5, v3
	v_cmp_eq_u32_e32 vcc, 0, v8
	s_and_b64 exec, exec, vcc
	s_cbranch_execz .LBB636_7
; %bb.6:
	v_mov_b32_e32 v6, s7
	v_add_co_u32_e32 v0, vcc, s6, v0
	v_addc_co_u32_e32 v1, vcc, v6, v1, vcc
	s_waitcnt lgkmcnt(0)
	v_add_f64 v[2:3], v[2:3], v[4:5]
	global_store_dwordx2 v[0:1], v[2:3], off
.LBB636_7:
	s_endpgm
	.section	.rodata,"a",@progbits
	.p2align	6, 0x0
	.amdhsa_kernel _ZL28rocblas_dot_batched_4_kernelIiLi32ELi4ELb1EddPKPKdEviT5_lT_lS4_lS5_liPT4_
		.amdhsa_group_segment_fixed_size 0
		.amdhsa_private_segment_fixed_size 0
		.amdhsa_kernarg_size 88
		.amdhsa_user_sgpr_count 6
		.amdhsa_user_sgpr_private_segment_buffer 1
		.amdhsa_user_sgpr_dispatch_ptr 0
		.amdhsa_user_sgpr_queue_ptr 0
		.amdhsa_user_sgpr_kernarg_segment_ptr 1
		.amdhsa_user_sgpr_dispatch_id 0
		.amdhsa_user_sgpr_flat_scratch_init 0
		.amdhsa_user_sgpr_kernarg_preload_length 0
		.amdhsa_user_sgpr_kernarg_preload_offset 0
		.amdhsa_user_sgpr_private_segment_size 0
		.amdhsa_uses_dynamic_stack 0
		.amdhsa_system_sgpr_private_segment_wavefront_offset 0
		.amdhsa_system_sgpr_workgroup_id_x 1
		.amdhsa_system_sgpr_workgroup_id_y 0
		.amdhsa_system_sgpr_workgroup_id_z 0
		.amdhsa_system_sgpr_workgroup_info 0
		.amdhsa_system_vgpr_workitem_id 1
		.amdhsa_next_free_vgpr 16
		.amdhsa_next_free_sgpr 18
		.amdhsa_accum_offset 16
		.amdhsa_reserve_vcc 1
		.amdhsa_reserve_flat_scratch 0
		.amdhsa_float_round_mode_32 0
		.amdhsa_float_round_mode_16_64 0
		.amdhsa_float_denorm_mode_32 3
		.amdhsa_float_denorm_mode_16_64 3
		.amdhsa_dx10_clamp 1
		.amdhsa_ieee_mode 1
		.amdhsa_fp16_overflow 0
		.amdhsa_tg_split 0
		.amdhsa_exception_fp_ieee_invalid_op 0
		.amdhsa_exception_fp_denorm_src 0
		.amdhsa_exception_fp_ieee_div_zero 0
		.amdhsa_exception_fp_ieee_overflow 0
		.amdhsa_exception_fp_ieee_underflow 0
		.amdhsa_exception_fp_ieee_inexact 0
		.amdhsa_exception_int_div_zero 0
	.end_amdhsa_kernel
	.section	.text._ZL28rocblas_dot_batched_4_kernelIiLi32ELi4ELb1EddPKPKdEviT5_lT_lS4_lS5_liPT4_,"axG",@progbits,_ZL28rocblas_dot_batched_4_kernelIiLi32ELi4ELb1EddPKPKdEviT5_lT_lS4_lS5_liPT4_,comdat
.Lfunc_end636:
	.size	_ZL28rocblas_dot_batched_4_kernelIiLi32ELi4ELb1EddPKPKdEviT5_lT_lS4_lS5_liPT4_, .Lfunc_end636-_ZL28rocblas_dot_batched_4_kernelIiLi32ELi4ELb1EddPKPKdEviT5_lT_lS4_lS5_liPT4_
                                        ; -- End function
	.section	.AMDGPU.csdata,"",@progbits
; Kernel info:
; codeLenInByte = 684
; NumSgprs: 22
; NumVgprs: 16
; NumAgprs: 0
; TotalNumVgprs: 16
; ScratchSize: 0
; MemoryBound: 0
; FloatMode: 240
; IeeeMode: 1
; LDSByteSize: 0 bytes/workgroup (compile time only)
; SGPRBlocks: 2
; VGPRBlocks: 1
; NumSGPRsForWavesPerEU: 22
; NumVGPRsForWavesPerEU: 16
; AccumOffset: 16
; Occupancy: 8
; WaveLimiterHint : 0
; COMPUTE_PGM_RSRC2:SCRATCH_EN: 0
; COMPUTE_PGM_RSRC2:USER_SGPR: 6
; COMPUTE_PGM_RSRC2:TRAP_HANDLER: 0
; COMPUTE_PGM_RSRC2:TGID_X_EN: 1
; COMPUTE_PGM_RSRC2:TGID_Y_EN: 0
; COMPUTE_PGM_RSRC2:TGID_Z_EN: 0
; COMPUTE_PGM_RSRC2:TIDIG_COMP_CNT: 1
; COMPUTE_PGM_RSRC3_GFX90A:ACCUM_OFFSET: 3
; COMPUTE_PGM_RSRC3_GFX90A:TG_SPLIT: 0
	.section	.text._ZL28rocblas_dot_batched_4_kernelIiLi64ELi4ELb1EddPKPKdEviT5_lT_lS4_lS5_liPT4_,"axG",@progbits,_ZL28rocblas_dot_batched_4_kernelIiLi64ELi4ELb1EddPKPKdEviT5_lT_lS4_lS5_liPT4_,comdat
	.globl	_ZL28rocblas_dot_batched_4_kernelIiLi64ELi4ELb1EddPKPKdEviT5_lT_lS4_lS5_liPT4_ ; -- Begin function _ZL28rocblas_dot_batched_4_kernelIiLi64ELi4ELb1EddPKPKdEviT5_lT_lS4_lS5_liPT4_
	.p2align	8
	.type	_ZL28rocblas_dot_batched_4_kernelIiLi64ELi4ELb1EddPKPKdEviT5_lT_lS4_lS5_liPT4_,@function
_ZL28rocblas_dot_batched_4_kernelIiLi64ELi4ELb1EddPKPKdEviT5_lT_lS4_lS5_liPT4_: ; @_ZL28rocblas_dot_batched_4_kernelIiLi64ELi4ELb1EddPKPKdEviT5_lT_lS4_lS5_liPT4_
; %bb.0:
	s_load_dword s0, s[4:5], 0x48
	v_bfe_u32 v1, v0, 10, 10
	v_lshl_add_u32 v4, s6, 2, v1
	s_waitcnt lgkmcnt(0)
	v_cmp_gt_u32_e32 vcc, s0, v4
	s_and_saveexec_b64 s[0:1], vcc
	s_cbranch_execz .LBB637_7
; %bb.1:
	s_load_dword s14, s[4:5], 0x0
	s_load_dwordx2 s[6:7], s[4:5], 0x50
	v_mov_b32_e32 v5, 0
	v_and_b32_e32 v8, 0x3ff, v0
	v_pk_mov_b32 v[2:3], 0, 0
	s_waitcnt lgkmcnt(0)
	v_cmp_gt_i32_e32 vcc, s14, v8
	v_lshlrev_b64 v[0:1], 3, v[4:5]
	s_and_saveexec_b64 s[12:13], vcc
	s_cbranch_execz .LBB637_5
; %bb.2:
	s_load_dwordx4 s[0:3], s[4:5], 0x8
	s_load_dwordx4 s[8:11], s[4:5], 0x28
	s_load_dword s16, s[4:5], 0x18
	s_waitcnt lgkmcnt(0)
	v_mov_b32_e32 v3, s1
	v_add_co_u32_e32 v2, vcc, s0, v0
	v_addc_co_u32_e32 v3, vcc, v3, v1, vcc
	global_load_dwordx2 v[4:5], v[2:3], off
	v_mov_b32_e32 v3, s9
	v_add_co_u32_e32 v2, vcc, s8, v0
	v_addc_co_u32_e32 v3, vcc, v3, v1, vcc
	global_load_dwordx2 v[6:7], v[2:3], off
	s_load_dword s4, s[4:5], 0x38
	v_mad_i64_i32 v[10:11], s[8:9], s16, v8, 0
	s_lshl_b64 s[8:9], s[2:3], 3
	v_lshlrev_b64 v[10:11], 3, v[10:11]
	s_waitcnt lgkmcnt(0)
	v_mad_i64_i32 v[12:13], s[2:3], s4, v8, 0
	v_mov_b32_e32 v9, s9
	v_add_co_u32_e32 v15, vcc, s8, v10
	s_lshl_b64 s[10:11], s[10:11], 3
	v_lshlrev_b64 v[12:13], 3, v[12:13]
	v_addc_co_u32_e32 v11, vcc, v11, v9, vcc
	v_mov_b32_e32 v14, s11
	v_add_co_u32_e32 v12, vcc, s10, v12
	v_addc_co_u32_e32 v13, vcc, v13, v14, vcc
	s_ashr_i32 s17, s16, 31
	s_ashr_i32 s5, s4, 31
	s_lshl_b64 s[2:3], s[16:17], 9
	s_lshl_b64 s[4:5], s[4:5], 9
	s_mov_b64 s[0:1], 0
	v_pk_mov_b32 v[2:3], 0, 0
	v_mov_b32_e32 v9, s3
	v_mov_b32_e32 v10, s5
	s_waitcnt vmcnt(1)
	v_add_co_u32_e32 v4, vcc, v4, v15
	v_addc_co_u32_e32 v5, vcc, v5, v11, vcc
	v_mov_b32_e32 v11, v8
	s_waitcnt vmcnt(0)
	v_add_co_u32_e32 v6, vcc, v6, v12
	v_addc_co_u32_e32 v7, vcc, v7, v13, vcc
.LBB637_3:                              ; =>This Inner Loop Header: Depth=1
	global_load_dwordx2 v[12:13], v[4:5], off
	global_load_dwordx2 v[14:15], v[6:7], off
	v_add_co_u32_e32 v4, vcc, s2, v4
	v_addc_co_u32_e32 v5, vcc, v5, v9, vcc
	v_add_co_u32_e32 v6, vcc, s4, v6
	v_add_u32_e32 v11, 64, v11
	v_addc_co_u32_e32 v7, vcc, v7, v10, vcc
	v_cmp_le_i32_e32 vcc, s14, v11
	s_or_b64 s[0:1], vcc, s[0:1]
	s_waitcnt vmcnt(0)
	v_fmac_f64_e32 v[2:3], v[12:13], v[14:15]
	s_andn2_b64 exec, exec, s[0:1]
	s_cbranch_execnz .LBB637_3
; %bb.4:
	s_or_b64 exec, exec, s[0:1]
.LBB637_5:
	s_or_b64 exec, exec, s[12:13]
	v_mbcnt_lo_u32_b32 v4, -1, 0
	v_mbcnt_hi_u32_b32 v6, -1, v4
	v_and_b32_e32 v7, 63, v6
	v_cmp_gt_u32_e32 vcc, 32, v7
	v_cndmask_b32_e64 v4, 0, 1, vcc
	v_lshlrev_b32_e32 v4, 5, v4
	v_add_lshl_u32 v5, v4, v6, 2
	ds_bpermute_b32 v4, v5, v2
	ds_bpermute_b32 v5, v5, v3
	v_cmp_gt_u32_e32 vcc, 48, v7
	v_cndmask_b32_e64 v9, 0, 1, vcc
	v_cmp_gt_u32_e32 vcc, 56, v7
	s_waitcnt lgkmcnt(0)
	v_add_f64 v[2:3], v[2:3], v[4:5]
	v_lshlrev_b32_e32 v4, 4, v9
	v_add_lshl_u32 v5, v4, v6, 2
	ds_bpermute_b32 v4, v5, v2
	ds_bpermute_b32 v5, v5, v3
	s_barrier
	s_waitcnt lgkmcnt(0)
	v_add_f64 v[2:3], v[2:3], v[4:5]
	v_cndmask_b32_e64 v4, 0, 1, vcc
	v_lshlrev_b32_e32 v4, 3, v4
	v_add_lshl_u32 v5, v4, v6, 2
	ds_bpermute_b32 v4, v5, v2
	ds_bpermute_b32 v5, v5, v3
	v_cmp_gt_u32_e32 vcc, 60, v7
	s_waitcnt lgkmcnt(0)
	v_add_f64 v[2:3], v[2:3], v[4:5]
	v_cndmask_b32_e64 v4, 0, 1, vcc
	v_lshlrev_b32_e32 v4, 2, v4
	v_add_lshl_u32 v5, v4, v6, 2
	ds_bpermute_b32 v4, v5, v2
	ds_bpermute_b32 v5, v5, v3
	v_cmp_gt_u32_e32 vcc, 62, v7
	s_waitcnt lgkmcnt(0)
	v_add_f64 v[2:3], v[2:3], v[4:5]
	v_cndmask_b32_e64 v4, 0, 1, vcc
	v_lshlrev_b32_e32 v4, 1, v4
	v_add_lshl_u32 v5, v4, v6, 2
	ds_bpermute_b32 v4, v5, v2
	ds_bpermute_b32 v5, v5, v3
	v_cmp_ne_u32_e32 vcc, 63, v7
	s_waitcnt lgkmcnt(0)
	v_add_f64 v[2:3], v[2:3], v[4:5]
	v_addc_co_u32_e32 v4, vcc, 0, v6, vcc
	v_lshlrev_b32_e32 v5, 2, v4
	ds_bpermute_b32 v4, v5, v2
	ds_bpermute_b32 v5, v5, v3
	v_cmp_eq_u32_e32 vcc, 0, v8
	s_and_b64 exec, exec, vcc
	s_cbranch_execz .LBB637_7
; %bb.6:
	v_mov_b32_e32 v6, s7
	v_add_co_u32_e32 v0, vcc, s6, v0
	v_addc_co_u32_e32 v1, vcc, v6, v1, vcc
	s_waitcnt lgkmcnt(0)
	v_add_f64 v[2:3], v[2:3], v[4:5]
	global_store_dwordx2 v[0:1], v[2:3], off
.LBB637_7:
	s_endpgm
	.section	.rodata,"a",@progbits
	.p2align	6, 0x0
	.amdhsa_kernel _ZL28rocblas_dot_batched_4_kernelIiLi64ELi4ELb1EddPKPKdEviT5_lT_lS4_lS5_liPT4_
		.amdhsa_group_segment_fixed_size 0
		.amdhsa_private_segment_fixed_size 0
		.amdhsa_kernarg_size 88
		.amdhsa_user_sgpr_count 6
		.amdhsa_user_sgpr_private_segment_buffer 1
		.amdhsa_user_sgpr_dispatch_ptr 0
		.amdhsa_user_sgpr_queue_ptr 0
		.amdhsa_user_sgpr_kernarg_segment_ptr 1
		.amdhsa_user_sgpr_dispatch_id 0
		.amdhsa_user_sgpr_flat_scratch_init 0
		.amdhsa_user_sgpr_kernarg_preload_length 0
		.amdhsa_user_sgpr_kernarg_preload_offset 0
		.amdhsa_user_sgpr_private_segment_size 0
		.amdhsa_uses_dynamic_stack 0
		.amdhsa_system_sgpr_private_segment_wavefront_offset 0
		.amdhsa_system_sgpr_workgroup_id_x 1
		.amdhsa_system_sgpr_workgroup_id_y 0
		.amdhsa_system_sgpr_workgroup_id_z 0
		.amdhsa_system_sgpr_workgroup_info 0
		.amdhsa_system_vgpr_workitem_id 1
		.amdhsa_next_free_vgpr 16
		.amdhsa_next_free_sgpr 18
		.amdhsa_accum_offset 16
		.amdhsa_reserve_vcc 1
		.amdhsa_reserve_flat_scratch 0
		.amdhsa_float_round_mode_32 0
		.amdhsa_float_round_mode_16_64 0
		.amdhsa_float_denorm_mode_32 3
		.amdhsa_float_denorm_mode_16_64 3
		.amdhsa_dx10_clamp 1
		.amdhsa_ieee_mode 1
		.amdhsa_fp16_overflow 0
		.amdhsa_tg_split 0
		.amdhsa_exception_fp_ieee_invalid_op 0
		.amdhsa_exception_fp_denorm_src 0
		.amdhsa_exception_fp_ieee_div_zero 0
		.amdhsa_exception_fp_ieee_overflow 0
		.amdhsa_exception_fp_ieee_underflow 0
		.amdhsa_exception_fp_ieee_inexact 0
		.amdhsa_exception_int_div_zero 0
	.end_amdhsa_kernel
	.section	.text._ZL28rocblas_dot_batched_4_kernelIiLi64ELi4ELb1EddPKPKdEviT5_lT_lS4_lS5_liPT4_,"axG",@progbits,_ZL28rocblas_dot_batched_4_kernelIiLi64ELi4ELb1EddPKPKdEviT5_lT_lS4_lS5_liPT4_,comdat
.Lfunc_end637:
	.size	_ZL28rocblas_dot_batched_4_kernelIiLi64ELi4ELb1EddPKPKdEviT5_lT_lS4_lS5_liPT4_, .Lfunc_end637-_ZL28rocblas_dot_batched_4_kernelIiLi64ELi4ELb1EddPKPKdEviT5_lT_lS4_lS5_liPT4_
                                        ; -- End function
	.section	.AMDGPU.csdata,"",@progbits
; Kernel info:
; codeLenInByte = 736
; NumSgprs: 22
; NumVgprs: 16
; NumAgprs: 0
; TotalNumVgprs: 16
; ScratchSize: 0
; MemoryBound: 0
; FloatMode: 240
; IeeeMode: 1
; LDSByteSize: 0 bytes/workgroup (compile time only)
; SGPRBlocks: 2
; VGPRBlocks: 1
; NumSGPRsForWavesPerEU: 22
; NumVGPRsForWavesPerEU: 16
; AccumOffset: 16
; Occupancy: 8
; WaveLimiterHint : 0
; COMPUTE_PGM_RSRC2:SCRATCH_EN: 0
; COMPUTE_PGM_RSRC2:USER_SGPR: 6
; COMPUTE_PGM_RSRC2:TRAP_HANDLER: 0
; COMPUTE_PGM_RSRC2:TGID_X_EN: 1
; COMPUTE_PGM_RSRC2:TGID_Y_EN: 0
; COMPUTE_PGM_RSRC2:TGID_Z_EN: 0
; COMPUTE_PGM_RSRC2:TIDIG_COMP_CNT: 1
; COMPUTE_PGM_RSRC3_GFX90A:ACCUM_OFFSET: 3
; COMPUTE_PGM_RSRC3_GFX90A:TG_SPLIT: 0
	.section	.text._ZL26rocblas_dot_kernel_inc1by2ILb1ELi1024ELi32ELb1EdPKPKddEviT4_llS4_lliPT5_PT3_,"axG",@progbits,_ZL26rocblas_dot_kernel_inc1by2ILb1ELi1024ELi32ELb1EdPKPKddEviT4_llS4_lliPT5_PT3_,comdat
	.globl	_ZL26rocblas_dot_kernel_inc1by2ILb1ELi1024ELi32ELb1EdPKPKddEviT4_llS4_lliPT5_PT3_ ; -- Begin function _ZL26rocblas_dot_kernel_inc1by2ILb1ELi1024ELi32ELb1EdPKPKddEviT4_llS4_lliPT5_PT3_
	.p2align	8
	.type	_ZL26rocblas_dot_kernel_inc1by2ILb1ELi1024ELi32ELb1EdPKPKddEviT4_llS4_lliPT5_PT3_,@function
_ZL26rocblas_dot_kernel_inc1by2ILb1ELi1024ELi32ELb1EdPKPKddEviT4_llS4_lliPT5_PT3_: ; @_ZL26rocblas_dot_kernel_inc1by2ILb1ELi1024ELi32ELb1EdPKPKddEviT4_llS4_lliPT5_PT3_
; %bb.0:
	s_mov_b32 s2, s7
	s_load_dword s10, s[4:5], 0x0
	s_load_dwordx2 s[6:7], s[4:5], 0x48
	s_mov_b32 s3, 0
	v_pk_mov_b32 v[2:3], 0, 0
	s_waitcnt lgkmcnt(0)
	v_cmp_gt_i32_e32 vcc, s10, v0
	s_and_saveexec_b64 s[8:9], vcc
	s_cbranch_execz .LBB638_4
; %bb.1:
	s_load_dwordx4 s[12:15], s[4:5], 0x8
	s_load_dwordx4 s[16:19], s[4:5], 0x20
	s_lshl_b64 s[0:1], s[2:3], 3
	v_lshlrev_b32_e32 v2, 3, v0
	v_or_b32_e32 v1, 0x400, v0
	s_waitcnt lgkmcnt(0)
	s_add_u32 s4, s12, s0
	s_addc_u32 s5, s13, s1
	s_add_u32 s0, s16, s0
	s_addc_u32 s1, s17, s1
	s_load_dwordx2 s[0:1], s[0:1], 0x0
	s_lshl_b64 s[12:13], s[18:19], 3
	s_load_dwordx2 s[4:5], s[4:5], 0x0
	s_mov_b32 s11, s3
	s_waitcnt lgkmcnt(0)
	s_add_u32 s0, s0, s12
	s_addc_u32 s1, s1, s13
	v_mov_b32_e32 v3, s1
	v_add_co_u32_e32 v4, vcc, s0, v2
	s_lshl_b64 s[0:1], s[14:15], 3
	s_add_u32 s0, s4, s0
	v_addc_co_u32_e32 v5, vcc, 0, v3, vcc
	s_addc_u32 s1, s5, s1
	v_mov_b32_e32 v3, s1
	v_add_co_u32_e32 v6, vcc, s0, v2
	v_addc_co_u32_e32 v7, vcc, 0, v3, vcc
	s_mov_b64 s[4:5], 0
	v_pk_mov_b32 v[2:3], 0, 0
.LBB638_2:                              ; =>This Inner Loop Header: Depth=1
	global_load_dwordx2 v[8:9], v[4:5], off
	global_load_dwordx2 v[10:11], v[6:7], off
	s_add_i32 s12, s11, 1
	s_cmp_gt_u32 s11, 30
	v_cmp_le_i32_e64 s[0:1], s10, v1
	v_add_co_u32_e32 v4, vcc, 0x2000, v4
	s_mov_b32 s11, s12
	s_cselect_b64 s[12:13], -1, 0
	v_addc_co_u32_e32 v5, vcc, 0, v5, vcc
	s_or_b64 s[0:1], s[12:13], s[0:1]
	v_add_co_u32_e32 v6, vcc, 0x2000, v6
	s_and_b64 s[0:1], exec, s[0:1]
	v_add_u32_e32 v1, 0x400, v1
	v_addc_co_u32_e32 v7, vcc, 0, v7, vcc
	s_or_b64 s[4:5], s[0:1], s[4:5]
	s_waitcnt vmcnt(0)
	v_fmac_f64_e32 v[2:3], v[8:9], v[10:11]
	s_andn2_b64 exec, exec, s[4:5]
	s_cbranch_execnz .LBB638_2
; %bb.3:
	s_or_b64 exec, exec, s[4:5]
.LBB638_4:
	s_or_b64 exec, exec, s[8:9]
	v_and_b32_e32 v6, 63, v0
	v_cmp_gt_u32_e32 vcc, 64, v0
	v_lshlrev_b32_e32 v1, 3, v6
	s_and_saveexec_b64 s[0:1], vcc
	s_cbranch_execz .LBB638_6
; %bb.5:
	v_mov_b32_e32 v4, 0
	v_mov_b32_e32 v5, v4
	ds_write_b64 v1, v[4:5]
.LBB638_6:
	s_or_b64 exec, exec, s[0:1]
	v_mbcnt_lo_u32_b32 v4, -1, 0
	v_mbcnt_hi_u32_b32 v10, -1, v4
	v_and_b32_e32 v11, 63, v10
	v_cmp_gt_u32_e64 s[0:1], 32, v11
	v_cndmask_b32_e64 v4, 0, 1, s[0:1]
	v_lshlrev_b32_e32 v4, 5, v4
	v_add_lshl_u32 v5, v4, v10, 2
	ds_bpermute_b32 v4, v5, v2
	ds_bpermute_b32 v5, v5, v3
	v_cmp_gt_u32_e64 s[0:1], 48, v11
	v_cndmask_b32_e64 v7, 0, 1, s[0:1]
	v_cmp_gt_u32_e64 s[0:1], 56, v11
	s_waitcnt lgkmcnt(0)
	v_add_f64 v[2:3], v[2:3], v[4:5]
	v_lshlrev_b32_e32 v4, 4, v7
	v_add_lshl_u32 v5, v4, v10, 2
	ds_bpermute_b32 v4, v5, v2
	ds_bpermute_b32 v5, v5, v3
	s_barrier
	s_waitcnt lgkmcnt(0)
	v_add_f64 v[2:3], v[2:3], v[4:5]
	v_cndmask_b32_e64 v4, 0, 1, s[0:1]
	v_lshlrev_b32_e32 v4, 3, v4
	v_add_lshl_u32 v7, v4, v10, 2
	ds_bpermute_b32 v4, v7, v2
	ds_bpermute_b32 v5, v7, v3
	v_cmp_gt_u32_e64 s[0:1], 60, v11
	s_waitcnt lgkmcnt(0)
	v_add_f64 v[2:3], v[2:3], v[4:5]
	v_cndmask_b32_e64 v4, 0, 1, s[0:1]
	v_lshlrev_b32_e32 v4, 2, v4
	v_add_lshl_u32 v8, v4, v10, 2
	ds_bpermute_b32 v4, v8, v2
	ds_bpermute_b32 v5, v8, v3
	v_cmp_gt_u32_e64 s[0:1], 62, v11
	s_waitcnt lgkmcnt(0)
	v_add_f64 v[2:3], v[2:3], v[4:5]
	v_cndmask_b32_e64 v4, 0, 1, s[0:1]
	v_lshlrev_b32_e32 v4, 1, v4
	v_add_lshl_u32 v9, v4, v10, 2
	ds_bpermute_b32 v4, v9, v2
	ds_bpermute_b32 v5, v9, v3
	v_cmp_ne_u32_e64 s[0:1], 63, v11
	s_waitcnt lgkmcnt(0)
	v_add_f64 v[2:3], v[2:3], v[4:5]
	v_addc_co_u32_e64 v4, s[0:1], 0, v10, s[0:1]
	v_lshlrev_b32_e32 v10, 2, v4
	ds_bpermute_b32 v4, v10, v2
	ds_bpermute_b32 v5, v10, v3
	v_cmp_eq_u32_e64 s[0:1], 0, v6
	s_and_saveexec_b64 s[4:5], s[0:1]
	s_cbranch_execz .LBB638_8
; %bb.7:
	s_waitcnt lgkmcnt(0)
	v_add_f64 v[2:3], v[2:3], v[4:5]
	v_lshrrev_b32_e32 v4, 3, v0
	v_and_b32_e32 v4, 0x78, v4
	ds_write_b64 v4, v[2:3]
.LBB638_8:
	s_or_b64 exec, exec, s[4:5]
	v_cmp_gt_u32_e64 s[0:1], 16, v0
	v_pk_mov_b32 v[2:3], 0, 0
	s_waitcnt lgkmcnt(0)
	s_barrier
	s_and_saveexec_b64 s[4:5], s[0:1]
	s_cbranch_execnz .LBB638_12
; %bb.9:
	s_or_b64 exec, exec, s[4:5]
	s_and_saveexec_b64 s[0:1], vcc
	s_cbranch_execnz .LBB638_13
.LBB638_10:
	s_or_b64 exec, exec, s[0:1]
	v_cmp_eq_u32_e32 vcc, 0, v0
	s_and_saveexec_b64 s[0:1], vcc
	s_cbranch_execnz .LBB638_14
.LBB638_11:
	s_endpgm
.LBB638_12:
	ds_read_b64 v[2:3], v1
	s_or_b64 exec, exec, s[4:5]
	s_and_saveexec_b64 s[0:1], vcc
	s_cbranch_execz .LBB638_10
.LBB638_13:
	s_waitcnt lgkmcnt(0)
	ds_bpermute_b32 v4, v7, v2
	ds_bpermute_b32 v5, v7, v3
	s_waitcnt lgkmcnt(0)
	v_add_f64 v[2:3], v[2:3], v[4:5]
	ds_bpermute_b32 v4, v8, v2
	ds_bpermute_b32 v5, v8, v3
	s_waitcnt lgkmcnt(0)
	v_add_f64 v[2:3], v[2:3], v[4:5]
	;; [unrolled: 4-line block ×4, first 2 shown]
	s_or_b64 exec, exec, s[0:1]
	v_cmp_eq_u32_e32 vcc, 0, v0
	s_and_saveexec_b64 s[0:1], vcc
	s_cbranch_execz .LBB638_11
.LBB638_14:
	s_lshl_b64 s[0:1], s[2:3], 3
	s_add_u32 s0, s6, s0
	s_addc_u32 s1, s7, s1
	v_mov_b32_e32 v0, 0
	s_waitcnt lgkmcnt(0)
	global_store_dwordx2 v0, v[2:3], s[0:1]
	s_endpgm
	.section	.rodata,"a",@progbits
	.p2align	6, 0x0
	.amdhsa_kernel _ZL26rocblas_dot_kernel_inc1by2ILb1ELi1024ELi32ELb1EdPKPKddEviT4_llS4_lliPT5_PT3_
		.amdhsa_group_segment_fixed_size 512
		.amdhsa_private_segment_fixed_size 0
		.amdhsa_kernarg_size 80
		.amdhsa_user_sgpr_count 6
		.amdhsa_user_sgpr_private_segment_buffer 1
		.amdhsa_user_sgpr_dispatch_ptr 0
		.amdhsa_user_sgpr_queue_ptr 0
		.amdhsa_user_sgpr_kernarg_segment_ptr 1
		.amdhsa_user_sgpr_dispatch_id 0
		.amdhsa_user_sgpr_flat_scratch_init 0
		.amdhsa_user_sgpr_kernarg_preload_length 0
		.amdhsa_user_sgpr_kernarg_preload_offset 0
		.amdhsa_user_sgpr_private_segment_size 0
		.amdhsa_uses_dynamic_stack 0
		.amdhsa_system_sgpr_private_segment_wavefront_offset 0
		.amdhsa_system_sgpr_workgroup_id_x 1
		.amdhsa_system_sgpr_workgroup_id_y 0
		.amdhsa_system_sgpr_workgroup_id_z 1
		.amdhsa_system_sgpr_workgroup_info 0
		.amdhsa_system_vgpr_workitem_id 0
		.amdhsa_next_free_vgpr 12
		.amdhsa_next_free_sgpr 20
		.amdhsa_accum_offset 12
		.amdhsa_reserve_vcc 1
		.amdhsa_reserve_flat_scratch 0
		.amdhsa_float_round_mode_32 0
		.amdhsa_float_round_mode_16_64 0
		.amdhsa_float_denorm_mode_32 3
		.amdhsa_float_denorm_mode_16_64 3
		.amdhsa_dx10_clamp 1
		.amdhsa_ieee_mode 1
		.amdhsa_fp16_overflow 0
		.amdhsa_tg_split 0
		.amdhsa_exception_fp_ieee_invalid_op 0
		.amdhsa_exception_fp_denorm_src 0
		.amdhsa_exception_fp_ieee_div_zero 0
		.amdhsa_exception_fp_ieee_overflow 0
		.amdhsa_exception_fp_ieee_underflow 0
		.amdhsa_exception_fp_ieee_inexact 0
		.amdhsa_exception_int_div_zero 0
	.end_amdhsa_kernel
	.section	.text._ZL26rocblas_dot_kernel_inc1by2ILb1ELi1024ELi32ELb1EdPKPKddEviT4_llS4_lliPT5_PT3_,"axG",@progbits,_ZL26rocblas_dot_kernel_inc1by2ILb1ELi1024ELi32ELb1EdPKPKddEviT4_llS4_lliPT5_PT3_,comdat
.Lfunc_end638:
	.size	_ZL26rocblas_dot_kernel_inc1by2ILb1ELi1024ELi32ELb1EdPKPKddEviT4_llS4_lliPT5_PT3_, .Lfunc_end638-_ZL26rocblas_dot_kernel_inc1by2ILb1ELi1024ELi32ELb1EdPKPKddEviT4_llS4_lliPT5_PT3_
                                        ; -- End function
	.section	.AMDGPU.csdata,"",@progbits
; Kernel info:
; codeLenInByte = 972
; NumSgprs: 24
; NumVgprs: 12
; NumAgprs: 0
; TotalNumVgprs: 12
; ScratchSize: 0
; MemoryBound: 0
; FloatMode: 240
; IeeeMode: 1
; LDSByteSize: 512 bytes/workgroup (compile time only)
; SGPRBlocks: 2
; VGPRBlocks: 1
; NumSGPRsForWavesPerEU: 24
; NumVGPRsForWavesPerEU: 12
; AccumOffset: 12
; Occupancy: 8
; WaveLimiterHint : 0
; COMPUTE_PGM_RSRC2:SCRATCH_EN: 0
; COMPUTE_PGM_RSRC2:USER_SGPR: 6
; COMPUTE_PGM_RSRC2:TRAP_HANDLER: 0
; COMPUTE_PGM_RSRC2:TGID_X_EN: 1
; COMPUTE_PGM_RSRC2:TGID_Y_EN: 0
; COMPUTE_PGM_RSRC2:TGID_Z_EN: 1
; COMPUTE_PGM_RSRC2:TIDIG_COMP_CNT: 0
; COMPUTE_PGM_RSRC3_GFX90A:ACCUM_OFFSET: 2
; COMPUTE_PGM_RSRC3_GFX90A:TG_SPLIT: 0
	.section	.text._ZL18rocblas_dot_kernelIiLb1ELi1024ELi32ELb1EdPKPKddEviT5_lT_lS4_lS5_liPT6_PT4_,"axG",@progbits,_ZL18rocblas_dot_kernelIiLb1ELi1024ELi32ELb1EdPKPKddEviT5_lT_lS4_lS5_liPT6_PT4_,comdat
	.globl	_ZL18rocblas_dot_kernelIiLb1ELi1024ELi32ELb1EdPKPKddEviT5_lT_lS4_lS5_liPT6_PT4_ ; -- Begin function _ZL18rocblas_dot_kernelIiLb1ELi1024ELi32ELb1EdPKPKddEviT5_lT_lS4_lS5_liPT6_PT4_
	.p2align	8
	.type	_ZL18rocblas_dot_kernelIiLb1ELi1024ELi32ELb1EdPKPKddEviT5_lT_lS4_lS5_liPT6_PT4_,@function
_ZL18rocblas_dot_kernelIiLb1ELi1024ELi32ELb1EdPKPKddEviT5_lT_lS4_lS5_liPT6_PT4_: ; @_ZL18rocblas_dot_kernelIiLb1ELi1024ELi32ELb1EdPKPKddEviT5_lT_lS4_lS5_liPT6_PT4_
; %bb.0:
	s_mov_b32 s2, s7
	s_load_dword s14, s[4:5], 0x0
	s_load_dwordx2 s[6:7], s[4:5], 0x58
	s_mov_b32 s3, 0
	v_pk_mov_b32 v[2:3], 0, 0
	s_waitcnt lgkmcnt(0)
	v_cmp_gt_i32_e32 vcc, s14, v0
	s_and_saveexec_b64 s[8:9], vcc
	s_cbranch_execz .LBB639_4
; %bb.1:
	s_load_dwordx4 s[16:19], s[4:5], 0x8
	s_load_dword s24, s[4:5], 0x18
	s_lshl_b64 s[0:1], s[2:3], 3
	s_load_dwordx4 s[20:23], s[4:5], 0x28
	s_waitcnt lgkmcnt(0)
	s_add_u32 s10, s16, s0
	s_addc_u32 s11, s17, s1
	s_load_dword s16, s[4:5], 0x38
	s_load_dword s15, s[4:5], 0x60
	s_load_dwordx2 s[12:13], s[10:11], 0x0
	s_add_u32 s0, s20, s0
	v_mad_i64_i32 v[2:3], s[4:5], s24, v0, 0
	s_addc_u32 s1, s21, s1
	s_waitcnt lgkmcnt(0)
	s_lshl_b32 s15, s15, 10
	s_lshl_b64 s[4:5], s[18:19], 3
	s_load_dwordx2 s[0:1], s[0:1], 0x0
	s_add_u32 s4, s12, s4
	v_lshlrev_b64 v[2:3], 3, v[2:3]
	s_addc_u32 s5, s13, s5
	v_mov_b32_e32 v5, s5
	v_add_co_u32_e32 v4, vcc, s4, v2
	v_addc_co_u32_e32 v5, vcc, v5, v3, vcc
	s_mul_hi_i32 s5, s24, s15
	s_mul_i32 s4, s24, s15
	v_mad_i64_i32 v[2:3], s[10:11], s16, v0, 0
	s_lshl_b64 s[4:5], s[4:5], 3
	s_lshl_b64 s[10:11], s[22:23], 3
	s_waitcnt lgkmcnt(0)
	s_add_u32 s0, s0, s10
	v_lshlrev_b64 v[2:3], 3, v[2:3]
	s_addc_u32 s1, s1, s11
	v_mov_b32_e32 v7, s1
	v_add_co_u32_e32 v6, vcc, s0, v2
	s_mul_hi_i32 s1, s16, s15
	s_mul_i32 s0, s16, s15
	s_lshl_b64 s[12:13], s[0:1], 3
	v_or_b32_e32 v1, s15, v0
	v_addc_co_u32_e32 v7, vcc, v7, v3, vcc
	s_mov_b64 s[10:11], 0
	v_pk_mov_b32 v[2:3], 0, 0
	v_mov_b32_e32 v8, s5
	v_mov_b32_e32 v9, s13
	s_mov_b32 s5, s3
.LBB639_2:                              ; =>This Inner Loop Header: Depth=1
	global_load_dwordx2 v[10:11], v[6:7], off
	global_load_dwordx2 v[12:13], v[4:5], off
	v_add_co_u32_e64 v4, s[0:1], s4, v4
	v_addc_co_u32_e64 v5, s[0:1], v5, v8, s[0:1]
	s_add_i32 s13, s5, 1
	v_add_co_u32_e64 v6, s[0:1], s12, v6
	v_addc_co_u32_e64 v7, s[0:1], v7, v9, s[0:1]
	s_cmp_gt_u32 s5, 30
	v_cmp_le_i32_e32 vcc, s14, v1
	s_cselect_b64 s[0:1], -1, 0
	s_or_b64 s[0:1], s[0:1], vcc
	s_and_b64 s[0:1], exec, s[0:1]
	v_add_u32_e32 v1, s15, v1
	s_mov_b32 s5, s13
	s_or_b64 s[10:11], s[0:1], s[10:11]
	s_waitcnt vmcnt(0)
	v_fmac_f64_e32 v[2:3], v[10:11], v[12:13]
	s_andn2_b64 exec, exec, s[10:11]
	s_cbranch_execnz .LBB639_2
; %bb.3:
	s_or_b64 exec, exec, s[10:11]
.LBB639_4:
	s_or_b64 exec, exec, s[8:9]
	v_and_b32_e32 v6, 63, v0
	v_cmp_gt_u32_e32 vcc, 64, v0
	v_lshlrev_b32_e32 v1, 3, v6
	s_and_saveexec_b64 s[0:1], vcc
	s_cbranch_execz .LBB639_6
; %bb.5:
	v_mov_b32_e32 v4, 0
	v_mov_b32_e32 v5, v4
	ds_write_b64 v1, v[4:5]
.LBB639_6:
	s_or_b64 exec, exec, s[0:1]
	v_mbcnt_lo_u32_b32 v4, -1, 0
	v_mbcnt_hi_u32_b32 v10, -1, v4
	v_and_b32_e32 v11, 63, v10
	v_cmp_gt_u32_e64 s[0:1], 32, v11
	v_cndmask_b32_e64 v4, 0, 1, s[0:1]
	v_lshlrev_b32_e32 v4, 5, v4
	v_add_lshl_u32 v5, v4, v10, 2
	ds_bpermute_b32 v4, v5, v2
	ds_bpermute_b32 v5, v5, v3
	v_cmp_gt_u32_e64 s[0:1], 48, v11
	v_cndmask_b32_e64 v7, 0, 1, s[0:1]
	v_cmp_gt_u32_e64 s[0:1], 56, v11
	s_waitcnt lgkmcnt(0)
	v_add_f64 v[2:3], v[2:3], v[4:5]
	v_lshlrev_b32_e32 v4, 4, v7
	v_add_lshl_u32 v5, v4, v10, 2
	ds_bpermute_b32 v4, v5, v2
	ds_bpermute_b32 v5, v5, v3
	s_barrier
	s_waitcnt lgkmcnt(0)
	v_add_f64 v[2:3], v[2:3], v[4:5]
	v_cndmask_b32_e64 v4, 0, 1, s[0:1]
	v_lshlrev_b32_e32 v4, 3, v4
	v_add_lshl_u32 v7, v4, v10, 2
	ds_bpermute_b32 v4, v7, v2
	ds_bpermute_b32 v5, v7, v3
	v_cmp_gt_u32_e64 s[0:1], 60, v11
	s_waitcnt lgkmcnt(0)
	v_add_f64 v[2:3], v[2:3], v[4:5]
	v_cndmask_b32_e64 v4, 0, 1, s[0:1]
	v_lshlrev_b32_e32 v4, 2, v4
	v_add_lshl_u32 v8, v4, v10, 2
	ds_bpermute_b32 v4, v8, v2
	ds_bpermute_b32 v5, v8, v3
	v_cmp_gt_u32_e64 s[0:1], 62, v11
	s_waitcnt lgkmcnt(0)
	v_add_f64 v[2:3], v[2:3], v[4:5]
	v_cndmask_b32_e64 v4, 0, 1, s[0:1]
	v_lshlrev_b32_e32 v4, 1, v4
	v_add_lshl_u32 v9, v4, v10, 2
	ds_bpermute_b32 v4, v9, v2
	ds_bpermute_b32 v5, v9, v3
	v_cmp_ne_u32_e64 s[0:1], 63, v11
	s_waitcnt lgkmcnt(0)
	v_add_f64 v[2:3], v[2:3], v[4:5]
	v_addc_co_u32_e64 v4, s[0:1], 0, v10, s[0:1]
	v_lshlrev_b32_e32 v10, 2, v4
	ds_bpermute_b32 v4, v10, v2
	ds_bpermute_b32 v5, v10, v3
	v_cmp_eq_u32_e64 s[0:1], 0, v6
	s_and_saveexec_b64 s[4:5], s[0:1]
	s_cbranch_execz .LBB639_8
; %bb.7:
	s_waitcnt lgkmcnt(0)
	v_add_f64 v[2:3], v[2:3], v[4:5]
	v_lshrrev_b32_e32 v4, 3, v0
	v_and_b32_e32 v4, 0x78, v4
	ds_write_b64 v4, v[2:3]
.LBB639_8:
	s_or_b64 exec, exec, s[4:5]
	v_cmp_gt_u32_e64 s[0:1], 16, v0
	v_pk_mov_b32 v[2:3], 0, 0
	s_waitcnt lgkmcnt(0)
	s_barrier
	s_and_saveexec_b64 s[4:5], s[0:1]
	s_cbranch_execnz .LBB639_12
; %bb.9:
	s_or_b64 exec, exec, s[4:5]
	s_and_saveexec_b64 s[0:1], vcc
	s_cbranch_execnz .LBB639_13
.LBB639_10:
	s_or_b64 exec, exec, s[0:1]
	v_cmp_eq_u32_e32 vcc, 0, v0
	s_and_saveexec_b64 s[0:1], vcc
	s_cbranch_execnz .LBB639_14
.LBB639_11:
	s_endpgm
.LBB639_12:
	ds_read_b64 v[2:3], v1
	s_or_b64 exec, exec, s[4:5]
	s_and_saveexec_b64 s[0:1], vcc
	s_cbranch_execz .LBB639_10
.LBB639_13:
	s_waitcnt lgkmcnt(0)
	ds_bpermute_b32 v4, v7, v2
	ds_bpermute_b32 v5, v7, v3
	s_waitcnt lgkmcnt(0)
	v_add_f64 v[2:3], v[2:3], v[4:5]
	ds_bpermute_b32 v4, v8, v2
	ds_bpermute_b32 v5, v8, v3
	s_waitcnt lgkmcnt(0)
	v_add_f64 v[2:3], v[2:3], v[4:5]
	;; [unrolled: 4-line block ×4, first 2 shown]
	s_or_b64 exec, exec, s[0:1]
	v_cmp_eq_u32_e32 vcc, 0, v0
	s_and_saveexec_b64 s[0:1], vcc
	s_cbranch_execz .LBB639_11
.LBB639_14:
	s_lshl_b64 s[0:1], s[2:3], 3
	s_add_u32 s0, s6, s0
	s_addc_u32 s1, s7, s1
	v_mov_b32_e32 v0, 0
	s_waitcnt lgkmcnt(0)
	global_store_dwordx2 v0, v[2:3], s[0:1]
	s_endpgm
	.section	.rodata,"a",@progbits
	.p2align	6, 0x0
	.amdhsa_kernel _ZL18rocblas_dot_kernelIiLb1ELi1024ELi32ELb1EdPKPKddEviT5_lT_lS4_lS5_liPT6_PT4_
		.amdhsa_group_segment_fixed_size 512
		.amdhsa_private_segment_fixed_size 0
		.amdhsa_kernarg_size 352
		.amdhsa_user_sgpr_count 6
		.amdhsa_user_sgpr_private_segment_buffer 1
		.amdhsa_user_sgpr_dispatch_ptr 0
		.amdhsa_user_sgpr_queue_ptr 0
		.amdhsa_user_sgpr_kernarg_segment_ptr 1
		.amdhsa_user_sgpr_dispatch_id 0
		.amdhsa_user_sgpr_flat_scratch_init 0
		.amdhsa_user_sgpr_kernarg_preload_length 0
		.amdhsa_user_sgpr_kernarg_preload_offset 0
		.amdhsa_user_sgpr_private_segment_size 0
		.amdhsa_uses_dynamic_stack 0
		.amdhsa_system_sgpr_private_segment_wavefront_offset 0
		.amdhsa_system_sgpr_workgroup_id_x 1
		.amdhsa_system_sgpr_workgroup_id_y 0
		.amdhsa_system_sgpr_workgroup_id_z 1
		.amdhsa_system_sgpr_workgroup_info 0
		.amdhsa_system_vgpr_workitem_id 0
		.amdhsa_next_free_vgpr 14
		.amdhsa_next_free_sgpr 25
		.amdhsa_accum_offset 16
		.amdhsa_reserve_vcc 1
		.amdhsa_reserve_flat_scratch 0
		.amdhsa_float_round_mode_32 0
		.amdhsa_float_round_mode_16_64 0
		.amdhsa_float_denorm_mode_32 3
		.amdhsa_float_denorm_mode_16_64 3
		.amdhsa_dx10_clamp 1
		.amdhsa_ieee_mode 1
		.amdhsa_fp16_overflow 0
		.amdhsa_tg_split 0
		.amdhsa_exception_fp_ieee_invalid_op 0
		.amdhsa_exception_fp_denorm_src 0
		.amdhsa_exception_fp_ieee_div_zero 0
		.amdhsa_exception_fp_ieee_overflow 0
		.amdhsa_exception_fp_ieee_underflow 0
		.amdhsa_exception_fp_ieee_inexact 0
		.amdhsa_exception_int_div_zero 0
	.end_amdhsa_kernel
	.section	.text._ZL18rocblas_dot_kernelIiLb1ELi1024ELi32ELb1EdPKPKddEviT5_lT_lS4_lS5_liPT6_PT4_,"axG",@progbits,_ZL18rocblas_dot_kernelIiLb1ELi1024ELi32ELb1EdPKPKddEviT5_lT_lS4_lS5_liPT6_PT4_,comdat
.Lfunc_end639:
	.size	_ZL18rocblas_dot_kernelIiLb1ELi1024ELi32ELb1EdPKPKddEviT5_lT_lS4_lS5_liPT6_PT4_, .Lfunc_end639-_ZL18rocblas_dot_kernelIiLb1ELi1024ELi32ELb1EdPKPKddEviT5_lT_lS4_lS5_liPT6_PT4_
                                        ; -- End function
	.section	.AMDGPU.csdata,"",@progbits
; Kernel info:
; codeLenInByte = 1060
; NumSgprs: 29
; NumVgprs: 14
; NumAgprs: 0
; TotalNumVgprs: 14
; ScratchSize: 0
; MemoryBound: 0
; FloatMode: 240
; IeeeMode: 1
; LDSByteSize: 512 bytes/workgroup (compile time only)
; SGPRBlocks: 3
; VGPRBlocks: 1
; NumSGPRsForWavesPerEU: 29
; NumVGPRsForWavesPerEU: 14
; AccumOffset: 16
; Occupancy: 8
; WaveLimiterHint : 0
; COMPUTE_PGM_RSRC2:SCRATCH_EN: 0
; COMPUTE_PGM_RSRC2:USER_SGPR: 6
; COMPUTE_PGM_RSRC2:TRAP_HANDLER: 0
; COMPUTE_PGM_RSRC2:TGID_X_EN: 1
; COMPUTE_PGM_RSRC2:TGID_Y_EN: 0
; COMPUTE_PGM_RSRC2:TGID_Z_EN: 1
; COMPUTE_PGM_RSRC2:TIDIG_COMP_CNT: 0
; COMPUTE_PGM_RSRC3_GFX90A:ACCUM_OFFSET: 3
; COMPUTE_PGM_RSRC3_GFX90A:TG_SPLIT: 0
	.section	.text._ZL24rocblas_dot_kernel_magsqIiLb1ELi1024ELi32ELb1EdPKPKddEviT5_lT_liPT6_PT4_,"axG",@progbits,_ZL24rocblas_dot_kernel_magsqIiLb1ELi1024ELi32ELb1EdPKPKddEviT5_lT_liPT6_PT4_,comdat
	.globl	_ZL24rocblas_dot_kernel_magsqIiLb1ELi1024ELi32ELb1EdPKPKddEviT5_lT_liPT6_PT4_ ; -- Begin function _ZL24rocblas_dot_kernel_magsqIiLb1ELi1024ELi32ELb1EdPKPKddEviT5_lT_liPT6_PT4_
	.p2align	8
	.type	_ZL24rocblas_dot_kernel_magsqIiLb1ELi1024ELi32ELb1EdPKPKddEviT5_lT_liPT6_PT4_,@function
_ZL24rocblas_dot_kernel_magsqIiLb1ELi1024ELi32ELb1EdPKPKddEviT5_lT_liPT6_PT4_: ; @_ZL24rocblas_dot_kernel_magsqIiLb1ELi1024ELi32ELb1EdPKPKddEviT5_lT_liPT6_PT4_
; %bb.0:
	s_mov_b32 s2, s7
	s_load_dword s12, s[4:5], 0x0
	s_load_dwordx2 s[6:7], s[4:5], 0x38
	s_mov_b32 s3, 0
	v_pk_mov_b32 v[2:3], 0, 0
	s_waitcnt lgkmcnt(0)
	v_cmp_gt_i32_e32 vcc, s12, v0
	s_and_saveexec_b64 s[8:9], vcc
	s_cbranch_execz .LBB640_4
; %bb.1:
	s_load_dwordx4 s[16:19], s[4:5], 0x8
	s_load_dword s10, s[4:5], 0x40
	s_load_dword s11, s[4:5], 0x18
	s_lshl_b64 s[0:1], s[2:3], 3
	s_waitcnt lgkmcnt(0)
	s_add_u32 s0, s16, s0
	s_addc_u32 s1, s17, s1
	s_load_dwordx2 s[0:1], s[0:1], 0x0
	v_mad_i64_i32 v[2:3], s[4:5], s11, v0, 0
	s_lshl_b32 s13, s10, 10
	s_lshl_b64 s[4:5], s[18:19], 3
	s_waitcnt lgkmcnt(0)
	s_add_u32 s0, s0, s4
	v_lshlrev_b64 v[2:3], 3, v[2:3]
	s_addc_u32 s1, s1, s5
	v_mov_b32_e32 v5, s1
	v_add_co_u32_e32 v4, vcc, s0, v2
	s_mul_hi_i32 s1, s11, s13
	s_mul_i32 s0, s11, s13
	s_lshl_b64 s[10:11], s[0:1], 3
	v_or_b32_e32 v1, s13, v0
	v_addc_co_u32_e32 v5, vcc, v5, v3, vcc
	s_mov_b64 s[4:5], 0
	v_pk_mov_b32 v[2:3], 0, 0
	v_mov_b32_e32 v6, s11
	s_mov_b32 s11, s3
.LBB640_2:                              ; =>This Inner Loop Header: Depth=1
	global_load_dwordx2 v[8:9], v[4:5], off
	s_add_i32 s14, s11, 1
	v_add_co_u32_e64 v4, s[0:1], s10, v4
	v_addc_co_u32_e64 v5, s[0:1], v5, v6, s[0:1]
	s_cmp_gt_u32 s11, 30
	v_cmp_le_i32_e32 vcc, s12, v1
	s_cselect_b64 s[0:1], -1, 0
	s_or_b64 s[0:1], s[0:1], vcc
	s_and_b64 s[0:1], exec, s[0:1]
	v_add_u32_e32 v1, s13, v1
	s_mov_b32 s11, s14
	s_or_b64 s[4:5], s[0:1], s[4:5]
	s_waitcnt vmcnt(0)
	v_fmac_f64_e32 v[2:3], v[8:9], v[8:9]
	s_andn2_b64 exec, exec, s[4:5]
	s_cbranch_execnz .LBB640_2
; %bb.3:
	s_or_b64 exec, exec, s[4:5]
.LBB640_4:
	s_or_b64 exec, exec, s[8:9]
	v_and_b32_e32 v6, 63, v0
	v_cmp_gt_u32_e32 vcc, 64, v0
	v_lshlrev_b32_e32 v1, 3, v6
	s_and_saveexec_b64 s[0:1], vcc
	s_cbranch_execz .LBB640_6
; %bb.5:
	v_mov_b32_e32 v4, 0
	v_mov_b32_e32 v5, v4
	ds_write_b64 v1, v[4:5]
.LBB640_6:
	s_or_b64 exec, exec, s[0:1]
	v_mbcnt_lo_u32_b32 v4, -1, 0
	v_mbcnt_hi_u32_b32 v10, -1, v4
	v_and_b32_e32 v11, 63, v10
	v_cmp_gt_u32_e64 s[0:1], 32, v11
	v_cndmask_b32_e64 v4, 0, 1, s[0:1]
	v_lshlrev_b32_e32 v4, 5, v4
	v_add_lshl_u32 v5, v4, v10, 2
	ds_bpermute_b32 v4, v5, v2
	ds_bpermute_b32 v5, v5, v3
	v_cmp_gt_u32_e64 s[0:1], 48, v11
	v_cndmask_b32_e64 v7, 0, 1, s[0:1]
	v_cmp_gt_u32_e64 s[0:1], 56, v11
	s_waitcnt lgkmcnt(0)
	v_add_f64 v[2:3], v[2:3], v[4:5]
	v_lshlrev_b32_e32 v4, 4, v7
	v_add_lshl_u32 v5, v4, v10, 2
	ds_bpermute_b32 v4, v5, v2
	ds_bpermute_b32 v5, v5, v3
	s_barrier
	s_waitcnt lgkmcnt(0)
	v_add_f64 v[2:3], v[2:3], v[4:5]
	v_cndmask_b32_e64 v4, 0, 1, s[0:1]
	v_lshlrev_b32_e32 v4, 3, v4
	v_add_lshl_u32 v7, v4, v10, 2
	ds_bpermute_b32 v4, v7, v2
	ds_bpermute_b32 v5, v7, v3
	v_cmp_gt_u32_e64 s[0:1], 60, v11
	s_waitcnt lgkmcnt(0)
	v_add_f64 v[2:3], v[2:3], v[4:5]
	v_cndmask_b32_e64 v4, 0, 1, s[0:1]
	v_lshlrev_b32_e32 v4, 2, v4
	v_add_lshl_u32 v8, v4, v10, 2
	ds_bpermute_b32 v4, v8, v2
	ds_bpermute_b32 v5, v8, v3
	v_cmp_gt_u32_e64 s[0:1], 62, v11
	s_waitcnt lgkmcnt(0)
	v_add_f64 v[2:3], v[2:3], v[4:5]
	v_cndmask_b32_e64 v4, 0, 1, s[0:1]
	v_lshlrev_b32_e32 v4, 1, v4
	v_add_lshl_u32 v9, v4, v10, 2
	ds_bpermute_b32 v4, v9, v2
	ds_bpermute_b32 v5, v9, v3
	v_cmp_ne_u32_e64 s[0:1], 63, v11
	s_waitcnt lgkmcnt(0)
	v_add_f64 v[2:3], v[2:3], v[4:5]
	v_addc_co_u32_e64 v4, s[0:1], 0, v10, s[0:1]
	v_lshlrev_b32_e32 v10, 2, v4
	ds_bpermute_b32 v4, v10, v2
	ds_bpermute_b32 v5, v10, v3
	v_cmp_eq_u32_e64 s[0:1], 0, v6
	s_and_saveexec_b64 s[4:5], s[0:1]
	s_cbranch_execz .LBB640_8
; %bb.7:
	s_waitcnt lgkmcnt(0)
	v_add_f64 v[2:3], v[2:3], v[4:5]
	v_lshrrev_b32_e32 v4, 3, v0
	v_and_b32_e32 v4, 0x78, v4
	ds_write_b64 v4, v[2:3]
.LBB640_8:
	s_or_b64 exec, exec, s[4:5]
	v_cmp_gt_u32_e64 s[0:1], 16, v0
	v_pk_mov_b32 v[2:3], 0, 0
	s_waitcnt lgkmcnt(0)
	s_barrier
	s_and_saveexec_b64 s[4:5], s[0:1]
	s_cbranch_execnz .LBB640_12
; %bb.9:
	s_or_b64 exec, exec, s[4:5]
	s_and_saveexec_b64 s[0:1], vcc
	s_cbranch_execnz .LBB640_13
.LBB640_10:
	s_or_b64 exec, exec, s[0:1]
	v_cmp_eq_u32_e32 vcc, 0, v0
	s_and_saveexec_b64 s[0:1], vcc
	s_cbranch_execnz .LBB640_14
.LBB640_11:
	s_endpgm
.LBB640_12:
	ds_read_b64 v[2:3], v1
	s_or_b64 exec, exec, s[4:5]
	s_and_saveexec_b64 s[0:1], vcc
	s_cbranch_execz .LBB640_10
.LBB640_13:
	s_waitcnt lgkmcnt(0)
	ds_bpermute_b32 v4, v7, v2
	ds_bpermute_b32 v5, v7, v3
	s_waitcnt lgkmcnt(0)
	v_add_f64 v[2:3], v[2:3], v[4:5]
	ds_bpermute_b32 v4, v8, v2
	ds_bpermute_b32 v5, v8, v3
	s_waitcnt lgkmcnt(0)
	v_add_f64 v[2:3], v[2:3], v[4:5]
	;; [unrolled: 4-line block ×4, first 2 shown]
	s_or_b64 exec, exec, s[0:1]
	v_cmp_eq_u32_e32 vcc, 0, v0
	s_and_saveexec_b64 s[0:1], vcc
	s_cbranch_execz .LBB640_11
.LBB640_14:
	s_lshl_b64 s[0:1], s[2:3], 3
	s_add_u32 s0, s6, s0
	s_addc_u32 s1, s7, s1
	v_mov_b32_e32 v0, 0
	s_waitcnt lgkmcnt(0)
	global_store_dwordx2 v0, v[2:3], s[0:1]
	s_endpgm
	.section	.rodata,"a",@progbits
	.p2align	6, 0x0
	.amdhsa_kernel _ZL24rocblas_dot_kernel_magsqIiLb1ELi1024ELi32ELb1EdPKPKddEviT5_lT_liPT6_PT4_
		.amdhsa_group_segment_fixed_size 512
		.amdhsa_private_segment_fixed_size 0
		.amdhsa_kernarg_size 320
		.amdhsa_user_sgpr_count 6
		.amdhsa_user_sgpr_private_segment_buffer 1
		.amdhsa_user_sgpr_dispatch_ptr 0
		.amdhsa_user_sgpr_queue_ptr 0
		.amdhsa_user_sgpr_kernarg_segment_ptr 1
		.amdhsa_user_sgpr_dispatch_id 0
		.amdhsa_user_sgpr_flat_scratch_init 0
		.amdhsa_user_sgpr_kernarg_preload_length 0
		.amdhsa_user_sgpr_kernarg_preload_offset 0
		.amdhsa_user_sgpr_private_segment_size 0
		.amdhsa_uses_dynamic_stack 0
		.amdhsa_system_sgpr_private_segment_wavefront_offset 0
		.amdhsa_system_sgpr_workgroup_id_x 1
		.amdhsa_system_sgpr_workgroup_id_y 0
		.amdhsa_system_sgpr_workgroup_id_z 1
		.amdhsa_system_sgpr_workgroup_info 0
		.amdhsa_system_vgpr_workitem_id 0
		.amdhsa_next_free_vgpr 12
		.amdhsa_next_free_sgpr 20
		.amdhsa_accum_offset 12
		.amdhsa_reserve_vcc 1
		.amdhsa_reserve_flat_scratch 0
		.amdhsa_float_round_mode_32 0
		.amdhsa_float_round_mode_16_64 0
		.amdhsa_float_denorm_mode_32 3
		.amdhsa_float_denorm_mode_16_64 3
		.amdhsa_dx10_clamp 1
		.amdhsa_ieee_mode 1
		.amdhsa_fp16_overflow 0
		.amdhsa_tg_split 0
		.amdhsa_exception_fp_ieee_invalid_op 0
		.amdhsa_exception_fp_denorm_src 0
		.amdhsa_exception_fp_ieee_div_zero 0
		.amdhsa_exception_fp_ieee_overflow 0
		.amdhsa_exception_fp_ieee_underflow 0
		.amdhsa_exception_fp_ieee_inexact 0
		.amdhsa_exception_int_div_zero 0
	.end_amdhsa_kernel
	.section	.text._ZL24rocblas_dot_kernel_magsqIiLb1ELi1024ELi32ELb1EdPKPKddEviT5_lT_liPT6_PT4_,"axG",@progbits,_ZL24rocblas_dot_kernel_magsqIiLb1ELi1024ELi32ELb1EdPKPKddEviT5_lT_liPT6_PT4_,comdat
.Lfunc_end640:
	.size	_ZL24rocblas_dot_kernel_magsqIiLb1ELi1024ELi32ELb1EdPKPKddEviT5_lT_liPT6_PT4_, .Lfunc_end640-_ZL24rocblas_dot_kernel_magsqIiLb1ELi1024ELi32ELb1EdPKPKddEviT5_lT_liPT6_PT4_
                                        ; -- End function
	.section	.AMDGPU.csdata,"",@progbits
; Kernel info:
; codeLenInByte = 944
; NumSgprs: 24
; NumVgprs: 12
; NumAgprs: 0
; TotalNumVgprs: 12
; ScratchSize: 0
; MemoryBound: 0
; FloatMode: 240
; IeeeMode: 1
; LDSByteSize: 512 bytes/workgroup (compile time only)
; SGPRBlocks: 2
; VGPRBlocks: 1
; NumSGPRsForWavesPerEU: 24
; NumVGPRsForWavesPerEU: 12
; AccumOffset: 12
; Occupancy: 8
; WaveLimiterHint : 0
; COMPUTE_PGM_RSRC2:SCRATCH_EN: 0
; COMPUTE_PGM_RSRC2:USER_SGPR: 6
; COMPUTE_PGM_RSRC2:TRAP_HANDLER: 0
; COMPUTE_PGM_RSRC2:TGID_X_EN: 1
; COMPUTE_PGM_RSRC2:TGID_Y_EN: 0
; COMPUTE_PGM_RSRC2:TGID_Z_EN: 1
; COMPUTE_PGM_RSRC2:TIDIG_COMP_CNT: 0
; COMPUTE_PGM_RSRC3_GFX90A:ACCUM_OFFSET: 2
; COMPUTE_PGM_RSRC3_GFX90A:TG_SPLIT: 0
	.section	.text._ZL23rocblas_dot_kernel_inc1ILb0ELi512ELi2ELb1EdPKPKddEviT4_llS4_lliPT5_PT3_,"axG",@progbits,_ZL23rocblas_dot_kernel_inc1ILb0ELi512ELi2ELb1EdPKPKddEviT4_llS4_lliPT5_PT3_,comdat
	.globl	_ZL23rocblas_dot_kernel_inc1ILb0ELi512ELi2ELb1EdPKPKddEviT4_llS4_lliPT5_PT3_ ; -- Begin function _ZL23rocblas_dot_kernel_inc1ILb0ELi512ELi2ELb1EdPKPKddEviT4_llS4_lliPT5_PT3_
	.p2align	8
	.type	_ZL23rocblas_dot_kernel_inc1ILb0ELi512ELi2ELb1EdPKPKddEviT4_llS4_lliPT5_PT3_,@function
_ZL23rocblas_dot_kernel_inc1ILb0ELi512ELi2ELb1EdPKPKddEviT4_llS4_lliPT5_PT3_: ; @_ZL23rocblas_dot_kernel_inc1ILb0ELi512ELi2ELb1EdPKPKddEviT4_llS4_lliPT5_PT3_
; %bb.0:
	s_mov_b32 s2, s7
	s_load_dword s7, s[4:5], 0x0
	s_load_dword s10, s[4:5], 0x50
	v_lshl_or_b32 v4, s6, 9, v0
	s_mov_b32 s3, 0
	v_pk_mov_b32 v[2:3], 0, 0
	s_waitcnt lgkmcnt(0)
	v_cmp_gt_i32_e32 vcc, s7, v4
	s_and_saveexec_b64 s[0:1], vcc
	s_cbranch_execz .LBB641_4
; %bb.1:
	s_load_dwordx4 s[12:15], s[4:5], 0x8
	s_load_dwordx4 s[16:19], s[4:5], 0x20
	s_lshl_b64 s[8:9], s[2:3], 3
	v_ashrrev_i32_e32 v5, 31, v4
	v_lshlrev_b64 v[2:3], 3, v[4:5]
	s_waitcnt lgkmcnt(0)
	s_add_u32 s12, s12, s8
	s_addc_u32 s13, s13, s9
	s_load_dwordx2 s[12:13], s[12:13], 0x0
	s_lshl_b64 s[14:15], s[14:15], 3
	s_waitcnt lgkmcnt(0)
	s_add_u32 s11, s12, s14
	s_addc_u32 s12, s13, s15
	s_add_u32 s8, s16, s8
	s_addc_u32 s9, s17, s9
	s_load_dwordx2 s[8:9], s[8:9], 0x0
	s_lshl_b64 s[14:15], s[18:19], 3
	v_mov_b32_e32 v1, s12
	s_waitcnt lgkmcnt(0)
	s_add_u32 s13, s8, s14
	s_addc_u32 s14, s9, s15
	v_mov_b32_e32 v5, s14
	v_add_co_u32_e32 v4, vcc, s13, v2
	v_addc_co_u32_e32 v5, vcc, v5, v3, vcc
	v_add_co_u32_e32 v2, vcc, s11, v2
	v_addc_co_u32_e32 v3, vcc, v1, v3, vcc
	global_load_dwordx2 v[6:7], v[2:3], off
	global_load_dwordx2 v[8:9], v[4:5], off
	s_add_i32 s8, s6, s10
	v_lshl_or_b32 v4, s8, 9, v0
	v_cmp_gt_i32_e32 vcc, s7, v4
	s_waitcnt vmcnt(0)
	v_fma_f64 v[2:3], v[8:9], v[6:7], 0
	s_and_saveexec_b64 s[8:9], vcc
	s_cbranch_execz .LBB641_3
; %bb.2:
	v_ashrrev_i32_e32 v5, 31, v4
	v_lshlrev_b64 v[4:5], 3, v[4:5]
	v_mov_b32_e32 v1, s14
	v_add_co_u32_e32 v6, vcc, s13, v4
	v_addc_co_u32_e32 v7, vcc, v1, v5, vcc
	v_mov_b32_e32 v1, s12
	v_add_co_u32_e32 v4, vcc, s11, v4
	v_addc_co_u32_e32 v5, vcc, v1, v5, vcc
	global_load_dwordx2 v[6:7], v[6:7], off
	s_nop 0
	global_load_dwordx2 v[4:5], v[4:5], off
	s_waitcnt vmcnt(0)
	v_fmac_f64_e32 v[2:3], v[6:7], v[4:5]
.LBB641_3:
	s_or_b64 exec, exec, s[8:9]
.LBB641_4:
	s_or_b64 exec, exec, s[0:1]
	v_and_b32_e32 v6, 63, v0
	v_cmp_gt_u32_e32 vcc, 64, v0
	v_lshlrev_b32_e32 v1, 3, v6
	s_and_saveexec_b64 s[0:1], vcc
	s_cbranch_execz .LBB641_6
; %bb.5:
	v_mov_b32_e32 v4, 0
	v_mov_b32_e32 v5, v4
	ds_write_b64 v1, v[4:5]
.LBB641_6:
	s_or_b64 exec, exec, s[0:1]
	v_mbcnt_lo_u32_b32 v4, -1, 0
	v_mbcnt_hi_u32_b32 v9, -1, v4
	v_and_b32_e32 v10, 63, v9
	v_cmp_gt_u32_e64 s[0:1], 32, v10
	v_cndmask_b32_e64 v4, 0, 1, s[0:1]
	v_lshlrev_b32_e32 v4, 5, v4
	v_add_lshl_u32 v5, v4, v9, 2
	ds_bpermute_b32 v4, v5, v2
	ds_bpermute_b32 v5, v5, v3
	v_cmp_gt_u32_e64 s[0:1], 48, v10
	v_cndmask_b32_e64 v7, 0, 1, s[0:1]
	v_cmp_gt_u32_e64 s[0:1], 56, v10
	s_waitcnt lgkmcnt(0)
	v_add_f64 v[2:3], v[2:3], v[4:5]
	v_lshlrev_b32_e32 v4, 4, v7
	v_add_lshl_u32 v5, v4, v9, 2
	ds_bpermute_b32 v4, v5, v2
	ds_bpermute_b32 v5, v5, v3
	s_barrier
	s_waitcnt lgkmcnt(0)
	v_add_f64 v[2:3], v[2:3], v[4:5]
	v_cndmask_b32_e64 v4, 0, 1, s[0:1]
	v_lshlrev_b32_e32 v4, 3, v4
	v_add_lshl_u32 v5, v4, v9, 2
	ds_bpermute_b32 v4, v5, v2
	ds_bpermute_b32 v5, v5, v3
	v_cmp_gt_u32_e64 s[0:1], 60, v10
	s_waitcnt lgkmcnt(0)
	v_add_f64 v[2:3], v[2:3], v[4:5]
	v_cndmask_b32_e64 v4, 0, 1, s[0:1]
	v_lshlrev_b32_e32 v4, 2, v4
	v_add_lshl_u32 v7, v4, v9, 2
	ds_bpermute_b32 v4, v7, v2
	ds_bpermute_b32 v5, v7, v3
	v_cmp_gt_u32_e64 s[0:1], 62, v10
	s_waitcnt lgkmcnt(0)
	v_add_f64 v[2:3], v[2:3], v[4:5]
	v_cndmask_b32_e64 v4, 0, 1, s[0:1]
	v_lshlrev_b32_e32 v4, 1, v4
	v_add_lshl_u32 v8, v4, v9, 2
	ds_bpermute_b32 v4, v8, v2
	ds_bpermute_b32 v5, v8, v3
	v_cmp_ne_u32_e64 s[0:1], 63, v10
	s_waitcnt lgkmcnt(0)
	v_add_f64 v[2:3], v[2:3], v[4:5]
	v_addc_co_u32_e64 v4, s[0:1], 0, v9, s[0:1]
	v_lshlrev_b32_e32 v9, 2, v4
	ds_bpermute_b32 v4, v9, v2
	ds_bpermute_b32 v5, v9, v3
	v_cmp_eq_u32_e64 s[0:1], 0, v6
	s_and_saveexec_b64 s[8:9], s[0:1]
	s_cbranch_execz .LBB641_8
; %bb.7:
	s_waitcnt lgkmcnt(0)
	v_add_f64 v[2:3], v[2:3], v[4:5]
	v_lshrrev_b32_e32 v4, 3, v0
	v_and_b32_e32 v4, 56, v4
	ds_write_b64 v4, v[2:3]
.LBB641_8:
	s_or_b64 exec, exec, s[8:9]
	v_cmp_gt_u32_e64 s[0:1], 8, v0
	v_pk_mov_b32 v[2:3], 0, 0
	s_waitcnt lgkmcnt(0)
	s_barrier
	s_and_saveexec_b64 s[8:9], s[0:1]
	s_cbranch_execnz .LBB641_12
; %bb.9:
	s_or_b64 exec, exec, s[8:9]
	s_and_saveexec_b64 s[0:1], vcc
	s_cbranch_execnz .LBB641_13
.LBB641_10:
	s_or_b64 exec, exec, s[0:1]
	v_cmp_eq_u32_e32 vcc, 0, v0
	s_and_saveexec_b64 s[0:1], vcc
	s_cbranch_execnz .LBB641_14
.LBB641_11:
	s_endpgm
.LBB641_12:
	ds_read_b64 v[2:3], v1
	s_or_b64 exec, exec, s[8:9]
	s_and_saveexec_b64 s[0:1], vcc
	s_cbranch_execz .LBB641_10
.LBB641_13:
	s_waitcnt lgkmcnt(0)
	ds_bpermute_b32 v4, v7, v2
	ds_bpermute_b32 v5, v7, v3
	s_waitcnt lgkmcnt(0)
	v_add_f64 v[2:3], v[2:3], v[4:5]
	ds_bpermute_b32 v4, v8, v2
	ds_bpermute_b32 v5, v8, v3
	s_waitcnt lgkmcnt(0)
	v_add_f64 v[2:3], v[2:3], v[4:5]
	;; [unrolled: 4-line block ×3, first 2 shown]
	s_or_b64 exec, exec, s[0:1]
	v_cmp_eq_u32_e32 vcc, 0, v0
	s_and_saveexec_b64 s[0:1], vcc
	s_cbranch_execz .LBB641_11
.LBB641_14:
	s_cmp_lg_u32 s10, 1
	s_cbranch_scc0 .LBB641_16
; %bb.15:
	s_load_dwordx2 s[0:1], s[4:5], 0x40
	s_mul_hi_u32 s9, s10, s2
	s_mul_i32 s8, s10, s2
	s_lshl_b64 s[8:9], s[8:9], 3
	s_mov_b32 s7, 0
	s_waitcnt lgkmcnt(0)
	s_add_u32 s8, s0, s8
	s_addc_u32 s9, s1, s9
	s_lshl_b64 s[0:1], s[6:7], 3
	s_add_u32 s0, s8, s0
	s_addc_u32 s1, s9, s1
	s_cbranch_execz .LBB641_17
	s_branch .LBB641_18
.LBB641_16:
                                        ; implicit-def: $sgpr0_sgpr1
.LBB641_17:
	s_load_dwordx2 s[0:1], s[4:5], 0x48
	s_lshl_b64 s[2:3], s[2:3], 3
	s_waitcnt lgkmcnt(0)
	s_add_u32 s0, s0, s2
	s_addc_u32 s1, s1, s3
.LBB641_18:
	v_mov_b32_e32 v0, 0
	s_waitcnt lgkmcnt(0)
	global_store_dwordx2 v0, v[2:3], s[0:1]
	s_endpgm
	.section	.rodata,"a",@progbits
	.p2align	6, 0x0
	.amdhsa_kernel _ZL23rocblas_dot_kernel_inc1ILb0ELi512ELi2ELb1EdPKPKddEviT4_llS4_lliPT5_PT3_
		.amdhsa_group_segment_fixed_size 512
		.amdhsa_private_segment_fixed_size 0
		.amdhsa_kernarg_size 336
		.amdhsa_user_sgpr_count 6
		.amdhsa_user_sgpr_private_segment_buffer 1
		.amdhsa_user_sgpr_dispatch_ptr 0
		.amdhsa_user_sgpr_queue_ptr 0
		.amdhsa_user_sgpr_kernarg_segment_ptr 1
		.amdhsa_user_sgpr_dispatch_id 0
		.amdhsa_user_sgpr_flat_scratch_init 0
		.amdhsa_user_sgpr_kernarg_preload_length 0
		.amdhsa_user_sgpr_kernarg_preload_offset 0
		.amdhsa_user_sgpr_private_segment_size 0
		.amdhsa_uses_dynamic_stack 0
		.amdhsa_system_sgpr_private_segment_wavefront_offset 0
		.amdhsa_system_sgpr_workgroup_id_x 1
		.amdhsa_system_sgpr_workgroup_id_y 0
		.amdhsa_system_sgpr_workgroup_id_z 1
		.amdhsa_system_sgpr_workgroup_info 0
		.amdhsa_system_vgpr_workitem_id 0
		.amdhsa_next_free_vgpr 11
		.amdhsa_next_free_sgpr 20
		.amdhsa_accum_offset 12
		.amdhsa_reserve_vcc 1
		.amdhsa_reserve_flat_scratch 0
		.amdhsa_float_round_mode_32 0
		.amdhsa_float_round_mode_16_64 0
		.amdhsa_float_denorm_mode_32 3
		.amdhsa_float_denorm_mode_16_64 3
		.amdhsa_dx10_clamp 1
		.amdhsa_ieee_mode 1
		.amdhsa_fp16_overflow 0
		.amdhsa_tg_split 0
		.amdhsa_exception_fp_ieee_invalid_op 0
		.amdhsa_exception_fp_denorm_src 0
		.amdhsa_exception_fp_ieee_div_zero 0
		.amdhsa_exception_fp_ieee_overflow 0
		.amdhsa_exception_fp_ieee_underflow 0
		.amdhsa_exception_fp_ieee_inexact 0
		.amdhsa_exception_int_div_zero 0
	.end_amdhsa_kernel
	.section	.text._ZL23rocblas_dot_kernel_inc1ILb0ELi512ELi2ELb1EdPKPKddEviT4_llS4_lliPT5_PT3_,"axG",@progbits,_ZL23rocblas_dot_kernel_inc1ILb0ELi512ELi2ELb1EdPKPKddEviT4_llS4_lliPT5_PT3_,comdat
.Lfunc_end641:
	.size	_ZL23rocblas_dot_kernel_inc1ILb0ELi512ELi2ELb1EdPKPKddEviT4_llS4_lliPT5_PT3_, .Lfunc_end641-_ZL23rocblas_dot_kernel_inc1ILb0ELi512ELi2ELb1EdPKPKddEviT4_llS4_lliPT5_PT3_
                                        ; -- End function
	.section	.AMDGPU.csdata,"",@progbits
; Kernel info:
; codeLenInByte = 1028
; NumSgprs: 24
; NumVgprs: 11
; NumAgprs: 0
; TotalNumVgprs: 11
; ScratchSize: 0
; MemoryBound: 0
; FloatMode: 240
; IeeeMode: 1
; LDSByteSize: 512 bytes/workgroup (compile time only)
; SGPRBlocks: 2
; VGPRBlocks: 1
; NumSGPRsForWavesPerEU: 24
; NumVGPRsForWavesPerEU: 11
; AccumOffset: 12
; Occupancy: 8
; WaveLimiterHint : 1
; COMPUTE_PGM_RSRC2:SCRATCH_EN: 0
; COMPUTE_PGM_RSRC2:USER_SGPR: 6
; COMPUTE_PGM_RSRC2:TRAP_HANDLER: 0
; COMPUTE_PGM_RSRC2:TGID_X_EN: 1
; COMPUTE_PGM_RSRC2:TGID_Y_EN: 0
; COMPUTE_PGM_RSRC2:TGID_Z_EN: 1
; COMPUTE_PGM_RSRC2:TIDIG_COMP_CNT: 0
; COMPUTE_PGM_RSRC3_GFX90A:ACCUM_OFFSET: 2
; COMPUTE_PGM_RSRC3_GFX90A:TG_SPLIT: 0
	.section	.text._ZL18rocblas_dot_kernelIiLb0ELi512ELi2ELb1EdPKPKddEviT5_lT_lS4_lS5_liPT6_PT4_,"axG",@progbits,_ZL18rocblas_dot_kernelIiLb0ELi512ELi2ELb1EdPKPKddEviT5_lT_lS4_lS5_liPT6_PT4_,comdat
	.globl	_ZL18rocblas_dot_kernelIiLb0ELi512ELi2ELb1EdPKPKddEviT5_lT_lS4_lS5_liPT6_PT4_ ; -- Begin function _ZL18rocblas_dot_kernelIiLb0ELi512ELi2ELb1EdPKPKddEviT5_lT_lS4_lS5_liPT6_PT4_
	.p2align	8
	.type	_ZL18rocblas_dot_kernelIiLb0ELi512ELi2ELb1EdPKPKddEviT5_lT_lS4_lS5_liPT6_PT4_,@function
_ZL18rocblas_dot_kernelIiLb0ELi512ELi2ELb1EdPKPKddEviT5_lT_lS4_lS5_liPT6_PT4_: ; @_ZL18rocblas_dot_kernelIiLb0ELi512ELi2ELb1EdPKPKddEviT5_lT_lS4_lS5_liPT6_PT4_
; %bb.0:
	s_mov_b32 s2, s7
	s_load_dword s7, s[4:5], 0x0
	s_load_dword s10, s[4:5], 0x60
	v_lshl_or_b32 v1, s6, 9, v0
	s_mov_b32 s3, 0
	v_pk_mov_b32 v[2:3], 0, 0
	s_waitcnt lgkmcnt(0)
	v_cmp_gt_i32_e32 vcc, s7, v1
	s_and_saveexec_b64 s[0:1], vcc
	s_cbranch_execz .LBB642_4
; %bb.1:
	s_load_dwordx4 s[16:19], s[4:5], 0x8
	s_load_dword s11, s[4:5], 0x18
	s_lshl_b64 s[8:9], s[2:3], 3
	s_waitcnt lgkmcnt(0)
	s_add_u32 s12, s16, s8
	s_addc_u32 s13, s17, s9
	s_load_dwordx2 s[16:17], s[12:13], 0x0
	s_load_dwordx4 s[20:23], s[4:5], 0x28
	s_load_dword s14, s[4:5], 0x38
	s_lshl_b64 s[12:13], s[18:19], 3
	s_waitcnt lgkmcnt(0)
	s_add_u32 s12, s16, s12
	s_addc_u32 s13, s17, s13
	s_add_u32 s8, s20, s8
	s_addc_u32 s9, s21, s9
	s_load_dwordx2 s[8:9], s[8:9], 0x0
	v_mad_i64_i32 v[2:3], s[16:17], v1, s14, 0
	s_lshl_b64 s[16:17], s[22:23], 3
	v_lshlrev_b64 v[2:3], 3, v[2:3]
	s_waitcnt lgkmcnt(0)
	s_add_u32 s15, s8, s16
	s_addc_u32 s16, s9, s17
	v_mov_b32_e32 v4, s16
	v_add_co_u32_e32 v2, vcc, s15, v2
	v_addc_co_u32_e32 v3, vcc, v4, v3, vcc
	v_mad_i64_i32 v[4:5], s[8:9], v1, s11, 0
	v_lshlrev_b64 v[4:5], 3, v[4:5]
	v_mov_b32_e32 v1, s13
	v_add_co_u32_e32 v4, vcc, s12, v4
	v_addc_co_u32_e32 v5, vcc, v1, v5, vcc
	global_load_dwordx2 v[6:7], v[4:5], off
	global_load_dwordx2 v[8:9], v[2:3], off
	s_add_i32 s8, s6, s10
	v_lshl_or_b32 v1, s8, 9, v0
	v_cmp_gt_i32_e32 vcc, s7, v1
	s_waitcnt vmcnt(0)
	v_fma_f64 v[2:3], v[8:9], v[6:7], 0
	s_and_saveexec_b64 s[8:9], vcc
	s_cbranch_execz .LBB642_3
; %bb.2:
	v_mad_i64_i32 v[4:5], s[18:19], v1, s14, 0
	v_lshlrev_b64 v[4:5], 3, v[4:5]
	v_mov_b32_e32 v6, s16
	v_add_co_u32_e32 v4, vcc, s15, v4
	v_addc_co_u32_e32 v5, vcc, v6, v5, vcc
	v_mad_i64_i32 v[6:7], s[14:15], v1, s11, 0
	v_lshlrev_b64 v[6:7], 3, v[6:7]
	v_mov_b32_e32 v1, s13
	v_add_co_u32_e32 v6, vcc, s12, v6
	v_addc_co_u32_e32 v7, vcc, v1, v7, vcc
	global_load_dwordx2 v[4:5], v[4:5], off
	s_nop 0
	global_load_dwordx2 v[6:7], v[6:7], off
	s_waitcnt vmcnt(0)
	v_fmac_f64_e32 v[2:3], v[4:5], v[6:7]
.LBB642_3:
	s_or_b64 exec, exec, s[8:9]
.LBB642_4:
	s_or_b64 exec, exec, s[0:1]
	v_and_b32_e32 v6, 63, v0
	v_cmp_gt_u32_e32 vcc, 64, v0
	v_lshlrev_b32_e32 v1, 3, v6
	s_and_saveexec_b64 s[0:1], vcc
	s_cbranch_execz .LBB642_6
; %bb.5:
	v_mov_b32_e32 v4, 0
	v_mov_b32_e32 v5, v4
	ds_write_b64 v1, v[4:5]
.LBB642_6:
	s_or_b64 exec, exec, s[0:1]
	v_mbcnt_lo_u32_b32 v4, -1, 0
	v_mbcnt_hi_u32_b32 v9, -1, v4
	v_and_b32_e32 v10, 63, v9
	v_cmp_gt_u32_e64 s[0:1], 32, v10
	v_cndmask_b32_e64 v4, 0, 1, s[0:1]
	v_lshlrev_b32_e32 v4, 5, v4
	v_add_lshl_u32 v5, v4, v9, 2
	ds_bpermute_b32 v4, v5, v2
	ds_bpermute_b32 v5, v5, v3
	v_cmp_gt_u32_e64 s[0:1], 48, v10
	v_cndmask_b32_e64 v7, 0, 1, s[0:1]
	v_cmp_gt_u32_e64 s[0:1], 56, v10
	s_waitcnt lgkmcnt(0)
	v_add_f64 v[2:3], v[2:3], v[4:5]
	v_lshlrev_b32_e32 v4, 4, v7
	v_add_lshl_u32 v5, v4, v9, 2
	ds_bpermute_b32 v4, v5, v2
	ds_bpermute_b32 v5, v5, v3
	s_barrier
	s_waitcnt lgkmcnt(0)
	v_add_f64 v[2:3], v[2:3], v[4:5]
	v_cndmask_b32_e64 v4, 0, 1, s[0:1]
	v_lshlrev_b32_e32 v4, 3, v4
	v_add_lshl_u32 v5, v4, v9, 2
	ds_bpermute_b32 v4, v5, v2
	ds_bpermute_b32 v5, v5, v3
	v_cmp_gt_u32_e64 s[0:1], 60, v10
	s_waitcnt lgkmcnt(0)
	v_add_f64 v[2:3], v[2:3], v[4:5]
	v_cndmask_b32_e64 v4, 0, 1, s[0:1]
	v_lshlrev_b32_e32 v4, 2, v4
	v_add_lshl_u32 v7, v4, v9, 2
	ds_bpermute_b32 v4, v7, v2
	ds_bpermute_b32 v5, v7, v3
	v_cmp_gt_u32_e64 s[0:1], 62, v10
	s_waitcnt lgkmcnt(0)
	v_add_f64 v[2:3], v[2:3], v[4:5]
	v_cndmask_b32_e64 v4, 0, 1, s[0:1]
	v_lshlrev_b32_e32 v4, 1, v4
	v_add_lshl_u32 v8, v4, v9, 2
	ds_bpermute_b32 v4, v8, v2
	ds_bpermute_b32 v5, v8, v3
	v_cmp_ne_u32_e64 s[0:1], 63, v10
	s_waitcnt lgkmcnt(0)
	v_add_f64 v[2:3], v[2:3], v[4:5]
	v_addc_co_u32_e64 v4, s[0:1], 0, v9, s[0:1]
	v_lshlrev_b32_e32 v9, 2, v4
	ds_bpermute_b32 v4, v9, v2
	ds_bpermute_b32 v5, v9, v3
	v_cmp_eq_u32_e64 s[0:1], 0, v6
	s_and_saveexec_b64 s[8:9], s[0:1]
	s_cbranch_execz .LBB642_8
; %bb.7:
	s_waitcnt lgkmcnt(0)
	v_add_f64 v[2:3], v[2:3], v[4:5]
	v_lshrrev_b32_e32 v4, 3, v0
	v_and_b32_e32 v4, 56, v4
	ds_write_b64 v4, v[2:3]
.LBB642_8:
	s_or_b64 exec, exec, s[8:9]
	v_cmp_gt_u32_e64 s[0:1], 8, v0
	v_pk_mov_b32 v[2:3], 0, 0
	s_waitcnt lgkmcnt(0)
	s_barrier
	s_and_saveexec_b64 s[8:9], s[0:1]
	s_cbranch_execnz .LBB642_12
; %bb.9:
	s_or_b64 exec, exec, s[8:9]
	s_and_saveexec_b64 s[0:1], vcc
	s_cbranch_execnz .LBB642_13
.LBB642_10:
	s_or_b64 exec, exec, s[0:1]
	v_cmp_eq_u32_e32 vcc, 0, v0
	s_and_saveexec_b64 s[0:1], vcc
	s_cbranch_execnz .LBB642_14
.LBB642_11:
	s_endpgm
.LBB642_12:
	ds_read_b64 v[2:3], v1
	s_or_b64 exec, exec, s[8:9]
	s_and_saveexec_b64 s[0:1], vcc
	s_cbranch_execz .LBB642_10
.LBB642_13:
	s_waitcnt lgkmcnt(0)
	ds_bpermute_b32 v4, v7, v2
	ds_bpermute_b32 v5, v7, v3
	s_waitcnt lgkmcnt(0)
	v_add_f64 v[2:3], v[2:3], v[4:5]
	ds_bpermute_b32 v4, v8, v2
	ds_bpermute_b32 v5, v8, v3
	s_waitcnt lgkmcnt(0)
	v_add_f64 v[2:3], v[2:3], v[4:5]
	;; [unrolled: 4-line block ×3, first 2 shown]
	s_or_b64 exec, exec, s[0:1]
	v_cmp_eq_u32_e32 vcc, 0, v0
	s_and_saveexec_b64 s[0:1], vcc
	s_cbranch_execz .LBB642_11
.LBB642_14:
	s_cmp_lg_u32 s10, 1
	s_cbranch_scc0 .LBB642_16
; %bb.15:
	s_load_dwordx2 s[0:1], s[4:5], 0x50
	s_mul_hi_u32 s9, s10, s2
	s_mul_i32 s8, s10, s2
	s_lshl_b64 s[8:9], s[8:9], 3
	s_mov_b32 s7, 0
	s_waitcnt lgkmcnt(0)
	s_add_u32 s8, s0, s8
	s_addc_u32 s9, s1, s9
	s_lshl_b64 s[0:1], s[6:7], 3
	s_add_u32 s0, s8, s0
	s_addc_u32 s1, s9, s1
	s_cbranch_execz .LBB642_17
	s_branch .LBB642_18
.LBB642_16:
                                        ; implicit-def: $sgpr0_sgpr1
.LBB642_17:
	s_load_dwordx2 s[0:1], s[4:5], 0x58
	s_lshl_b64 s[2:3], s[2:3], 3
	s_waitcnt lgkmcnt(0)
	s_add_u32 s0, s0, s2
	s_addc_u32 s1, s1, s3
.LBB642_18:
	v_mov_b32_e32 v0, 0
	s_waitcnt lgkmcnt(0)
	global_store_dwordx2 v0, v[2:3], s[0:1]
	s_endpgm
	.section	.rodata,"a",@progbits
	.p2align	6, 0x0
	.amdhsa_kernel _ZL18rocblas_dot_kernelIiLb0ELi512ELi2ELb1EdPKPKddEviT5_lT_lS4_lS5_liPT6_PT4_
		.amdhsa_group_segment_fixed_size 512
		.amdhsa_private_segment_fixed_size 0
		.amdhsa_kernarg_size 352
		.amdhsa_user_sgpr_count 6
		.amdhsa_user_sgpr_private_segment_buffer 1
		.amdhsa_user_sgpr_dispatch_ptr 0
		.amdhsa_user_sgpr_queue_ptr 0
		.amdhsa_user_sgpr_kernarg_segment_ptr 1
		.amdhsa_user_sgpr_dispatch_id 0
		.amdhsa_user_sgpr_flat_scratch_init 0
		.amdhsa_user_sgpr_kernarg_preload_length 0
		.amdhsa_user_sgpr_kernarg_preload_offset 0
		.amdhsa_user_sgpr_private_segment_size 0
		.amdhsa_uses_dynamic_stack 0
		.amdhsa_system_sgpr_private_segment_wavefront_offset 0
		.amdhsa_system_sgpr_workgroup_id_x 1
		.amdhsa_system_sgpr_workgroup_id_y 0
		.amdhsa_system_sgpr_workgroup_id_z 1
		.amdhsa_system_sgpr_workgroup_info 0
		.amdhsa_system_vgpr_workitem_id 0
		.amdhsa_next_free_vgpr 11
		.amdhsa_next_free_sgpr 24
		.amdhsa_accum_offset 12
		.amdhsa_reserve_vcc 1
		.amdhsa_reserve_flat_scratch 0
		.amdhsa_float_round_mode_32 0
		.amdhsa_float_round_mode_16_64 0
		.amdhsa_float_denorm_mode_32 3
		.amdhsa_float_denorm_mode_16_64 3
		.amdhsa_dx10_clamp 1
		.amdhsa_ieee_mode 1
		.amdhsa_fp16_overflow 0
		.amdhsa_tg_split 0
		.amdhsa_exception_fp_ieee_invalid_op 0
		.amdhsa_exception_fp_denorm_src 0
		.amdhsa_exception_fp_ieee_div_zero 0
		.amdhsa_exception_fp_ieee_overflow 0
		.amdhsa_exception_fp_ieee_underflow 0
		.amdhsa_exception_fp_ieee_inexact 0
		.amdhsa_exception_int_div_zero 0
	.end_amdhsa_kernel
	.section	.text._ZL18rocblas_dot_kernelIiLb0ELi512ELi2ELb1EdPKPKddEviT5_lT_lS4_lS5_liPT6_PT4_,"axG",@progbits,_ZL18rocblas_dot_kernelIiLb0ELi512ELi2ELb1EdPKPKddEviT5_lT_lS4_lS5_liPT6_PT4_,comdat
.Lfunc_end642:
	.size	_ZL18rocblas_dot_kernelIiLb0ELi512ELi2ELb1EdPKPKddEviT5_lT_lS4_lS5_liPT6_PT4_, .Lfunc_end642-_ZL18rocblas_dot_kernelIiLb0ELi512ELi2ELb1EdPKPKddEviT5_lT_lS4_lS5_liPT6_PT4_
                                        ; -- End function
	.section	.AMDGPU.csdata,"",@progbits
; Kernel info:
; codeLenInByte = 1084
; NumSgprs: 28
; NumVgprs: 11
; NumAgprs: 0
; TotalNumVgprs: 11
; ScratchSize: 0
; MemoryBound: 0
; FloatMode: 240
; IeeeMode: 1
; LDSByteSize: 512 bytes/workgroup (compile time only)
; SGPRBlocks: 3
; VGPRBlocks: 1
; NumSGPRsForWavesPerEU: 28
; NumVGPRsForWavesPerEU: 11
; AccumOffset: 12
; Occupancy: 8
; WaveLimiterHint : 1
; COMPUTE_PGM_RSRC2:SCRATCH_EN: 0
; COMPUTE_PGM_RSRC2:USER_SGPR: 6
; COMPUTE_PGM_RSRC2:TRAP_HANDLER: 0
; COMPUTE_PGM_RSRC2:TGID_X_EN: 1
; COMPUTE_PGM_RSRC2:TGID_Y_EN: 0
; COMPUTE_PGM_RSRC2:TGID_Z_EN: 1
; COMPUTE_PGM_RSRC2:TIDIG_COMP_CNT: 0
; COMPUTE_PGM_RSRC3_GFX90A:ACCUM_OFFSET: 2
; COMPUTE_PGM_RSRC3_GFX90A:TG_SPLIT: 0
	.section	.text._ZL24rocblas_dot_kernel_magsqIiLb0ELi512ELi2ELb1EdPKPKddEviT5_lT_liPT6_PT4_,"axG",@progbits,_ZL24rocblas_dot_kernel_magsqIiLb0ELi512ELi2ELb1EdPKPKddEviT5_lT_liPT6_PT4_,comdat
	.globl	_ZL24rocblas_dot_kernel_magsqIiLb0ELi512ELi2ELb1EdPKPKddEviT5_lT_liPT6_PT4_ ; -- Begin function _ZL24rocblas_dot_kernel_magsqIiLb0ELi512ELi2ELb1EdPKPKddEviT5_lT_liPT6_PT4_
	.p2align	8
	.type	_ZL24rocblas_dot_kernel_magsqIiLb0ELi512ELi2ELb1EdPKPKddEviT5_lT_liPT6_PT4_,@function
_ZL24rocblas_dot_kernel_magsqIiLb0ELi512ELi2ELb1EdPKPKddEviT5_lT_liPT6_PT4_: ; @_ZL24rocblas_dot_kernel_magsqIiLb0ELi512ELi2ELb1EdPKPKddEviT5_lT_liPT6_PT4_
; %bb.0:
	s_mov_b32 s2, s7
	s_load_dword s7, s[4:5], 0x0
	s_load_dword s10, s[4:5], 0x40
	v_lshl_or_b32 v1, s6, 9, v0
	s_mov_b32 s3, 0
	v_pk_mov_b32 v[2:3], 0, 0
	s_waitcnt lgkmcnt(0)
	v_cmp_gt_i32_e32 vcc, s7, v1
	s_and_saveexec_b64 s[0:1], vcc
	s_cbranch_execz .LBB643_4
; %bb.1:
	s_load_dwordx4 s[12:15], s[4:5], 0x8
	s_load_dword s11, s[4:5], 0x18
	s_lshl_b64 s[8:9], s[2:3], 3
	s_waitcnt lgkmcnt(0)
	s_add_u32 s8, s12, s8
	s_addc_u32 s9, s13, s9
	s_load_dwordx2 s[8:9], s[8:9], 0x0
	v_mad_i64_i32 v[2:3], s[12:13], v1, s11, 0
	s_lshl_b64 s[12:13], s[14:15], 3
	v_lshlrev_b64 v[2:3], 3, v[2:3]
	s_waitcnt lgkmcnt(0)
	s_add_u32 s12, s8, s12
	s_addc_u32 s13, s9, s13
	v_mov_b32_e32 v1, s13
	v_add_co_u32_e32 v2, vcc, s12, v2
	v_addc_co_u32_e32 v3, vcc, v1, v3, vcc
	global_load_dwordx2 v[2:3], v[2:3], off
	s_add_i32 s8, s6, s10
	v_lshl_or_b32 v1, s8, 9, v0
	v_cmp_gt_i32_e32 vcc, s7, v1
	s_waitcnt vmcnt(0)
	v_mul_f64 v[2:3], v[2:3], v[2:3]
	s_and_saveexec_b64 s[8:9], vcc
	s_cbranch_execz .LBB643_3
; %bb.2:
	v_mad_i64_i32 v[4:5], s[14:15], v1, s11, 0
	v_lshlrev_b64 v[4:5], 3, v[4:5]
	v_mov_b32_e32 v1, s13
	v_add_co_u32_e32 v4, vcc, s12, v4
	v_addc_co_u32_e32 v5, vcc, v1, v5, vcc
	global_load_dwordx2 v[4:5], v[4:5], off
	s_waitcnt vmcnt(0)
	v_fmac_f64_e32 v[2:3], v[4:5], v[4:5]
.LBB643_3:
	s_or_b64 exec, exec, s[8:9]
.LBB643_4:
	s_or_b64 exec, exec, s[0:1]
	v_and_b32_e32 v6, 63, v0
	v_cmp_gt_u32_e32 vcc, 64, v0
	v_lshlrev_b32_e32 v1, 3, v6
	s_and_saveexec_b64 s[0:1], vcc
	s_cbranch_execz .LBB643_6
; %bb.5:
	v_mov_b32_e32 v4, 0
	v_mov_b32_e32 v5, v4
	ds_write_b64 v1, v[4:5]
.LBB643_6:
	s_or_b64 exec, exec, s[0:1]
	v_mbcnt_lo_u32_b32 v4, -1, 0
	v_mbcnt_hi_u32_b32 v9, -1, v4
	v_and_b32_e32 v10, 63, v9
	v_cmp_gt_u32_e64 s[0:1], 32, v10
	v_cndmask_b32_e64 v4, 0, 1, s[0:1]
	v_lshlrev_b32_e32 v4, 5, v4
	v_add_lshl_u32 v5, v4, v9, 2
	ds_bpermute_b32 v4, v5, v2
	ds_bpermute_b32 v5, v5, v3
	v_cmp_gt_u32_e64 s[0:1], 48, v10
	v_cndmask_b32_e64 v7, 0, 1, s[0:1]
	v_cmp_gt_u32_e64 s[0:1], 56, v10
	s_waitcnt lgkmcnt(0)
	v_add_f64 v[2:3], v[2:3], v[4:5]
	v_lshlrev_b32_e32 v4, 4, v7
	v_add_lshl_u32 v5, v4, v9, 2
	ds_bpermute_b32 v4, v5, v2
	ds_bpermute_b32 v5, v5, v3
	s_barrier
	s_waitcnt lgkmcnt(0)
	v_add_f64 v[2:3], v[2:3], v[4:5]
	v_cndmask_b32_e64 v4, 0, 1, s[0:1]
	v_lshlrev_b32_e32 v4, 3, v4
	v_add_lshl_u32 v5, v4, v9, 2
	ds_bpermute_b32 v4, v5, v2
	ds_bpermute_b32 v5, v5, v3
	v_cmp_gt_u32_e64 s[0:1], 60, v10
	s_waitcnt lgkmcnt(0)
	v_add_f64 v[2:3], v[2:3], v[4:5]
	v_cndmask_b32_e64 v4, 0, 1, s[0:1]
	v_lshlrev_b32_e32 v4, 2, v4
	v_add_lshl_u32 v7, v4, v9, 2
	ds_bpermute_b32 v4, v7, v2
	ds_bpermute_b32 v5, v7, v3
	v_cmp_gt_u32_e64 s[0:1], 62, v10
	s_waitcnt lgkmcnt(0)
	v_add_f64 v[2:3], v[2:3], v[4:5]
	v_cndmask_b32_e64 v4, 0, 1, s[0:1]
	v_lshlrev_b32_e32 v4, 1, v4
	v_add_lshl_u32 v8, v4, v9, 2
	ds_bpermute_b32 v4, v8, v2
	ds_bpermute_b32 v5, v8, v3
	v_cmp_ne_u32_e64 s[0:1], 63, v10
	s_waitcnt lgkmcnt(0)
	v_add_f64 v[2:3], v[2:3], v[4:5]
	v_addc_co_u32_e64 v4, s[0:1], 0, v9, s[0:1]
	v_lshlrev_b32_e32 v9, 2, v4
	ds_bpermute_b32 v4, v9, v2
	ds_bpermute_b32 v5, v9, v3
	v_cmp_eq_u32_e64 s[0:1], 0, v6
	s_and_saveexec_b64 s[8:9], s[0:1]
	s_cbranch_execz .LBB643_8
; %bb.7:
	s_waitcnt lgkmcnt(0)
	v_add_f64 v[2:3], v[2:3], v[4:5]
	v_lshrrev_b32_e32 v4, 3, v0
	v_and_b32_e32 v4, 56, v4
	ds_write_b64 v4, v[2:3]
.LBB643_8:
	s_or_b64 exec, exec, s[8:9]
	v_cmp_gt_u32_e64 s[0:1], 8, v0
	v_pk_mov_b32 v[2:3], 0, 0
	s_waitcnt lgkmcnt(0)
	s_barrier
	s_and_saveexec_b64 s[8:9], s[0:1]
	s_cbranch_execnz .LBB643_12
; %bb.9:
	s_or_b64 exec, exec, s[8:9]
	s_and_saveexec_b64 s[0:1], vcc
	s_cbranch_execnz .LBB643_13
.LBB643_10:
	s_or_b64 exec, exec, s[0:1]
	v_cmp_eq_u32_e32 vcc, 0, v0
	s_and_saveexec_b64 s[0:1], vcc
	s_cbranch_execnz .LBB643_14
.LBB643_11:
	s_endpgm
.LBB643_12:
	ds_read_b64 v[2:3], v1
	s_or_b64 exec, exec, s[8:9]
	s_and_saveexec_b64 s[0:1], vcc
	s_cbranch_execz .LBB643_10
.LBB643_13:
	s_waitcnt lgkmcnt(0)
	ds_bpermute_b32 v4, v7, v2
	ds_bpermute_b32 v5, v7, v3
	s_waitcnt lgkmcnt(0)
	v_add_f64 v[2:3], v[2:3], v[4:5]
	ds_bpermute_b32 v4, v8, v2
	ds_bpermute_b32 v5, v8, v3
	s_waitcnt lgkmcnt(0)
	v_add_f64 v[2:3], v[2:3], v[4:5]
	;; [unrolled: 4-line block ×3, first 2 shown]
	s_or_b64 exec, exec, s[0:1]
	v_cmp_eq_u32_e32 vcc, 0, v0
	s_and_saveexec_b64 s[0:1], vcc
	s_cbranch_execz .LBB643_11
.LBB643_14:
	s_cmp_lg_u32 s10, 1
	s_cbranch_scc0 .LBB643_16
; %bb.15:
	s_load_dwordx2 s[0:1], s[4:5], 0x30
	s_mul_hi_u32 s9, s10, s2
	s_mul_i32 s8, s10, s2
	s_lshl_b64 s[8:9], s[8:9], 3
	s_mov_b32 s7, 0
	s_waitcnt lgkmcnt(0)
	s_add_u32 s8, s0, s8
	s_addc_u32 s9, s1, s9
	s_lshl_b64 s[0:1], s[6:7], 3
	s_add_u32 s0, s8, s0
	s_addc_u32 s1, s9, s1
	s_cbranch_execz .LBB643_17
	s_branch .LBB643_18
.LBB643_16:
                                        ; implicit-def: $sgpr0_sgpr1
.LBB643_17:
	s_load_dwordx2 s[0:1], s[4:5], 0x38
	s_lshl_b64 s[2:3], s[2:3], 3
	s_waitcnt lgkmcnt(0)
	s_add_u32 s0, s0, s2
	s_addc_u32 s1, s1, s3
.LBB643_18:
	v_mov_b32_e32 v0, 0
	s_waitcnt lgkmcnt(0)
	global_store_dwordx2 v0, v[2:3], s[0:1]
	s_endpgm
	.section	.rodata,"a",@progbits
	.p2align	6, 0x0
	.amdhsa_kernel _ZL24rocblas_dot_kernel_magsqIiLb0ELi512ELi2ELb1EdPKPKddEviT5_lT_liPT6_PT4_
		.amdhsa_group_segment_fixed_size 512
		.amdhsa_private_segment_fixed_size 0
		.amdhsa_kernarg_size 320
		.amdhsa_user_sgpr_count 6
		.amdhsa_user_sgpr_private_segment_buffer 1
		.amdhsa_user_sgpr_dispatch_ptr 0
		.amdhsa_user_sgpr_queue_ptr 0
		.amdhsa_user_sgpr_kernarg_segment_ptr 1
		.amdhsa_user_sgpr_dispatch_id 0
		.amdhsa_user_sgpr_flat_scratch_init 0
		.amdhsa_user_sgpr_kernarg_preload_length 0
		.amdhsa_user_sgpr_kernarg_preload_offset 0
		.amdhsa_user_sgpr_private_segment_size 0
		.amdhsa_uses_dynamic_stack 0
		.amdhsa_system_sgpr_private_segment_wavefront_offset 0
		.amdhsa_system_sgpr_workgroup_id_x 1
		.amdhsa_system_sgpr_workgroup_id_y 0
		.amdhsa_system_sgpr_workgroup_id_z 1
		.amdhsa_system_sgpr_workgroup_info 0
		.amdhsa_system_vgpr_workitem_id 0
		.amdhsa_next_free_vgpr 11
		.amdhsa_next_free_sgpr 16
		.amdhsa_accum_offset 12
		.amdhsa_reserve_vcc 1
		.amdhsa_reserve_flat_scratch 0
		.amdhsa_float_round_mode_32 0
		.amdhsa_float_round_mode_16_64 0
		.amdhsa_float_denorm_mode_32 3
		.amdhsa_float_denorm_mode_16_64 3
		.amdhsa_dx10_clamp 1
		.amdhsa_ieee_mode 1
		.amdhsa_fp16_overflow 0
		.amdhsa_tg_split 0
		.amdhsa_exception_fp_ieee_invalid_op 0
		.amdhsa_exception_fp_denorm_src 0
		.amdhsa_exception_fp_ieee_div_zero 0
		.amdhsa_exception_fp_ieee_overflow 0
		.amdhsa_exception_fp_ieee_underflow 0
		.amdhsa_exception_fp_ieee_inexact 0
		.amdhsa_exception_int_div_zero 0
	.end_amdhsa_kernel
	.section	.text._ZL24rocblas_dot_kernel_magsqIiLb0ELi512ELi2ELb1EdPKPKddEviT5_lT_liPT6_PT4_,"axG",@progbits,_ZL24rocblas_dot_kernel_magsqIiLb0ELi512ELi2ELb1EdPKPKddEviT5_lT_liPT6_PT4_,comdat
.Lfunc_end643:
	.size	_ZL24rocblas_dot_kernel_magsqIiLb0ELi512ELi2ELb1EdPKPKddEviT5_lT_liPT6_PT4_, .Lfunc_end643-_ZL24rocblas_dot_kernel_magsqIiLb0ELi512ELi2ELb1EdPKPKddEviT5_lT_liPT6_PT4_
                                        ; -- End function
	.section	.AMDGPU.csdata,"",@progbits
; Kernel info:
; codeLenInByte = 960
; NumSgprs: 20
; NumVgprs: 11
; NumAgprs: 0
; TotalNumVgprs: 11
; ScratchSize: 0
; MemoryBound: 0
; FloatMode: 240
; IeeeMode: 1
; LDSByteSize: 512 bytes/workgroup (compile time only)
; SGPRBlocks: 2
; VGPRBlocks: 1
; NumSGPRsForWavesPerEU: 20
; NumVGPRsForWavesPerEU: 11
; AccumOffset: 12
; Occupancy: 8
; WaveLimiterHint : 1
; COMPUTE_PGM_RSRC2:SCRATCH_EN: 0
; COMPUTE_PGM_RSRC2:USER_SGPR: 6
; COMPUTE_PGM_RSRC2:TRAP_HANDLER: 0
; COMPUTE_PGM_RSRC2:TGID_X_EN: 1
; COMPUTE_PGM_RSRC2:TGID_Y_EN: 0
; COMPUTE_PGM_RSRC2:TGID_Z_EN: 1
; COMPUTE_PGM_RSRC2:TIDIG_COMP_CNT: 0
; COMPUTE_PGM_RSRC3_GFX90A:ACCUM_OFFSET: 2
; COMPUTE_PGM_RSRC3_GFX90A:TG_SPLIT: 0
	.section	.text._ZL28rocblas_dot_batched_4_kernelIlLi32ELi4ELb1EddPKPKdEviT5_lT_lS4_lS5_liPT4_,"axG",@progbits,_ZL28rocblas_dot_batched_4_kernelIlLi32ELi4ELb1EddPKPKdEviT5_lT_lS4_lS5_liPT4_,comdat
	.globl	_ZL28rocblas_dot_batched_4_kernelIlLi32ELi4ELb1EddPKPKdEviT5_lT_lS4_lS5_liPT4_ ; -- Begin function _ZL28rocblas_dot_batched_4_kernelIlLi32ELi4ELb1EddPKPKdEviT5_lT_lS4_lS5_liPT4_
	.p2align	8
	.type	_ZL28rocblas_dot_batched_4_kernelIlLi32ELi4ELb1EddPKPKdEviT5_lT_lS4_lS5_liPT4_,@function
_ZL28rocblas_dot_batched_4_kernelIlLi32ELi4ELb1EddPKPKdEviT5_lT_lS4_lS5_liPT4_: ; @_ZL28rocblas_dot_batched_4_kernelIlLi32ELi4ELb1EddPKPKdEviT5_lT_lS4_lS5_liPT4_
; %bb.0:
	s_load_dword s0, s[4:5], 0x48
	v_bfe_u32 v1, v0, 10, 10
	v_lshl_add_u32 v4, s6, 2, v1
	s_waitcnt lgkmcnt(0)
	v_cmp_gt_u32_e32 vcc, s0, v4
	s_and_saveexec_b64 s[0:1], vcc
	s_cbranch_execz .LBB644_7
; %bb.1:
	s_load_dword s14, s[4:5], 0x0
	s_load_dwordx2 s[8:9], s[4:5], 0x50
	v_mov_b32_e32 v5, 0
	v_and_b32_e32 v8, 0x3ff, v0
	v_pk_mov_b32 v[2:3], 0, 0
	s_waitcnt lgkmcnt(0)
	v_cmp_gt_i32_e32 vcc, s14, v8
	v_lshlrev_b64 v[0:1], 3, v[4:5]
	s_and_saveexec_b64 s[10:11], vcc
	s_cbranch_execz .LBB644_5
; %bb.2:
	s_load_dwordx2 s[6:7], s[4:5], 0x8
	s_load_dwordx2 s[12:13], s[4:5], 0x28
	s_load_dwordx4 s[0:3], s[4:5], 0x10
	s_waitcnt lgkmcnt(0)
	v_mov_b32_e32 v3, s7
	v_add_co_u32_e32 v2, vcc, s6, v0
	v_addc_co_u32_e32 v3, vcc, v3, v1, vcc
	global_load_dwordx2 v[4:5], v[2:3], off
	v_mov_b32_e32 v3, s13
	v_add_co_u32_e32 v2, vcc, s12, v0
	v_addc_co_u32_e32 v3, vcc, v3, v1, vcc
	global_load_dwordx2 v[6:7], v[2:3], off
	s_load_dwordx4 s[4:7], s[4:5], 0x30
	v_mad_u64_u32 v[12:13], s[16:17], s2, v8, 0
	v_mov_b32_e32 v16, v13
	s_lshl_b64 s[16:17], s[0:1], 3
	s_lshl_b64 s[0:1], s[2:3], 8
	s_waitcnt lgkmcnt(0)
	v_mad_u64_u32 v[14:15], s[18:19], s6, v8, 0
	v_mad_u64_u32 v[16:17], s[2:3], s3, v8, v[16:17]
	v_mov_b32_e32 v18, v15
	v_mov_b32_e32 v13, v16
	v_mad_u64_u32 v[18:19], s[2:3], s7, v8, v[18:19]
	v_lshlrev_b64 v[12:13], 3, v[12:13]
	v_mov_b32_e32 v11, s17
	v_mov_b32_e32 v15, v18
	v_add_co_u32_e32 v12, vcc, s16, v12
	s_lshl_b64 s[18:19], s[4:5], 3
	v_lshlrev_b64 v[14:15], 3, v[14:15]
	v_addc_co_u32_e32 v11, vcc, v13, v11, vcc
	v_mov_b32_e32 v20, s19
	v_add_co_u32_e32 v13, vcc, s18, v14
	v_addc_co_u32_e32 v14, vcc, v15, v20, vcc
	s_lshl_b64 s[4:5], s[6:7], 8
	s_mov_b64 s[12:13], 0
	v_pk_mov_b32 v[2:3], 0, 0
	v_mov_b32_e32 v9, s1
	v_mov_b32_e32 v10, s5
	s_waitcnt vmcnt(1)
	v_add_co_u32_e32 v4, vcc, v4, v12
	v_addc_co_u32_e32 v5, vcc, v5, v11, vcc
	v_mov_b32_e32 v11, v8
	s_waitcnt vmcnt(0)
	v_add_co_u32_e32 v6, vcc, v6, v13
	v_addc_co_u32_e32 v7, vcc, v7, v14, vcc
.LBB644_3:                              ; =>This Inner Loop Header: Depth=1
	global_load_dwordx2 v[12:13], v[4:5], off
	global_load_dwordx2 v[14:15], v[6:7], off
	v_add_co_u32_e32 v4, vcc, s0, v4
	v_addc_co_u32_e32 v5, vcc, v5, v9, vcc
	v_add_co_u32_e32 v6, vcc, s4, v6
	v_add_u32_e32 v11, 32, v11
	v_addc_co_u32_e32 v7, vcc, v7, v10, vcc
	v_cmp_le_i32_e32 vcc, s14, v11
	s_or_b64 s[12:13], vcc, s[12:13]
	s_waitcnt vmcnt(0)
	v_fmac_f64_e32 v[2:3], v[12:13], v[14:15]
	s_andn2_b64 exec, exec, s[12:13]
	s_cbranch_execnz .LBB644_3
; %bb.4:
	s_or_b64 exec, exec, s[12:13]
.LBB644_5:
	s_or_b64 exec, exec, s[10:11]
	v_mbcnt_lo_u32_b32 v4, -1, 0
	v_mbcnt_hi_u32_b32 v6, -1, v4
	v_and_b32_e32 v7, 63, v6
	v_cmp_gt_u32_e32 vcc, 48, v7
	v_cndmask_b32_e64 v4, 0, 1, vcc
	v_lshlrev_b32_e32 v4, 4, v4
	v_add_lshl_u32 v5, v4, v6, 2
	ds_bpermute_b32 v4, v5, v2
	ds_bpermute_b32 v5, v5, v3
	v_cmp_gt_u32_e32 vcc, 56, v7
	v_cndmask_b32_e64 v9, 0, 1, vcc
	v_cmp_gt_u32_e32 vcc, 60, v7
	s_waitcnt lgkmcnt(0)
	v_add_f64 v[2:3], v[2:3], v[4:5]
	v_lshlrev_b32_e32 v4, 3, v9
	v_add_lshl_u32 v5, v4, v6, 2
	ds_bpermute_b32 v4, v5, v2
	ds_bpermute_b32 v5, v5, v3
	s_barrier
	s_waitcnt lgkmcnt(0)
	v_add_f64 v[2:3], v[2:3], v[4:5]
	v_cndmask_b32_e64 v4, 0, 1, vcc
	v_lshlrev_b32_e32 v4, 2, v4
	v_add_lshl_u32 v5, v4, v6, 2
	ds_bpermute_b32 v4, v5, v2
	ds_bpermute_b32 v5, v5, v3
	v_cmp_gt_u32_e32 vcc, 62, v7
	s_waitcnt lgkmcnt(0)
	v_add_f64 v[2:3], v[2:3], v[4:5]
	v_cndmask_b32_e64 v4, 0, 1, vcc
	v_lshlrev_b32_e32 v4, 1, v4
	v_add_lshl_u32 v5, v4, v6, 2
	ds_bpermute_b32 v4, v5, v2
	ds_bpermute_b32 v5, v5, v3
	v_cmp_ne_u32_e32 vcc, 63, v7
	s_waitcnt lgkmcnt(0)
	v_add_f64 v[2:3], v[2:3], v[4:5]
	v_addc_co_u32_e32 v4, vcc, 0, v6, vcc
	v_lshlrev_b32_e32 v5, 2, v4
	ds_bpermute_b32 v4, v5, v2
	ds_bpermute_b32 v5, v5, v3
	v_cmp_eq_u32_e32 vcc, 0, v8
	s_and_b64 exec, exec, vcc
	s_cbranch_execz .LBB644_7
; %bb.6:
	v_mov_b32_e32 v6, s9
	v_add_co_u32_e32 v0, vcc, s8, v0
	v_addc_co_u32_e32 v1, vcc, v6, v1, vcc
	s_waitcnt lgkmcnt(0)
	v_add_f64 v[2:3], v[2:3], v[4:5]
	global_store_dwordx2 v[0:1], v[2:3], off
.LBB644_7:
	s_endpgm
	.section	.rodata,"a",@progbits
	.p2align	6, 0x0
	.amdhsa_kernel _ZL28rocblas_dot_batched_4_kernelIlLi32ELi4ELb1EddPKPKdEviT5_lT_lS4_lS5_liPT4_
		.amdhsa_group_segment_fixed_size 0
		.amdhsa_private_segment_fixed_size 0
		.amdhsa_kernarg_size 88
		.amdhsa_user_sgpr_count 6
		.amdhsa_user_sgpr_private_segment_buffer 1
		.amdhsa_user_sgpr_dispatch_ptr 0
		.amdhsa_user_sgpr_queue_ptr 0
		.amdhsa_user_sgpr_kernarg_segment_ptr 1
		.amdhsa_user_sgpr_dispatch_id 0
		.amdhsa_user_sgpr_flat_scratch_init 0
		.amdhsa_user_sgpr_kernarg_preload_length 0
		.amdhsa_user_sgpr_kernarg_preload_offset 0
		.amdhsa_user_sgpr_private_segment_size 0
		.amdhsa_uses_dynamic_stack 0
		.amdhsa_system_sgpr_private_segment_wavefront_offset 0
		.amdhsa_system_sgpr_workgroup_id_x 1
		.amdhsa_system_sgpr_workgroup_id_y 0
		.amdhsa_system_sgpr_workgroup_id_z 0
		.amdhsa_system_sgpr_workgroup_info 0
		.amdhsa_system_vgpr_workitem_id 1
		.amdhsa_next_free_vgpr 21
		.amdhsa_next_free_sgpr 20
		.amdhsa_accum_offset 24
		.amdhsa_reserve_vcc 1
		.amdhsa_reserve_flat_scratch 0
		.amdhsa_float_round_mode_32 0
		.amdhsa_float_round_mode_16_64 0
		.amdhsa_float_denorm_mode_32 3
		.amdhsa_float_denorm_mode_16_64 3
		.amdhsa_dx10_clamp 1
		.amdhsa_ieee_mode 1
		.amdhsa_fp16_overflow 0
		.amdhsa_tg_split 0
		.amdhsa_exception_fp_ieee_invalid_op 0
		.amdhsa_exception_fp_denorm_src 0
		.amdhsa_exception_fp_ieee_div_zero 0
		.amdhsa_exception_fp_ieee_overflow 0
		.amdhsa_exception_fp_ieee_underflow 0
		.amdhsa_exception_fp_ieee_inexact 0
		.amdhsa_exception_int_div_zero 0
	.end_amdhsa_kernel
	.section	.text._ZL28rocblas_dot_batched_4_kernelIlLi32ELi4ELb1EddPKPKdEviT5_lT_lS4_lS5_liPT4_,"axG",@progbits,_ZL28rocblas_dot_batched_4_kernelIlLi32ELi4ELb1EddPKPKdEviT5_lT_lS4_lS5_liPT4_,comdat
.Lfunc_end644:
	.size	_ZL28rocblas_dot_batched_4_kernelIlLi32ELi4ELb1EddPKPKdEviT5_lT_lS4_lS5_liPT4_, .Lfunc_end644-_ZL28rocblas_dot_batched_4_kernelIlLi32ELi4ELb1EddPKPKdEviT5_lT_lS4_lS5_liPT4_
                                        ; -- End function
	.section	.AMDGPU.csdata,"",@progbits
; Kernel info:
; codeLenInByte = 708
; NumSgprs: 24
; NumVgprs: 21
; NumAgprs: 0
; TotalNumVgprs: 21
; ScratchSize: 0
; MemoryBound: 0
; FloatMode: 240
; IeeeMode: 1
; LDSByteSize: 0 bytes/workgroup (compile time only)
; SGPRBlocks: 2
; VGPRBlocks: 2
; NumSGPRsForWavesPerEU: 24
; NumVGPRsForWavesPerEU: 21
; AccumOffset: 24
; Occupancy: 8
; WaveLimiterHint : 0
; COMPUTE_PGM_RSRC2:SCRATCH_EN: 0
; COMPUTE_PGM_RSRC2:USER_SGPR: 6
; COMPUTE_PGM_RSRC2:TRAP_HANDLER: 0
; COMPUTE_PGM_RSRC2:TGID_X_EN: 1
; COMPUTE_PGM_RSRC2:TGID_Y_EN: 0
; COMPUTE_PGM_RSRC2:TGID_Z_EN: 0
; COMPUTE_PGM_RSRC2:TIDIG_COMP_CNT: 1
; COMPUTE_PGM_RSRC3_GFX90A:ACCUM_OFFSET: 5
; COMPUTE_PGM_RSRC3_GFX90A:TG_SPLIT: 0
	.section	.text._ZL28rocblas_dot_batched_4_kernelIlLi64ELi4ELb1EddPKPKdEviT5_lT_lS4_lS5_liPT4_,"axG",@progbits,_ZL28rocblas_dot_batched_4_kernelIlLi64ELi4ELb1EddPKPKdEviT5_lT_lS4_lS5_liPT4_,comdat
	.globl	_ZL28rocblas_dot_batched_4_kernelIlLi64ELi4ELb1EddPKPKdEviT5_lT_lS4_lS5_liPT4_ ; -- Begin function _ZL28rocblas_dot_batched_4_kernelIlLi64ELi4ELb1EddPKPKdEviT5_lT_lS4_lS5_liPT4_
	.p2align	8
	.type	_ZL28rocblas_dot_batched_4_kernelIlLi64ELi4ELb1EddPKPKdEviT5_lT_lS4_lS5_liPT4_,@function
_ZL28rocblas_dot_batched_4_kernelIlLi64ELi4ELb1EddPKPKdEviT5_lT_lS4_lS5_liPT4_: ; @_ZL28rocblas_dot_batched_4_kernelIlLi64ELi4ELb1EddPKPKdEviT5_lT_lS4_lS5_liPT4_
; %bb.0:
	s_load_dword s0, s[4:5], 0x48
	v_bfe_u32 v1, v0, 10, 10
	v_lshl_add_u32 v4, s6, 2, v1
	s_waitcnt lgkmcnt(0)
	v_cmp_gt_u32_e32 vcc, s0, v4
	s_and_saveexec_b64 s[0:1], vcc
	s_cbranch_execz .LBB645_7
; %bb.1:
	s_load_dword s14, s[4:5], 0x0
	s_load_dwordx2 s[8:9], s[4:5], 0x50
	v_mov_b32_e32 v5, 0
	v_and_b32_e32 v8, 0x3ff, v0
	v_pk_mov_b32 v[2:3], 0, 0
	s_waitcnt lgkmcnt(0)
	v_cmp_gt_i32_e32 vcc, s14, v8
	v_lshlrev_b64 v[0:1], 3, v[4:5]
	s_and_saveexec_b64 s[10:11], vcc
	s_cbranch_execz .LBB645_5
; %bb.2:
	s_load_dwordx2 s[6:7], s[4:5], 0x8
	s_load_dwordx2 s[12:13], s[4:5], 0x28
	s_load_dwordx4 s[0:3], s[4:5], 0x10
	s_waitcnt lgkmcnt(0)
	v_mov_b32_e32 v3, s7
	v_add_co_u32_e32 v2, vcc, s6, v0
	v_addc_co_u32_e32 v3, vcc, v3, v1, vcc
	global_load_dwordx2 v[4:5], v[2:3], off
	v_mov_b32_e32 v3, s13
	v_add_co_u32_e32 v2, vcc, s12, v0
	v_addc_co_u32_e32 v3, vcc, v3, v1, vcc
	global_load_dwordx2 v[6:7], v[2:3], off
	s_load_dwordx4 s[4:7], s[4:5], 0x30
	v_mad_u64_u32 v[12:13], s[16:17], s2, v8, 0
	v_mov_b32_e32 v16, v13
	s_lshl_b64 s[16:17], s[0:1], 3
	s_lshl_b64 s[0:1], s[2:3], 9
	s_waitcnt lgkmcnt(0)
	v_mad_u64_u32 v[14:15], s[18:19], s6, v8, 0
	v_mad_u64_u32 v[16:17], s[2:3], s3, v8, v[16:17]
	v_mov_b32_e32 v18, v15
	v_mov_b32_e32 v13, v16
	v_mad_u64_u32 v[18:19], s[2:3], s7, v8, v[18:19]
	v_lshlrev_b64 v[12:13], 3, v[12:13]
	v_mov_b32_e32 v11, s17
	v_mov_b32_e32 v15, v18
	v_add_co_u32_e32 v12, vcc, s16, v12
	s_lshl_b64 s[18:19], s[4:5], 3
	v_lshlrev_b64 v[14:15], 3, v[14:15]
	v_addc_co_u32_e32 v11, vcc, v13, v11, vcc
	v_mov_b32_e32 v20, s19
	v_add_co_u32_e32 v13, vcc, s18, v14
	v_addc_co_u32_e32 v14, vcc, v15, v20, vcc
	s_lshl_b64 s[4:5], s[6:7], 9
	s_mov_b64 s[12:13], 0
	v_pk_mov_b32 v[2:3], 0, 0
	v_mov_b32_e32 v9, s1
	v_mov_b32_e32 v10, s5
	s_waitcnt vmcnt(1)
	v_add_co_u32_e32 v4, vcc, v4, v12
	v_addc_co_u32_e32 v5, vcc, v5, v11, vcc
	v_mov_b32_e32 v11, v8
	s_waitcnt vmcnt(0)
	v_add_co_u32_e32 v6, vcc, v6, v13
	v_addc_co_u32_e32 v7, vcc, v7, v14, vcc
.LBB645_3:                              ; =>This Inner Loop Header: Depth=1
	global_load_dwordx2 v[12:13], v[4:5], off
	global_load_dwordx2 v[14:15], v[6:7], off
	v_add_co_u32_e32 v4, vcc, s0, v4
	v_addc_co_u32_e32 v5, vcc, v5, v9, vcc
	v_add_co_u32_e32 v6, vcc, s4, v6
	v_add_u32_e32 v11, 64, v11
	v_addc_co_u32_e32 v7, vcc, v7, v10, vcc
	v_cmp_le_i32_e32 vcc, s14, v11
	s_or_b64 s[12:13], vcc, s[12:13]
	s_waitcnt vmcnt(0)
	v_fmac_f64_e32 v[2:3], v[12:13], v[14:15]
	s_andn2_b64 exec, exec, s[12:13]
	s_cbranch_execnz .LBB645_3
; %bb.4:
	s_or_b64 exec, exec, s[12:13]
.LBB645_5:
	s_or_b64 exec, exec, s[10:11]
	v_mbcnt_lo_u32_b32 v4, -1, 0
	v_mbcnt_hi_u32_b32 v6, -1, v4
	v_and_b32_e32 v7, 63, v6
	v_cmp_gt_u32_e32 vcc, 32, v7
	v_cndmask_b32_e64 v4, 0, 1, vcc
	v_lshlrev_b32_e32 v4, 5, v4
	v_add_lshl_u32 v5, v4, v6, 2
	ds_bpermute_b32 v4, v5, v2
	ds_bpermute_b32 v5, v5, v3
	v_cmp_gt_u32_e32 vcc, 48, v7
	v_cndmask_b32_e64 v9, 0, 1, vcc
	v_cmp_gt_u32_e32 vcc, 56, v7
	s_waitcnt lgkmcnt(0)
	v_add_f64 v[2:3], v[2:3], v[4:5]
	v_lshlrev_b32_e32 v4, 4, v9
	v_add_lshl_u32 v5, v4, v6, 2
	ds_bpermute_b32 v4, v5, v2
	ds_bpermute_b32 v5, v5, v3
	s_barrier
	s_waitcnt lgkmcnt(0)
	v_add_f64 v[2:3], v[2:3], v[4:5]
	v_cndmask_b32_e64 v4, 0, 1, vcc
	v_lshlrev_b32_e32 v4, 3, v4
	v_add_lshl_u32 v5, v4, v6, 2
	ds_bpermute_b32 v4, v5, v2
	ds_bpermute_b32 v5, v5, v3
	v_cmp_gt_u32_e32 vcc, 60, v7
	s_waitcnt lgkmcnt(0)
	v_add_f64 v[2:3], v[2:3], v[4:5]
	v_cndmask_b32_e64 v4, 0, 1, vcc
	v_lshlrev_b32_e32 v4, 2, v4
	v_add_lshl_u32 v5, v4, v6, 2
	ds_bpermute_b32 v4, v5, v2
	ds_bpermute_b32 v5, v5, v3
	v_cmp_gt_u32_e32 vcc, 62, v7
	s_waitcnt lgkmcnt(0)
	v_add_f64 v[2:3], v[2:3], v[4:5]
	v_cndmask_b32_e64 v4, 0, 1, vcc
	v_lshlrev_b32_e32 v4, 1, v4
	v_add_lshl_u32 v5, v4, v6, 2
	ds_bpermute_b32 v4, v5, v2
	ds_bpermute_b32 v5, v5, v3
	v_cmp_ne_u32_e32 vcc, 63, v7
	s_waitcnt lgkmcnt(0)
	v_add_f64 v[2:3], v[2:3], v[4:5]
	v_addc_co_u32_e32 v4, vcc, 0, v6, vcc
	v_lshlrev_b32_e32 v5, 2, v4
	ds_bpermute_b32 v4, v5, v2
	ds_bpermute_b32 v5, v5, v3
	v_cmp_eq_u32_e32 vcc, 0, v8
	s_and_b64 exec, exec, vcc
	s_cbranch_execz .LBB645_7
; %bb.6:
	v_mov_b32_e32 v6, s9
	v_add_co_u32_e32 v0, vcc, s8, v0
	v_addc_co_u32_e32 v1, vcc, v6, v1, vcc
	s_waitcnt lgkmcnt(0)
	v_add_f64 v[2:3], v[2:3], v[4:5]
	global_store_dwordx2 v[0:1], v[2:3], off
.LBB645_7:
	s_endpgm
	.section	.rodata,"a",@progbits
	.p2align	6, 0x0
	.amdhsa_kernel _ZL28rocblas_dot_batched_4_kernelIlLi64ELi4ELb1EddPKPKdEviT5_lT_lS4_lS5_liPT4_
		.amdhsa_group_segment_fixed_size 0
		.amdhsa_private_segment_fixed_size 0
		.amdhsa_kernarg_size 88
		.amdhsa_user_sgpr_count 6
		.amdhsa_user_sgpr_private_segment_buffer 1
		.amdhsa_user_sgpr_dispatch_ptr 0
		.amdhsa_user_sgpr_queue_ptr 0
		.amdhsa_user_sgpr_kernarg_segment_ptr 1
		.amdhsa_user_sgpr_dispatch_id 0
		.amdhsa_user_sgpr_flat_scratch_init 0
		.amdhsa_user_sgpr_kernarg_preload_length 0
		.amdhsa_user_sgpr_kernarg_preload_offset 0
		.amdhsa_user_sgpr_private_segment_size 0
		.amdhsa_uses_dynamic_stack 0
		.amdhsa_system_sgpr_private_segment_wavefront_offset 0
		.amdhsa_system_sgpr_workgroup_id_x 1
		.amdhsa_system_sgpr_workgroup_id_y 0
		.amdhsa_system_sgpr_workgroup_id_z 0
		.amdhsa_system_sgpr_workgroup_info 0
		.amdhsa_system_vgpr_workitem_id 1
		.amdhsa_next_free_vgpr 21
		.amdhsa_next_free_sgpr 20
		.amdhsa_accum_offset 24
		.amdhsa_reserve_vcc 1
		.amdhsa_reserve_flat_scratch 0
		.amdhsa_float_round_mode_32 0
		.amdhsa_float_round_mode_16_64 0
		.amdhsa_float_denorm_mode_32 3
		.amdhsa_float_denorm_mode_16_64 3
		.amdhsa_dx10_clamp 1
		.amdhsa_ieee_mode 1
		.amdhsa_fp16_overflow 0
		.amdhsa_tg_split 0
		.amdhsa_exception_fp_ieee_invalid_op 0
		.amdhsa_exception_fp_denorm_src 0
		.amdhsa_exception_fp_ieee_div_zero 0
		.amdhsa_exception_fp_ieee_overflow 0
		.amdhsa_exception_fp_ieee_underflow 0
		.amdhsa_exception_fp_ieee_inexact 0
		.amdhsa_exception_int_div_zero 0
	.end_amdhsa_kernel
	.section	.text._ZL28rocblas_dot_batched_4_kernelIlLi64ELi4ELb1EddPKPKdEviT5_lT_lS4_lS5_liPT4_,"axG",@progbits,_ZL28rocblas_dot_batched_4_kernelIlLi64ELi4ELb1EddPKPKdEviT5_lT_lS4_lS5_liPT4_,comdat
.Lfunc_end645:
	.size	_ZL28rocblas_dot_batched_4_kernelIlLi64ELi4ELb1EddPKPKdEviT5_lT_lS4_lS5_liPT4_, .Lfunc_end645-_ZL28rocblas_dot_batched_4_kernelIlLi64ELi4ELb1EddPKPKdEviT5_lT_lS4_lS5_liPT4_
                                        ; -- End function
	.section	.AMDGPU.csdata,"",@progbits
; Kernel info:
; codeLenInByte = 760
; NumSgprs: 24
; NumVgprs: 21
; NumAgprs: 0
; TotalNumVgprs: 21
; ScratchSize: 0
; MemoryBound: 0
; FloatMode: 240
; IeeeMode: 1
; LDSByteSize: 0 bytes/workgroup (compile time only)
; SGPRBlocks: 2
; VGPRBlocks: 2
; NumSGPRsForWavesPerEU: 24
; NumVGPRsForWavesPerEU: 21
; AccumOffset: 24
; Occupancy: 8
; WaveLimiterHint : 0
; COMPUTE_PGM_RSRC2:SCRATCH_EN: 0
; COMPUTE_PGM_RSRC2:USER_SGPR: 6
; COMPUTE_PGM_RSRC2:TRAP_HANDLER: 0
; COMPUTE_PGM_RSRC2:TGID_X_EN: 1
; COMPUTE_PGM_RSRC2:TGID_Y_EN: 0
; COMPUTE_PGM_RSRC2:TGID_Z_EN: 0
; COMPUTE_PGM_RSRC2:TIDIG_COMP_CNT: 1
; COMPUTE_PGM_RSRC3_GFX90A:ACCUM_OFFSET: 5
; COMPUTE_PGM_RSRC3_GFX90A:TG_SPLIT: 0
	.section	.text._ZL18rocblas_dot_kernelIlLb1ELi1024ELi32ELb1EdPKPKddEviT5_lT_lS4_lS5_liPT6_PT4_,"axG",@progbits,_ZL18rocblas_dot_kernelIlLb1ELi1024ELi32ELb1EdPKPKddEviT5_lT_lS4_lS5_liPT6_PT4_,comdat
	.globl	_ZL18rocblas_dot_kernelIlLb1ELi1024ELi32ELb1EdPKPKddEviT5_lT_lS4_lS5_liPT6_PT4_ ; -- Begin function _ZL18rocblas_dot_kernelIlLb1ELi1024ELi32ELb1EdPKPKddEviT5_lT_lS4_lS5_liPT6_PT4_
	.p2align	8
	.type	_ZL18rocblas_dot_kernelIlLb1ELi1024ELi32ELb1EdPKPKddEviT5_lT_lS4_lS5_liPT6_PT4_,@function
_ZL18rocblas_dot_kernelIlLb1ELi1024ELi32ELb1EdPKPKddEviT5_lT_lS4_lS5_liPT6_PT4_: ; @_ZL18rocblas_dot_kernelIlLb1ELi1024ELi32ELb1EdPKPKddEviT5_lT_lS4_lS5_liPT6_PT4_
; %bb.0:
	s_load_dword s16, s[4:5], 0x0
	s_load_dwordx2 s[12:13], s[4:5], 0x58
	s_mov_b32 s6, s7
	s_mov_b32 s7, 0
	v_pk_mov_b32 v[2:3], 0, 0
	s_waitcnt lgkmcnt(0)
	v_cmp_gt_i32_e32 vcc, s16, v0
	s_and_saveexec_b64 s[14:15], vcc
	s_cbranch_execz .LBB646_4
; %bb.1:
	s_load_dwordx2 s[18:19], s[4:5], 0x8
	s_load_dwordx4 s[8:11], s[4:5], 0x10
	s_load_dwordx2 s[20:21], s[4:5], 0x28
	s_load_dwordx4 s[0:3], s[4:5], 0x30
	s_lshl_b64 s[22:23], s[6:7], 3
	s_waitcnt lgkmcnt(0)
	s_add_u32 s18, s18, s22
	s_addc_u32 s19, s19, s23
	s_load_dword s17, s[4:5], 0x60
	s_load_dwordx2 s[24:25], s[18:19], 0x0
	s_add_u32 s4, s20, s22
	s_addc_u32 s5, s21, s23
	s_load_dwordx2 s[18:19], s[4:5], 0x0
	v_mad_u64_u32 v[2:3], s[4:5], s10, v0, 0
	v_mov_b32_e32 v4, v3
	v_mad_u64_u32 v[4:5], s[4:5], s11, v0, v[4:5]
	s_waitcnt lgkmcnt(0)
	s_lshl_b32 s17, s17, 10
	s_lshl_b64 s[4:5], s[8:9], 3
	v_mov_b32_e32 v3, v4
	s_add_u32 s4, s24, s4
	v_lshlrev_b64 v[2:3], 3, v[2:3]
	s_addc_u32 s5, s25, s5
	s_ashr_i32 s20, s17, 31
	v_mov_b32_e32 v5, s5
	v_add_co_u32_e32 v4, vcc, s4, v2
	s_mul_i32 s4, s10, s20
	s_mul_hi_u32 s5, s10, s17
	v_addc_co_u32_e32 v5, vcc, v5, v3, vcc
	s_add_i32 s4, s5, s4
	s_mul_i32 s5, s11, s17
	v_mad_u64_u32 v[2:3], s[8:9], s2, v0, 0
	s_add_i32 s5, s4, s5
	s_mul_i32 s4, s10, s17
	v_mov_b32_e32 v6, v3
	s_lshl_b64 s[4:5], s[4:5], 3
	v_mad_u64_u32 v[6:7], s[8:9], s3, v0, v[6:7]
	s_lshl_b64 s[0:1], s[0:1], 3
	v_mov_b32_e32 v3, v6
	s_add_u32 s0, s18, s0
	v_lshlrev_b64 v[2:3], 3, v[2:3]
	s_addc_u32 s1, s19, s1
	v_mov_b32_e32 v7, s1
	v_add_co_u32_e32 v6, vcc, s0, v2
	s_mul_i32 s0, s2, s20
	s_mul_hi_u32 s1, s2, s17
	s_add_i32 s0, s1, s0
	s_mul_i32 s1, s3, s17
	s_add_i32 s1, s0, s1
	s_mul_i32 s0, s2, s17
	s_lshl_b64 s[8:9], s[0:1], 3
	v_or_b32_e32 v1, s17, v0
	v_addc_co_u32_e32 v7, vcc, v7, v3, vcc
	s_mov_b64 s[2:3], 0
	v_pk_mov_b32 v[2:3], 0, 0
	v_mov_b32_e32 v8, s5
	v_mov_b32_e32 v9, s9
	s_mov_b32 s5, s7
.LBB646_2:                              ; =>This Inner Loop Header: Depth=1
	global_load_dwordx2 v[10:11], v[6:7], off
	global_load_dwordx2 v[12:13], v[4:5], off
	v_add_co_u32_e64 v4, s[0:1], s4, v4
	v_addc_co_u32_e64 v5, s[0:1], v5, v8, s[0:1]
	s_add_i32 s9, s5, 1
	v_add_co_u32_e64 v6, s[0:1], s8, v6
	v_addc_co_u32_e64 v7, s[0:1], v7, v9, s[0:1]
	s_cmp_gt_u32 s5, 30
	v_cmp_le_i32_e32 vcc, s16, v1
	s_cselect_b64 s[0:1], -1, 0
	s_or_b64 s[0:1], s[0:1], vcc
	s_and_b64 s[0:1], exec, s[0:1]
	v_add_u32_e32 v1, s17, v1
	s_mov_b32 s5, s9
	s_or_b64 s[2:3], s[0:1], s[2:3]
	s_waitcnt vmcnt(0)
	v_fmac_f64_e32 v[2:3], v[10:11], v[12:13]
	s_andn2_b64 exec, exec, s[2:3]
	s_cbranch_execnz .LBB646_2
; %bb.3:
	s_or_b64 exec, exec, s[2:3]
.LBB646_4:
	s_or_b64 exec, exec, s[14:15]
	v_and_b32_e32 v6, 63, v0
	v_cmp_gt_u32_e32 vcc, 64, v0
	v_lshlrev_b32_e32 v1, 3, v6
	s_and_saveexec_b64 s[0:1], vcc
	s_cbranch_execz .LBB646_6
; %bb.5:
	v_mov_b32_e32 v4, 0
	v_mov_b32_e32 v5, v4
	ds_write_b64 v1, v[4:5]
.LBB646_6:
	s_or_b64 exec, exec, s[0:1]
	v_mbcnt_lo_u32_b32 v4, -1, 0
	v_mbcnt_hi_u32_b32 v10, -1, v4
	v_and_b32_e32 v11, 63, v10
	v_cmp_gt_u32_e64 s[0:1], 32, v11
	v_cndmask_b32_e64 v4, 0, 1, s[0:1]
	v_lshlrev_b32_e32 v4, 5, v4
	v_add_lshl_u32 v5, v4, v10, 2
	ds_bpermute_b32 v4, v5, v2
	ds_bpermute_b32 v5, v5, v3
	v_cmp_gt_u32_e64 s[0:1], 48, v11
	v_cndmask_b32_e64 v7, 0, 1, s[0:1]
	v_cmp_gt_u32_e64 s[0:1], 56, v11
	s_waitcnt lgkmcnt(0)
	v_add_f64 v[2:3], v[2:3], v[4:5]
	v_lshlrev_b32_e32 v4, 4, v7
	v_add_lshl_u32 v5, v4, v10, 2
	ds_bpermute_b32 v4, v5, v2
	ds_bpermute_b32 v5, v5, v3
	s_barrier
	s_waitcnt lgkmcnt(0)
	v_add_f64 v[2:3], v[2:3], v[4:5]
	v_cndmask_b32_e64 v4, 0, 1, s[0:1]
	v_lshlrev_b32_e32 v4, 3, v4
	v_add_lshl_u32 v7, v4, v10, 2
	ds_bpermute_b32 v4, v7, v2
	ds_bpermute_b32 v5, v7, v3
	v_cmp_gt_u32_e64 s[0:1], 60, v11
	s_waitcnt lgkmcnt(0)
	v_add_f64 v[2:3], v[2:3], v[4:5]
	v_cndmask_b32_e64 v4, 0, 1, s[0:1]
	v_lshlrev_b32_e32 v4, 2, v4
	v_add_lshl_u32 v8, v4, v10, 2
	ds_bpermute_b32 v4, v8, v2
	ds_bpermute_b32 v5, v8, v3
	v_cmp_gt_u32_e64 s[0:1], 62, v11
	s_waitcnt lgkmcnt(0)
	v_add_f64 v[2:3], v[2:3], v[4:5]
	v_cndmask_b32_e64 v4, 0, 1, s[0:1]
	v_lshlrev_b32_e32 v4, 1, v4
	v_add_lshl_u32 v9, v4, v10, 2
	ds_bpermute_b32 v4, v9, v2
	ds_bpermute_b32 v5, v9, v3
	v_cmp_ne_u32_e64 s[0:1], 63, v11
	s_waitcnt lgkmcnt(0)
	v_add_f64 v[2:3], v[2:3], v[4:5]
	v_addc_co_u32_e64 v4, s[0:1], 0, v10, s[0:1]
	v_lshlrev_b32_e32 v10, 2, v4
	ds_bpermute_b32 v4, v10, v2
	ds_bpermute_b32 v5, v10, v3
	v_cmp_eq_u32_e64 s[0:1], 0, v6
	s_and_saveexec_b64 s[2:3], s[0:1]
	s_cbranch_execz .LBB646_8
; %bb.7:
	s_waitcnt lgkmcnt(0)
	v_add_f64 v[2:3], v[2:3], v[4:5]
	v_lshrrev_b32_e32 v4, 3, v0
	v_and_b32_e32 v4, 0x78, v4
	ds_write_b64 v4, v[2:3]
.LBB646_8:
	s_or_b64 exec, exec, s[2:3]
	v_cmp_gt_u32_e64 s[0:1], 16, v0
	v_pk_mov_b32 v[2:3], 0, 0
	s_waitcnt lgkmcnt(0)
	s_barrier
	s_and_saveexec_b64 s[2:3], s[0:1]
	s_cbranch_execnz .LBB646_12
; %bb.9:
	s_or_b64 exec, exec, s[2:3]
	s_and_saveexec_b64 s[0:1], vcc
	s_cbranch_execnz .LBB646_13
.LBB646_10:
	s_or_b64 exec, exec, s[0:1]
	v_cmp_eq_u32_e32 vcc, 0, v0
	s_and_saveexec_b64 s[0:1], vcc
	s_cbranch_execnz .LBB646_14
.LBB646_11:
	s_endpgm
.LBB646_12:
	ds_read_b64 v[2:3], v1
	s_or_b64 exec, exec, s[2:3]
	s_and_saveexec_b64 s[0:1], vcc
	s_cbranch_execz .LBB646_10
.LBB646_13:
	s_waitcnt lgkmcnt(0)
	ds_bpermute_b32 v4, v7, v2
	ds_bpermute_b32 v5, v7, v3
	s_waitcnt lgkmcnt(0)
	v_add_f64 v[2:3], v[2:3], v[4:5]
	ds_bpermute_b32 v4, v8, v2
	ds_bpermute_b32 v5, v8, v3
	s_waitcnt lgkmcnt(0)
	v_add_f64 v[2:3], v[2:3], v[4:5]
	;; [unrolled: 4-line block ×4, first 2 shown]
	s_or_b64 exec, exec, s[0:1]
	v_cmp_eq_u32_e32 vcc, 0, v0
	s_and_saveexec_b64 s[0:1], vcc
	s_cbranch_execz .LBB646_11
.LBB646_14:
	s_lshl_b64 s[0:1], s[6:7], 3
	s_add_u32 s0, s12, s0
	s_addc_u32 s1, s13, s1
	v_mov_b32_e32 v0, 0
	s_waitcnt lgkmcnt(0)
	global_store_dwordx2 v0, v[2:3], s[0:1]
	s_endpgm
	.section	.rodata,"a",@progbits
	.p2align	6, 0x0
	.amdhsa_kernel _ZL18rocblas_dot_kernelIlLb1ELi1024ELi32ELb1EdPKPKddEviT5_lT_lS4_lS5_liPT6_PT4_
		.amdhsa_group_segment_fixed_size 512
		.amdhsa_private_segment_fixed_size 0
		.amdhsa_kernarg_size 352
		.amdhsa_user_sgpr_count 6
		.amdhsa_user_sgpr_private_segment_buffer 1
		.amdhsa_user_sgpr_dispatch_ptr 0
		.amdhsa_user_sgpr_queue_ptr 0
		.amdhsa_user_sgpr_kernarg_segment_ptr 1
		.amdhsa_user_sgpr_dispatch_id 0
		.amdhsa_user_sgpr_flat_scratch_init 0
		.amdhsa_user_sgpr_kernarg_preload_length 0
		.amdhsa_user_sgpr_kernarg_preload_offset 0
		.amdhsa_user_sgpr_private_segment_size 0
		.amdhsa_uses_dynamic_stack 0
		.amdhsa_system_sgpr_private_segment_wavefront_offset 0
		.amdhsa_system_sgpr_workgroup_id_x 1
		.amdhsa_system_sgpr_workgroup_id_y 0
		.amdhsa_system_sgpr_workgroup_id_z 1
		.amdhsa_system_sgpr_workgroup_info 0
		.amdhsa_system_vgpr_workitem_id 0
		.amdhsa_next_free_vgpr 14
		.amdhsa_next_free_sgpr 26
		.amdhsa_accum_offset 16
		.amdhsa_reserve_vcc 1
		.amdhsa_reserve_flat_scratch 0
		.amdhsa_float_round_mode_32 0
		.amdhsa_float_round_mode_16_64 0
		.amdhsa_float_denorm_mode_32 3
		.amdhsa_float_denorm_mode_16_64 3
		.amdhsa_dx10_clamp 1
		.amdhsa_ieee_mode 1
		.amdhsa_fp16_overflow 0
		.amdhsa_tg_split 0
		.amdhsa_exception_fp_ieee_invalid_op 0
		.amdhsa_exception_fp_denorm_src 0
		.amdhsa_exception_fp_ieee_div_zero 0
		.amdhsa_exception_fp_ieee_overflow 0
		.amdhsa_exception_fp_ieee_underflow 0
		.amdhsa_exception_fp_ieee_inexact 0
		.amdhsa_exception_int_div_zero 0
	.end_amdhsa_kernel
	.section	.text._ZL18rocblas_dot_kernelIlLb1ELi1024ELi32ELb1EdPKPKddEviT5_lT_lS4_lS5_liPT6_PT4_,"axG",@progbits,_ZL18rocblas_dot_kernelIlLb1ELi1024ELi32ELb1EdPKPKddEviT5_lT_lS4_lS5_liPT6_PT4_,comdat
.Lfunc_end646:
	.size	_ZL18rocblas_dot_kernelIlLb1ELi1024ELi32ELb1EdPKPKddEviT5_lT_lS4_lS5_liPT6_PT4_, .Lfunc_end646-_ZL18rocblas_dot_kernelIlLb1ELi1024ELi32ELb1EdPKPKddEviT5_lT_lS4_lS5_liPT6_PT4_
                                        ; -- End function
	.section	.AMDGPU.csdata,"",@progbits
; Kernel info:
; codeLenInByte = 1124
; NumSgprs: 30
; NumVgprs: 14
; NumAgprs: 0
; TotalNumVgprs: 14
; ScratchSize: 0
; MemoryBound: 0
; FloatMode: 240
; IeeeMode: 1
; LDSByteSize: 512 bytes/workgroup (compile time only)
; SGPRBlocks: 3
; VGPRBlocks: 1
; NumSGPRsForWavesPerEU: 30
; NumVGPRsForWavesPerEU: 14
; AccumOffset: 16
; Occupancy: 8
; WaveLimiterHint : 0
; COMPUTE_PGM_RSRC2:SCRATCH_EN: 0
; COMPUTE_PGM_RSRC2:USER_SGPR: 6
; COMPUTE_PGM_RSRC2:TRAP_HANDLER: 0
; COMPUTE_PGM_RSRC2:TGID_X_EN: 1
; COMPUTE_PGM_RSRC2:TGID_Y_EN: 0
; COMPUTE_PGM_RSRC2:TGID_Z_EN: 1
; COMPUTE_PGM_RSRC2:TIDIG_COMP_CNT: 0
; COMPUTE_PGM_RSRC3_GFX90A:ACCUM_OFFSET: 3
; COMPUTE_PGM_RSRC3_GFX90A:TG_SPLIT: 0
	.section	.text._ZL24rocblas_dot_kernel_magsqIlLb1ELi1024ELi32ELb1EdPKPKddEviT5_lT_liPT6_PT4_,"axG",@progbits,_ZL24rocblas_dot_kernel_magsqIlLb1ELi1024ELi32ELb1EdPKPKddEviT5_lT_liPT6_PT4_,comdat
	.globl	_ZL24rocblas_dot_kernel_magsqIlLb1ELi1024ELi32ELb1EdPKPKddEviT5_lT_liPT6_PT4_ ; -- Begin function _ZL24rocblas_dot_kernel_magsqIlLb1ELi1024ELi32ELb1EdPKPKddEviT5_lT_liPT6_PT4_
	.p2align	8
	.type	_ZL24rocblas_dot_kernel_magsqIlLb1ELi1024ELi32ELb1EdPKPKddEviT5_lT_liPT6_PT4_,@function
_ZL24rocblas_dot_kernel_magsqIlLb1ELi1024ELi32ELb1EdPKPKddEviT5_lT_liPT6_PT4_: ; @_ZL24rocblas_dot_kernel_magsqIlLb1ELi1024ELi32ELb1EdPKPKddEviT5_lT_liPT6_PT4_
; %bb.0:
	s_mov_b32 s2, s7
	s_load_dword s12, s[4:5], 0x0
	s_load_dwordx2 s[6:7], s[4:5], 0x38
	s_mov_b32 s3, 0
	v_pk_mov_b32 v[2:3], 0, 0
	s_waitcnt lgkmcnt(0)
	v_cmp_gt_i32_e32 vcc, s12, v0
	s_and_saveexec_b64 s[8:9], vcc
	s_cbranch_execz .LBB647_4
; %bb.1:
	s_load_dwordx2 s[0:1], s[4:5], 0x8
	s_load_dword s10, s[4:5], 0x40
	s_load_dwordx4 s[16:19], s[4:5], 0x10
	s_lshl_b64 s[4:5], s[2:3], 3
	s_waitcnt lgkmcnt(0)
	s_add_u32 s0, s0, s4
	s_addc_u32 s1, s1, s5
	s_load_dwordx2 s[0:1], s[0:1], 0x0
	v_mad_u64_u32 v[2:3], s[4:5], s18, v0, 0
	v_mov_b32_e32 v4, v3
	v_mad_u64_u32 v[4:5], s[4:5], s19, v0, v[4:5]
	s_lshl_b32 s13, s10, 10
	v_mov_b32_e32 v3, v4
	s_lshl_b64 s[4:5], s[16:17], 3
	v_lshlrev_b64 v[2:3], 3, v[2:3]
	s_waitcnt lgkmcnt(0)
	s_add_u32 s0, s0, s4
	s_addc_u32 s1, s1, s5
	v_add_co_u32_e32 v4, vcc, s0, v2
	s_ashr_i32 s0, s13, 31
	v_mov_b32_e32 v5, s1
	s_mul_i32 s0, s18, s0
	s_mul_hi_u32 s1, s18, s13
	s_add_i32 s0, s1, s0
	s_mul_i32 s1, s19, s13
	s_add_i32 s1, s0, s1
	s_mul_i32 s0, s18, s13
	s_lshl_b64 s[10:11], s[0:1], 3
	v_or_b32_e32 v1, s13, v0
	v_addc_co_u32_e32 v5, vcc, v5, v3, vcc
	s_mov_b64 s[4:5], 0
	v_pk_mov_b32 v[2:3], 0, 0
	v_mov_b32_e32 v6, s11
	s_mov_b32 s11, s3
.LBB647_2:                              ; =>This Inner Loop Header: Depth=1
	global_load_dwordx2 v[8:9], v[4:5], off
	s_add_i32 s14, s11, 1
	v_add_co_u32_e64 v4, s[0:1], s10, v4
	v_addc_co_u32_e64 v5, s[0:1], v5, v6, s[0:1]
	s_cmp_gt_u32 s11, 30
	v_cmp_le_i32_e32 vcc, s12, v1
	s_cselect_b64 s[0:1], -1, 0
	s_or_b64 s[0:1], s[0:1], vcc
	s_and_b64 s[0:1], exec, s[0:1]
	v_add_u32_e32 v1, s13, v1
	s_mov_b32 s11, s14
	s_or_b64 s[4:5], s[0:1], s[4:5]
	s_waitcnt vmcnt(0)
	v_fmac_f64_e32 v[2:3], v[8:9], v[8:9]
	s_andn2_b64 exec, exec, s[4:5]
	s_cbranch_execnz .LBB647_2
; %bb.3:
	s_or_b64 exec, exec, s[4:5]
.LBB647_4:
	s_or_b64 exec, exec, s[8:9]
	v_and_b32_e32 v6, 63, v0
	v_cmp_gt_u32_e32 vcc, 64, v0
	v_lshlrev_b32_e32 v1, 3, v6
	s_and_saveexec_b64 s[0:1], vcc
	s_cbranch_execz .LBB647_6
; %bb.5:
	v_mov_b32_e32 v4, 0
	v_mov_b32_e32 v5, v4
	ds_write_b64 v1, v[4:5]
.LBB647_6:
	s_or_b64 exec, exec, s[0:1]
	v_mbcnt_lo_u32_b32 v4, -1, 0
	v_mbcnt_hi_u32_b32 v10, -1, v4
	v_and_b32_e32 v11, 63, v10
	v_cmp_gt_u32_e64 s[0:1], 32, v11
	v_cndmask_b32_e64 v4, 0, 1, s[0:1]
	v_lshlrev_b32_e32 v4, 5, v4
	v_add_lshl_u32 v5, v4, v10, 2
	ds_bpermute_b32 v4, v5, v2
	ds_bpermute_b32 v5, v5, v3
	v_cmp_gt_u32_e64 s[0:1], 48, v11
	v_cndmask_b32_e64 v7, 0, 1, s[0:1]
	v_cmp_gt_u32_e64 s[0:1], 56, v11
	s_waitcnt lgkmcnt(0)
	v_add_f64 v[2:3], v[2:3], v[4:5]
	v_lshlrev_b32_e32 v4, 4, v7
	v_add_lshl_u32 v5, v4, v10, 2
	ds_bpermute_b32 v4, v5, v2
	ds_bpermute_b32 v5, v5, v3
	s_barrier
	s_waitcnt lgkmcnt(0)
	v_add_f64 v[2:3], v[2:3], v[4:5]
	v_cndmask_b32_e64 v4, 0, 1, s[0:1]
	v_lshlrev_b32_e32 v4, 3, v4
	v_add_lshl_u32 v7, v4, v10, 2
	ds_bpermute_b32 v4, v7, v2
	ds_bpermute_b32 v5, v7, v3
	v_cmp_gt_u32_e64 s[0:1], 60, v11
	s_waitcnt lgkmcnt(0)
	v_add_f64 v[2:3], v[2:3], v[4:5]
	v_cndmask_b32_e64 v4, 0, 1, s[0:1]
	v_lshlrev_b32_e32 v4, 2, v4
	v_add_lshl_u32 v8, v4, v10, 2
	ds_bpermute_b32 v4, v8, v2
	ds_bpermute_b32 v5, v8, v3
	v_cmp_gt_u32_e64 s[0:1], 62, v11
	s_waitcnt lgkmcnt(0)
	v_add_f64 v[2:3], v[2:3], v[4:5]
	v_cndmask_b32_e64 v4, 0, 1, s[0:1]
	v_lshlrev_b32_e32 v4, 1, v4
	v_add_lshl_u32 v9, v4, v10, 2
	ds_bpermute_b32 v4, v9, v2
	ds_bpermute_b32 v5, v9, v3
	v_cmp_ne_u32_e64 s[0:1], 63, v11
	s_waitcnt lgkmcnt(0)
	v_add_f64 v[2:3], v[2:3], v[4:5]
	v_addc_co_u32_e64 v4, s[0:1], 0, v10, s[0:1]
	v_lshlrev_b32_e32 v10, 2, v4
	ds_bpermute_b32 v4, v10, v2
	ds_bpermute_b32 v5, v10, v3
	v_cmp_eq_u32_e64 s[0:1], 0, v6
	s_and_saveexec_b64 s[4:5], s[0:1]
	s_cbranch_execz .LBB647_8
; %bb.7:
	s_waitcnt lgkmcnt(0)
	v_add_f64 v[2:3], v[2:3], v[4:5]
	v_lshrrev_b32_e32 v4, 3, v0
	v_and_b32_e32 v4, 0x78, v4
	ds_write_b64 v4, v[2:3]
.LBB647_8:
	s_or_b64 exec, exec, s[4:5]
	v_cmp_gt_u32_e64 s[0:1], 16, v0
	v_pk_mov_b32 v[2:3], 0, 0
	s_waitcnt lgkmcnt(0)
	s_barrier
	s_and_saveexec_b64 s[4:5], s[0:1]
	s_cbranch_execnz .LBB647_12
; %bb.9:
	s_or_b64 exec, exec, s[4:5]
	s_and_saveexec_b64 s[0:1], vcc
	s_cbranch_execnz .LBB647_13
.LBB647_10:
	s_or_b64 exec, exec, s[0:1]
	v_cmp_eq_u32_e32 vcc, 0, v0
	s_and_saveexec_b64 s[0:1], vcc
	s_cbranch_execnz .LBB647_14
.LBB647_11:
	s_endpgm
.LBB647_12:
	ds_read_b64 v[2:3], v1
	s_or_b64 exec, exec, s[4:5]
	s_and_saveexec_b64 s[0:1], vcc
	s_cbranch_execz .LBB647_10
.LBB647_13:
	s_waitcnt lgkmcnt(0)
	ds_bpermute_b32 v4, v7, v2
	ds_bpermute_b32 v5, v7, v3
	s_waitcnt lgkmcnt(0)
	v_add_f64 v[2:3], v[2:3], v[4:5]
	ds_bpermute_b32 v4, v8, v2
	ds_bpermute_b32 v5, v8, v3
	s_waitcnt lgkmcnt(0)
	v_add_f64 v[2:3], v[2:3], v[4:5]
	;; [unrolled: 4-line block ×4, first 2 shown]
	s_or_b64 exec, exec, s[0:1]
	v_cmp_eq_u32_e32 vcc, 0, v0
	s_and_saveexec_b64 s[0:1], vcc
	s_cbranch_execz .LBB647_11
.LBB647_14:
	s_lshl_b64 s[0:1], s[2:3], 3
	s_add_u32 s0, s6, s0
	s_addc_u32 s1, s7, s1
	v_mov_b32_e32 v0, 0
	s_waitcnt lgkmcnt(0)
	global_store_dwordx2 v0, v[2:3], s[0:1]
	s_endpgm
	.section	.rodata,"a",@progbits
	.p2align	6, 0x0
	.amdhsa_kernel _ZL24rocblas_dot_kernel_magsqIlLb1ELi1024ELi32ELb1EdPKPKddEviT5_lT_liPT6_PT4_
		.amdhsa_group_segment_fixed_size 512
		.amdhsa_private_segment_fixed_size 0
		.amdhsa_kernarg_size 320
		.amdhsa_user_sgpr_count 6
		.amdhsa_user_sgpr_private_segment_buffer 1
		.amdhsa_user_sgpr_dispatch_ptr 0
		.amdhsa_user_sgpr_queue_ptr 0
		.amdhsa_user_sgpr_kernarg_segment_ptr 1
		.amdhsa_user_sgpr_dispatch_id 0
		.amdhsa_user_sgpr_flat_scratch_init 0
		.amdhsa_user_sgpr_kernarg_preload_length 0
		.amdhsa_user_sgpr_kernarg_preload_offset 0
		.amdhsa_user_sgpr_private_segment_size 0
		.amdhsa_uses_dynamic_stack 0
		.amdhsa_system_sgpr_private_segment_wavefront_offset 0
		.amdhsa_system_sgpr_workgroup_id_x 1
		.amdhsa_system_sgpr_workgroup_id_y 0
		.amdhsa_system_sgpr_workgroup_id_z 1
		.amdhsa_system_sgpr_workgroup_info 0
		.amdhsa_system_vgpr_workitem_id 0
		.amdhsa_next_free_vgpr 12
		.amdhsa_next_free_sgpr 20
		.amdhsa_accum_offset 12
		.amdhsa_reserve_vcc 1
		.amdhsa_reserve_flat_scratch 0
		.amdhsa_float_round_mode_32 0
		.amdhsa_float_round_mode_16_64 0
		.amdhsa_float_denorm_mode_32 3
		.amdhsa_float_denorm_mode_16_64 3
		.amdhsa_dx10_clamp 1
		.amdhsa_ieee_mode 1
		.amdhsa_fp16_overflow 0
		.amdhsa_tg_split 0
		.amdhsa_exception_fp_ieee_invalid_op 0
		.amdhsa_exception_fp_denorm_src 0
		.amdhsa_exception_fp_ieee_div_zero 0
		.amdhsa_exception_fp_ieee_overflow 0
		.amdhsa_exception_fp_ieee_underflow 0
		.amdhsa_exception_fp_ieee_inexact 0
		.amdhsa_exception_int_div_zero 0
	.end_amdhsa_kernel
	.section	.text._ZL24rocblas_dot_kernel_magsqIlLb1ELi1024ELi32ELb1EdPKPKddEviT5_lT_liPT6_PT4_,"axG",@progbits,_ZL24rocblas_dot_kernel_magsqIlLb1ELi1024ELi32ELb1EdPKPKddEviT5_lT_liPT6_PT4_,comdat
.Lfunc_end647:
	.size	_ZL24rocblas_dot_kernel_magsqIlLb1ELi1024ELi32ELb1EdPKPKddEviT5_lT_liPT6_PT4_, .Lfunc_end647-_ZL24rocblas_dot_kernel_magsqIlLb1ELi1024ELi32ELb1EdPKPKddEviT5_lT_liPT6_PT4_
                                        ; -- End function
	.section	.AMDGPU.csdata,"",@progbits
; Kernel info:
; codeLenInByte = 980
; NumSgprs: 24
; NumVgprs: 12
; NumAgprs: 0
; TotalNumVgprs: 12
; ScratchSize: 0
; MemoryBound: 0
; FloatMode: 240
; IeeeMode: 1
; LDSByteSize: 512 bytes/workgroup (compile time only)
; SGPRBlocks: 2
; VGPRBlocks: 1
; NumSGPRsForWavesPerEU: 24
; NumVGPRsForWavesPerEU: 12
; AccumOffset: 12
; Occupancy: 8
; WaveLimiterHint : 0
; COMPUTE_PGM_RSRC2:SCRATCH_EN: 0
; COMPUTE_PGM_RSRC2:USER_SGPR: 6
; COMPUTE_PGM_RSRC2:TRAP_HANDLER: 0
; COMPUTE_PGM_RSRC2:TGID_X_EN: 1
; COMPUTE_PGM_RSRC2:TGID_Y_EN: 0
; COMPUTE_PGM_RSRC2:TGID_Z_EN: 1
; COMPUTE_PGM_RSRC2:TIDIG_COMP_CNT: 0
; COMPUTE_PGM_RSRC3_GFX90A:ACCUM_OFFSET: 2
; COMPUTE_PGM_RSRC3_GFX90A:TG_SPLIT: 0
	.section	.text._ZL18rocblas_dot_kernelIlLb0ELi512ELi2ELb1EdPKPKddEviT5_lT_lS4_lS5_liPT6_PT4_,"axG",@progbits,_ZL18rocblas_dot_kernelIlLb0ELi512ELi2ELb1EdPKPKddEviT5_lT_lS4_lS5_liPT6_PT4_,comdat
	.globl	_ZL18rocblas_dot_kernelIlLb0ELi512ELi2ELb1EdPKPKddEviT5_lT_lS4_lS5_liPT6_PT4_ ; -- Begin function _ZL18rocblas_dot_kernelIlLb0ELi512ELi2ELb1EdPKPKddEviT5_lT_lS4_lS5_liPT6_PT4_
	.p2align	8
	.type	_ZL18rocblas_dot_kernelIlLb0ELi512ELi2ELb1EdPKPKddEviT5_lT_lS4_lS5_liPT6_PT4_,@function
_ZL18rocblas_dot_kernelIlLb0ELi512ELi2ELb1EdPKPKddEviT5_lT_lS4_lS5_liPT6_PT4_: ; @_ZL18rocblas_dot_kernelIlLb0ELi512ELi2ELb1EdPKPKddEviT5_lT_lS4_lS5_liPT6_PT4_
; %bb.0:
	s_mov_b32 s12, s7
	s_load_dword s7, s[4:5], 0x0
	s_load_dword s16, s[4:5], 0x60
	v_lshl_or_b32 v1, s6, 9, v0
	s_mov_b32 s13, 0
	v_pk_mov_b32 v[2:3], 0, 0
	s_waitcnt lgkmcnt(0)
	v_cmp_gt_i32_e32 vcc, s7, v1
	s_and_saveexec_b64 s[14:15], vcc
	s_cbranch_execz .LBB648_4
; %bb.1:
	s_load_dwordx2 s[18:19], s[4:5], 0x8
	s_load_dwordx4 s[0:3], s[4:5], 0x10
	s_load_dwordx2 s[20:21], s[4:5], 0x28
	s_load_dwordx4 s[8:11], s[4:5], 0x30
	s_lshl_b64 s[22:23], s[12:13], 3
	s_waitcnt lgkmcnt(0)
	s_add_u32 s18, s18, s22
	s_addc_u32 s19, s19, s23
	s_load_dwordx2 s[18:19], s[18:19], 0x0
	s_lshl_b64 s[0:1], s[0:1], 3
	v_ashrrev_i32_e32 v4, 31, v1
	v_mul_lo_u32 v5, v1, s11
	v_mul_lo_u32 v6, v4, s10
	s_waitcnt lgkmcnt(0)
	s_add_u32 s17, s18, s0
	s_addc_u32 s18, s19, s1
	s_add_u32 s0, s20, s22
	s_addc_u32 s1, s21, s23
	s_load_dwordx2 s[0:1], s[0:1], 0x0
	v_mad_u64_u32 v[2:3], s[20:21], v1, s10, 0
	s_lshl_b64 s[8:9], s[8:9], 3
	v_add3_u32 v3, v3, v5, v6
	s_waitcnt lgkmcnt(0)
	s_add_u32 s8, s0, s8
	s_addc_u32 s9, s1, s9
	v_lshlrev_b64 v[2:3], 3, v[2:3]
	v_mov_b32_e32 v5, s9
	v_add_co_u32_e32 v2, vcc, s8, v2
	v_addc_co_u32_e32 v3, vcc, v5, v3, vcc
	v_mul_lo_u32 v6, v1, s3
	v_mul_lo_u32 v7, v4, s2
	v_mad_u64_u32 v[4:5], s[0:1], v1, s2, 0
	v_add3_u32 v5, v5, v6, v7
	v_lshlrev_b64 v[4:5], 3, v[4:5]
	v_mov_b32_e32 v1, s18
	v_add_co_u32_e32 v4, vcc, s17, v4
	v_addc_co_u32_e32 v5, vcc, v1, v5, vcc
	global_load_dwordx2 v[6:7], v[4:5], off
	global_load_dwordx2 v[8:9], v[2:3], off
	s_add_i32 s0, s6, s16
	v_lshl_or_b32 v1, s0, 9, v0
	v_cmp_gt_i32_e32 vcc, s7, v1
	s_waitcnt vmcnt(0)
	v_fma_f64 v[2:3], v[8:9], v[6:7], 0
	s_and_saveexec_b64 s[0:1], vcc
	s_cbranch_execz .LBB648_3
; %bb.2:
	v_ashrrev_i32_e32 v6, 31, v1
	v_mul_lo_u32 v7, v1, s11
	v_mul_lo_u32 v8, v6, s10
	v_mad_u64_u32 v[4:5], s[10:11], v1, s10, 0
	v_add3_u32 v5, v5, v7, v8
	v_lshlrev_b64 v[4:5], 3, v[4:5]
	v_mov_b32_e32 v7, s9
	v_add_co_u32_e32 v4, vcc, s8, v4
	v_addc_co_u32_e32 v5, vcc, v7, v5, vcc
	v_mul_lo_u32 v8, v1, s3
	v_mul_lo_u32 v9, v6, s2
	v_mad_u64_u32 v[6:7], s[2:3], v1, s2, 0
	v_add3_u32 v7, v7, v8, v9
	v_lshlrev_b64 v[6:7], 3, v[6:7]
	v_mov_b32_e32 v1, s18
	v_add_co_u32_e32 v6, vcc, s17, v6
	v_addc_co_u32_e32 v7, vcc, v1, v7, vcc
	global_load_dwordx2 v[4:5], v[4:5], off
	s_nop 0
	global_load_dwordx2 v[6:7], v[6:7], off
	s_waitcnt vmcnt(0)
	v_fmac_f64_e32 v[2:3], v[4:5], v[6:7]
.LBB648_3:
	s_or_b64 exec, exec, s[0:1]
.LBB648_4:
	s_or_b64 exec, exec, s[14:15]
	v_and_b32_e32 v6, 63, v0
	v_cmp_gt_u32_e32 vcc, 64, v0
	v_lshlrev_b32_e32 v1, 3, v6
	s_and_saveexec_b64 s[0:1], vcc
	s_cbranch_execz .LBB648_6
; %bb.5:
	v_mov_b32_e32 v4, 0
	v_mov_b32_e32 v5, v4
	ds_write_b64 v1, v[4:5]
.LBB648_6:
	s_or_b64 exec, exec, s[0:1]
	v_mbcnt_lo_u32_b32 v4, -1, 0
	v_mbcnt_hi_u32_b32 v9, -1, v4
	v_and_b32_e32 v10, 63, v9
	v_cmp_gt_u32_e64 s[0:1], 32, v10
	v_cndmask_b32_e64 v4, 0, 1, s[0:1]
	v_lshlrev_b32_e32 v4, 5, v4
	v_add_lshl_u32 v5, v4, v9, 2
	ds_bpermute_b32 v4, v5, v2
	ds_bpermute_b32 v5, v5, v3
	v_cmp_gt_u32_e64 s[0:1], 48, v10
	v_cndmask_b32_e64 v7, 0, 1, s[0:1]
	v_cmp_gt_u32_e64 s[0:1], 56, v10
	s_waitcnt lgkmcnt(0)
	v_add_f64 v[2:3], v[2:3], v[4:5]
	v_lshlrev_b32_e32 v4, 4, v7
	v_add_lshl_u32 v5, v4, v9, 2
	ds_bpermute_b32 v4, v5, v2
	ds_bpermute_b32 v5, v5, v3
	s_barrier
	s_waitcnt lgkmcnt(0)
	v_add_f64 v[2:3], v[2:3], v[4:5]
	v_cndmask_b32_e64 v4, 0, 1, s[0:1]
	v_lshlrev_b32_e32 v4, 3, v4
	v_add_lshl_u32 v5, v4, v9, 2
	ds_bpermute_b32 v4, v5, v2
	ds_bpermute_b32 v5, v5, v3
	v_cmp_gt_u32_e64 s[0:1], 60, v10
	s_waitcnt lgkmcnt(0)
	v_add_f64 v[2:3], v[2:3], v[4:5]
	v_cndmask_b32_e64 v4, 0, 1, s[0:1]
	v_lshlrev_b32_e32 v4, 2, v4
	v_add_lshl_u32 v7, v4, v9, 2
	ds_bpermute_b32 v4, v7, v2
	ds_bpermute_b32 v5, v7, v3
	v_cmp_gt_u32_e64 s[0:1], 62, v10
	s_waitcnt lgkmcnt(0)
	v_add_f64 v[2:3], v[2:3], v[4:5]
	v_cndmask_b32_e64 v4, 0, 1, s[0:1]
	v_lshlrev_b32_e32 v4, 1, v4
	v_add_lshl_u32 v8, v4, v9, 2
	ds_bpermute_b32 v4, v8, v2
	ds_bpermute_b32 v5, v8, v3
	v_cmp_ne_u32_e64 s[0:1], 63, v10
	s_waitcnt lgkmcnt(0)
	v_add_f64 v[2:3], v[2:3], v[4:5]
	v_addc_co_u32_e64 v4, s[0:1], 0, v9, s[0:1]
	v_lshlrev_b32_e32 v9, 2, v4
	ds_bpermute_b32 v4, v9, v2
	ds_bpermute_b32 v5, v9, v3
	v_cmp_eq_u32_e64 s[0:1], 0, v6
	s_and_saveexec_b64 s[2:3], s[0:1]
	s_cbranch_execz .LBB648_8
; %bb.7:
	s_waitcnt lgkmcnt(0)
	v_add_f64 v[2:3], v[2:3], v[4:5]
	v_lshrrev_b32_e32 v4, 3, v0
	v_and_b32_e32 v4, 56, v4
	ds_write_b64 v4, v[2:3]
.LBB648_8:
	s_or_b64 exec, exec, s[2:3]
	v_cmp_gt_u32_e64 s[0:1], 8, v0
	v_pk_mov_b32 v[2:3], 0, 0
	s_waitcnt lgkmcnt(0)
	s_barrier
	s_and_saveexec_b64 s[2:3], s[0:1]
	s_cbranch_execnz .LBB648_12
; %bb.9:
	s_or_b64 exec, exec, s[2:3]
	s_and_saveexec_b64 s[0:1], vcc
	s_cbranch_execnz .LBB648_13
.LBB648_10:
	s_or_b64 exec, exec, s[0:1]
	v_cmp_eq_u32_e32 vcc, 0, v0
	s_and_saveexec_b64 s[0:1], vcc
	s_cbranch_execnz .LBB648_14
.LBB648_11:
	s_endpgm
.LBB648_12:
	ds_read_b64 v[2:3], v1
	s_or_b64 exec, exec, s[2:3]
	s_and_saveexec_b64 s[0:1], vcc
	s_cbranch_execz .LBB648_10
.LBB648_13:
	s_waitcnt lgkmcnt(0)
	ds_bpermute_b32 v4, v7, v2
	ds_bpermute_b32 v5, v7, v3
	s_waitcnt lgkmcnt(0)
	v_add_f64 v[2:3], v[2:3], v[4:5]
	ds_bpermute_b32 v4, v8, v2
	ds_bpermute_b32 v5, v8, v3
	s_waitcnt lgkmcnt(0)
	v_add_f64 v[2:3], v[2:3], v[4:5]
	ds_bpermute_b32 v4, v9, v2
	ds_bpermute_b32 v5, v9, v3
	s_waitcnt lgkmcnt(0)
	v_add_f64 v[2:3], v[2:3], v[4:5]
	s_or_b64 exec, exec, s[0:1]
	v_cmp_eq_u32_e32 vcc, 0, v0
	s_and_saveexec_b64 s[0:1], vcc
	s_cbranch_execz .LBB648_11
.LBB648_14:
	s_cmp_lg_u32 s16, 1
	s_cbranch_scc0 .LBB648_16
; %bb.15:
	s_load_dwordx2 s[0:1], s[4:5], 0x50
	s_mul_hi_u32 s3, s16, s12
	s_mul_i32 s2, s16, s12
	s_lshl_b64 s[2:3], s[2:3], 3
	s_mov_b32 s7, 0
	s_waitcnt lgkmcnt(0)
	s_add_u32 s2, s0, s2
	s_addc_u32 s3, s1, s3
	s_lshl_b64 s[0:1], s[6:7], 3
	s_add_u32 s0, s2, s0
	s_addc_u32 s1, s3, s1
	s_cbranch_execz .LBB648_17
	s_branch .LBB648_18
.LBB648_16:
                                        ; implicit-def: $sgpr0_sgpr1
.LBB648_17:
	s_load_dwordx2 s[0:1], s[4:5], 0x58
	s_lshl_b64 s[2:3], s[12:13], 3
	s_waitcnt lgkmcnt(0)
	s_add_u32 s0, s0, s2
	s_addc_u32 s1, s1, s3
.LBB648_18:
	v_mov_b32_e32 v0, 0
	s_waitcnt lgkmcnt(0)
	global_store_dwordx2 v0, v[2:3], s[0:1]
	s_endpgm
	.section	.rodata,"a",@progbits
	.p2align	6, 0x0
	.amdhsa_kernel _ZL18rocblas_dot_kernelIlLb0ELi512ELi2ELb1EdPKPKddEviT5_lT_lS4_lS5_liPT6_PT4_
		.amdhsa_group_segment_fixed_size 512
		.amdhsa_private_segment_fixed_size 0
		.amdhsa_kernarg_size 352
		.amdhsa_user_sgpr_count 6
		.amdhsa_user_sgpr_private_segment_buffer 1
		.amdhsa_user_sgpr_dispatch_ptr 0
		.amdhsa_user_sgpr_queue_ptr 0
		.amdhsa_user_sgpr_kernarg_segment_ptr 1
		.amdhsa_user_sgpr_dispatch_id 0
		.amdhsa_user_sgpr_flat_scratch_init 0
		.amdhsa_user_sgpr_kernarg_preload_length 0
		.amdhsa_user_sgpr_kernarg_preload_offset 0
		.amdhsa_user_sgpr_private_segment_size 0
		.amdhsa_uses_dynamic_stack 0
		.amdhsa_system_sgpr_private_segment_wavefront_offset 0
		.amdhsa_system_sgpr_workgroup_id_x 1
		.amdhsa_system_sgpr_workgroup_id_y 0
		.amdhsa_system_sgpr_workgroup_id_z 1
		.amdhsa_system_sgpr_workgroup_info 0
		.amdhsa_system_vgpr_workitem_id 0
		.amdhsa_next_free_vgpr 11
		.amdhsa_next_free_sgpr 24
		.amdhsa_accum_offset 12
		.amdhsa_reserve_vcc 1
		.amdhsa_reserve_flat_scratch 0
		.amdhsa_float_round_mode_32 0
		.amdhsa_float_round_mode_16_64 0
		.amdhsa_float_denorm_mode_32 3
		.amdhsa_float_denorm_mode_16_64 3
		.amdhsa_dx10_clamp 1
		.amdhsa_ieee_mode 1
		.amdhsa_fp16_overflow 0
		.amdhsa_tg_split 0
		.amdhsa_exception_fp_ieee_invalid_op 0
		.amdhsa_exception_fp_denorm_src 0
		.amdhsa_exception_fp_ieee_div_zero 0
		.amdhsa_exception_fp_ieee_overflow 0
		.amdhsa_exception_fp_ieee_underflow 0
		.amdhsa_exception_fp_ieee_inexact 0
		.amdhsa_exception_int_div_zero 0
	.end_amdhsa_kernel
	.section	.text._ZL18rocblas_dot_kernelIlLb0ELi512ELi2ELb1EdPKPKddEviT5_lT_lS4_lS5_liPT6_PT4_,"axG",@progbits,_ZL18rocblas_dot_kernelIlLb0ELi512ELi2ELb1EdPKPKddEviT5_lT_lS4_lS5_liPT6_PT4_,comdat
.Lfunc_end648:
	.size	_ZL18rocblas_dot_kernelIlLb0ELi512ELi2ELb1EdPKPKddEviT5_lT_lS4_lS5_liPT6_PT4_, .Lfunc_end648-_ZL18rocblas_dot_kernelIlLb0ELi512ELi2ELb1EdPKPKddEviT5_lT_lS4_lS5_liPT6_PT4_
                                        ; -- End function
	.section	.AMDGPU.csdata,"",@progbits
; Kernel info:
; codeLenInByte = 1188
; NumSgprs: 28
; NumVgprs: 11
; NumAgprs: 0
; TotalNumVgprs: 11
; ScratchSize: 0
; MemoryBound: 0
; FloatMode: 240
; IeeeMode: 1
; LDSByteSize: 512 bytes/workgroup (compile time only)
; SGPRBlocks: 3
; VGPRBlocks: 1
; NumSGPRsForWavesPerEU: 28
; NumVGPRsForWavesPerEU: 11
; AccumOffset: 12
; Occupancy: 8
; WaveLimiterHint : 1
; COMPUTE_PGM_RSRC2:SCRATCH_EN: 0
; COMPUTE_PGM_RSRC2:USER_SGPR: 6
; COMPUTE_PGM_RSRC2:TRAP_HANDLER: 0
; COMPUTE_PGM_RSRC2:TGID_X_EN: 1
; COMPUTE_PGM_RSRC2:TGID_Y_EN: 0
; COMPUTE_PGM_RSRC2:TGID_Z_EN: 1
; COMPUTE_PGM_RSRC2:TIDIG_COMP_CNT: 0
; COMPUTE_PGM_RSRC3_GFX90A:ACCUM_OFFSET: 2
; COMPUTE_PGM_RSRC3_GFX90A:TG_SPLIT: 0
	.section	.text._ZL24rocblas_dot_kernel_magsqIlLb0ELi512ELi2ELb1EdPKPKddEviT5_lT_liPT6_PT4_,"axG",@progbits,_ZL24rocblas_dot_kernel_magsqIlLb0ELi512ELi2ELb1EdPKPKddEviT5_lT_liPT6_PT4_,comdat
	.globl	_ZL24rocblas_dot_kernel_magsqIlLb0ELi512ELi2ELb1EdPKPKddEviT5_lT_liPT6_PT4_ ; -- Begin function _ZL24rocblas_dot_kernel_magsqIlLb0ELi512ELi2ELb1EdPKPKddEviT5_lT_liPT6_PT4_
	.p2align	8
	.type	_ZL24rocblas_dot_kernel_magsqIlLb0ELi512ELi2ELb1EdPKPKddEviT5_lT_liPT6_PT4_,@function
_ZL24rocblas_dot_kernel_magsqIlLb0ELi512ELi2ELb1EdPKPKddEviT5_lT_liPT6_PT4_: ; @_ZL24rocblas_dot_kernel_magsqIlLb0ELi512ELi2ELb1EdPKPKddEviT5_lT_liPT6_PT4_
; %bb.0:
	s_mov_b32 s8, s7
	s_load_dword s7, s[4:5], 0x0
	s_load_dword s12, s[4:5], 0x40
	v_lshl_or_b32 v1, s6, 9, v0
	s_mov_b32 s9, 0
	v_pk_mov_b32 v[2:3], 0, 0
	s_waitcnt lgkmcnt(0)
	v_cmp_gt_i32_e32 vcc, s7, v1
	s_and_saveexec_b64 s[10:11], vcc
	s_cbranch_execz .LBB649_4
; %bb.1:
	s_load_dwordx2 s[14:15], s[4:5], 0x8
	s_load_dwordx4 s[0:3], s[4:5], 0x10
	s_lshl_b64 s[16:17], s[8:9], 3
	v_ashrrev_i32_e32 v2, 31, v1
	s_waitcnt lgkmcnt(0)
	s_add_u32 s14, s14, s16
	s_addc_u32 s15, s15, s17
	s_load_dwordx2 s[14:15], s[14:15], 0x0
	v_mul_lo_u32 v4, v1, s3
	v_mul_lo_u32 v5, v2, s2
	v_mad_u64_u32 v[2:3], s[16:17], v1, s2, 0
	s_lshl_b64 s[0:1], s[0:1], 3
	s_waitcnt lgkmcnt(0)
	s_add_u32 s13, s14, s0
	v_add3_u32 v3, v3, v4, v5
	s_addc_u32 s14, s15, s1
	v_lshlrev_b64 v[2:3], 3, v[2:3]
	v_mov_b32_e32 v1, s14
	v_add_co_u32_e32 v2, vcc, s13, v2
	v_addc_co_u32_e32 v3, vcc, v1, v3, vcc
	global_load_dwordx2 v[2:3], v[2:3], off
	s_add_i32 s0, s6, s12
	v_lshl_or_b32 v1, s0, 9, v0
	v_cmp_gt_i32_e32 vcc, s7, v1
	s_waitcnt vmcnt(0)
	v_mul_f64 v[2:3], v[2:3], v[2:3]
	s_and_saveexec_b64 s[0:1], vcc
	s_cbranch_execz .LBB649_3
; %bb.2:
	v_ashrrev_i32_e32 v4, 31, v1
	v_mul_lo_u32 v6, v1, s3
	v_mul_lo_u32 v7, v4, s2
	v_mad_u64_u32 v[4:5], s[2:3], v1, s2, 0
	v_add3_u32 v5, v5, v6, v7
	v_lshlrev_b64 v[4:5], 3, v[4:5]
	v_mov_b32_e32 v1, s14
	v_add_co_u32_e32 v4, vcc, s13, v4
	v_addc_co_u32_e32 v5, vcc, v1, v5, vcc
	global_load_dwordx2 v[4:5], v[4:5], off
	s_waitcnt vmcnt(0)
	v_fmac_f64_e32 v[2:3], v[4:5], v[4:5]
.LBB649_3:
	s_or_b64 exec, exec, s[0:1]
.LBB649_4:
	s_or_b64 exec, exec, s[10:11]
	v_and_b32_e32 v6, 63, v0
	v_cmp_gt_u32_e32 vcc, 64, v0
	v_lshlrev_b32_e32 v1, 3, v6
	s_and_saveexec_b64 s[0:1], vcc
	s_cbranch_execz .LBB649_6
; %bb.5:
	v_mov_b32_e32 v4, 0
	v_mov_b32_e32 v5, v4
	ds_write_b64 v1, v[4:5]
.LBB649_6:
	s_or_b64 exec, exec, s[0:1]
	v_mbcnt_lo_u32_b32 v4, -1, 0
	v_mbcnt_hi_u32_b32 v9, -1, v4
	v_and_b32_e32 v10, 63, v9
	v_cmp_gt_u32_e64 s[0:1], 32, v10
	v_cndmask_b32_e64 v4, 0, 1, s[0:1]
	v_lshlrev_b32_e32 v4, 5, v4
	v_add_lshl_u32 v5, v4, v9, 2
	ds_bpermute_b32 v4, v5, v2
	ds_bpermute_b32 v5, v5, v3
	v_cmp_gt_u32_e64 s[0:1], 48, v10
	v_cndmask_b32_e64 v7, 0, 1, s[0:1]
	v_cmp_gt_u32_e64 s[0:1], 56, v10
	s_waitcnt lgkmcnt(0)
	v_add_f64 v[2:3], v[2:3], v[4:5]
	v_lshlrev_b32_e32 v4, 4, v7
	v_add_lshl_u32 v5, v4, v9, 2
	ds_bpermute_b32 v4, v5, v2
	ds_bpermute_b32 v5, v5, v3
	s_barrier
	s_waitcnt lgkmcnt(0)
	v_add_f64 v[2:3], v[2:3], v[4:5]
	v_cndmask_b32_e64 v4, 0, 1, s[0:1]
	v_lshlrev_b32_e32 v4, 3, v4
	v_add_lshl_u32 v5, v4, v9, 2
	ds_bpermute_b32 v4, v5, v2
	ds_bpermute_b32 v5, v5, v3
	v_cmp_gt_u32_e64 s[0:1], 60, v10
	s_waitcnt lgkmcnt(0)
	v_add_f64 v[2:3], v[2:3], v[4:5]
	v_cndmask_b32_e64 v4, 0, 1, s[0:1]
	v_lshlrev_b32_e32 v4, 2, v4
	v_add_lshl_u32 v7, v4, v9, 2
	ds_bpermute_b32 v4, v7, v2
	ds_bpermute_b32 v5, v7, v3
	v_cmp_gt_u32_e64 s[0:1], 62, v10
	s_waitcnt lgkmcnt(0)
	v_add_f64 v[2:3], v[2:3], v[4:5]
	v_cndmask_b32_e64 v4, 0, 1, s[0:1]
	v_lshlrev_b32_e32 v4, 1, v4
	v_add_lshl_u32 v8, v4, v9, 2
	ds_bpermute_b32 v4, v8, v2
	ds_bpermute_b32 v5, v8, v3
	v_cmp_ne_u32_e64 s[0:1], 63, v10
	s_waitcnt lgkmcnt(0)
	v_add_f64 v[2:3], v[2:3], v[4:5]
	v_addc_co_u32_e64 v4, s[0:1], 0, v9, s[0:1]
	v_lshlrev_b32_e32 v9, 2, v4
	ds_bpermute_b32 v4, v9, v2
	ds_bpermute_b32 v5, v9, v3
	v_cmp_eq_u32_e64 s[0:1], 0, v6
	s_and_saveexec_b64 s[2:3], s[0:1]
	s_cbranch_execz .LBB649_8
; %bb.7:
	s_waitcnt lgkmcnt(0)
	v_add_f64 v[2:3], v[2:3], v[4:5]
	v_lshrrev_b32_e32 v4, 3, v0
	v_and_b32_e32 v4, 56, v4
	ds_write_b64 v4, v[2:3]
.LBB649_8:
	s_or_b64 exec, exec, s[2:3]
	v_cmp_gt_u32_e64 s[0:1], 8, v0
	v_pk_mov_b32 v[2:3], 0, 0
	s_waitcnt lgkmcnt(0)
	s_barrier
	s_and_saveexec_b64 s[2:3], s[0:1]
	s_cbranch_execnz .LBB649_12
; %bb.9:
	s_or_b64 exec, exec, s[2:3]
	s_and_saveexec_b64 s[0:1], vcc
	s_cbranch_execnz .LBB649_13
.LBB649_10:
	s_or_b64 exec, exec, s[0:1]
	v_cmp_eq_u32_e32 vcc, 0, v0
	s_and_saveexec_b64 s[0:1], vcc
	s_cbranch_execnz .LBB649_14
.LBB649_11:
	s_endpgm
.LBB649_12:
	ds_read_b64 v[2:3], v1
	s_or_b64 exec, exec, s[2:3]
	s_and_saveexec_b64 s[0:1], vcc
	s_cbranch_execz .LBB649_10
.LBB649_13:
	s_waitcnt lgkmcnt(0)
	ds_bpermute_b32 v4, v7, v2
	ds_bpermute_b32 v5, v7, v3
	s_waitcnt lgkmcnt(0)
	v_add_f64 v[2:3], v[2:3], v[4:5]
	ds_bpermute_b32 v4, v8, v2
	ds_bpermute_b32 v5, v8, v3
	s_waitcnt lgkmcnt(0)
	v_add_f64 v[2:3], v[2:3], v[4:5]
	;; [unrolled: 4-line block ×3, first 2 shown]
	s_or_b64 exec, exec, s[0:1]
	v_cmp_eq_u32_e32 vcc, 0, v0
	s_and_saveexec_b64 s[0:1], vcc
	s_cbranch_execz .LBB649_11
.LBB649_14:
	s_cmp_lg_u32 s12, 1
	s_cbranch_scc0 .LBB649_16
; %bb.15:
	s_load_dwordx2 s[0:1], s[4:5], 0x30
	s_mul_hi_u32 s3, s12, s8
	s_mul_i32 s2, s12, s8
	s_lshl_b64 s[2:3], s[2:3], 3
	s_mov_b32 s7, 0
	s_waitcnt lgkmcnt(0)
	s_add_u32 s2, s0, s2
	s_addc_u32 s3, s1, s3
	s_lshl_b64 s[0:1], s[6:7], 3
	s_add_u32 s0, s2, s0
	s_addc_u32 s1, s3, s1
	s_cbranch_execz .LBB649_17
	s_branch .LBB649_18
.LBB649_16:
                                        ; implicit-def: $sgpr0_sgpr1
.LBB649_17:
	s_load_dwordx2 s[0:1], s[4:5], 0x38
	s_lshl_b64 s[2:3], s[8:9], 3
	s_waitcnt lgkmcnt(0)
	s_add_u32 s0, s0, s2
	s_addc_u32 s1, s1, s3
.LBB649_18:
	v_mov_b32_e32 v0, 0
	s_waitcnt lgkmcnt(0)
	global_store_dwordx2 v0, v[2:3], s[0:1]
	s_endpgm
	.section	.rodata,"a",@progbits
	.p2align	6, 0x0
	.amdhsa_kernel _ZL24rocblas_dot_kernel_magsqIlLb0ELi512ELi2ELb1EdPKPKddEviT5_lT_liPT6_PT4_
		.amdhsa_group_segment_fixed_size 512
		.amdhsa_private_segment_fixed_size 0
		.amdhsa_kernarg_size 320
		.amdhsa_user_sgpr_count 6
		.amdhsa_user_sgpr_private_segment_buffer 1
		.amdhsa_user_sgpr_dispatch_ptr 0
		.amdhsa_user_sgpr_queue_ptr 0
		.amdhsa_user_sgpr_kernarg_segment_ptr 1
		.amdhsa_user_sgpr_dispatch_id 0
		.amdhsa_user_sgpr_flat_scratch_init 0
		.amdhsa_user_sgpr_kernarg_preload_length 0
		.amdhsa_user_sgpr_kernarg_preload_offset 0
		.amdhsa_user_sgpr_private_segment_size 0
		.amdhsa_uses_dynamic_stack 0
		.amdhsa_system_sgpr_private_segment_wavefront_offset 0
		.amdhsa_system_sgpr_workgroup_id_x 1
		.amdhsa_system_sgpr_workgroup_id_y 0
		.amdhsa_system_sgpr_workgroup_id_z 1
		.amdhsa_system_sgpr_workgroup_info 0
		.amdhsa_system_vgpr_workitem_id 0
		.amdhsa_next_free_vgpr 11
		.amdhsa_next_free_sgpr 18
		.amdhsa_accum_offset 12
		.amdhsa_reserve_vcc 1
		.amdhsa_reserve_flat_scratch 0
		.amdhsa_float_round_mode_32 0
		.amdhsa_float_round_mode_16_64 0
		.amdhsa_float_denorm_mode_32 3
		.amdhsa_float_denorm_mode_16_64 3
		.amdhsa_dx10_clamp 1
		.amdhsa_ieee_mode 1
		.amdhsa_fp16_overflow 0
		.amdhsa_tg_split 0
		.amdhsa_exception_fp_ieee_invalid_op 0
		.amdhsa_exception_fp_denorm_src 0
		.amdhsa_exception_fp_ieee_div_zero 0
		.amdhsa_exception_fp_ieee_overflow 0
		.amdhsa_exception_fp_ieee_underflow 0
		.amdhsa_exception_fp_ieee_inexact 0
		.amdhsa_exception_int_div_zero 0
	.end_amdhsa_kernel
	.section	.text._ZL24rocblas_dot_kernel_magsqIlLb0ELi512ELi2ELb1EdPKPKddEviT5_lT_liPT6_PT4_,"axG",@progbits,_ZL24rocblas_dot_kernel_magsqIlLb0ELi512ELi2ELb1EdPKPKddEviT5_lT_liPT6_PT4_,comdat
.Lfunc_end649:
	.size	_ZL24rocblas_dot_kernel_magsqIlLb0ELi512ELi2ELb1EdPKPKddEviT5_lT_liPT6_PT4_, .Lfunc_end649-_ZL24rocblas_dot_kernel_magsqIlLb0ELi512ELi2ELb1EdPKPKddEviT5_lT_liPT6_PT4_
                                        ; -- End function
	.section	.AMDGPU.csdata,"",@progbits
; Kernel info:
; codeLenInByte = 1016
; NumSgprs: 22
; NumVgprs: 11
; NumAgprs: 0
; TotalNumVgprs: 11
; ScratchSize: 0
; MemoryBound: 0
; FloatMode: 240
; IeeeMode: 1
; LDSByteSize: 512 bytes/workgroup (compile time only)
; SGPRBlocks: 2
; VGPRBlocks: 1
; NumSGPRsForWavesPerEU: 22
; NumVGPRsForWavesPerEU: 11
; AccumOffset: 12
; Occupancy: 8
; WaveLimiterHint : 1
; COMPUTE_PGM_RSRC2:SCRATCH_EN: 0
; COMPUTE_PGM_RSRC2:USER_SGPR: 6
; COMPUTE_PGM_RSRC2:TRAP_HANDLER: 0
; COMPUTE_PGM_RSRC2:TGID_X_EN: 1
; COMPUTE_PGM_RSRC2:TGID_Y_EN: 0
; COMPUTE_PGM_RSRC2:TGID_Z_EN: 1
; COMPUTE_PGM_RSRC2:TIDIG_COMP_CNT: 0
; COMPUTE_PGM_RSRC3_GFX90A:ACCUM_OFFSET: 2
; COMPUTE_PGM_RSRC3_GFX90A:TG_SPLIT: 0
	.text
	.p2alignl 6, 3212836864
	.fill 256, 4, 3212836864
	.type	__hip_cuid_de5d87e4e00dbce7,@object ; @__hip_cuid_de5d87e4e00dbce7
	.section	.bss,"aw",@nobits
	.globl	__hip_cuid_de5d87e4e00dbce7
__hip_cuid_de5d87e4e00dbce7:
	.byte	0                               ; 0x0
	.size	__hip_cuid_de5d87e4e00dbce7, 1

	.ident	"AMD clang version 19.0.0git (https://github.com/RadeonOpenCompute/llvm-project roc-6.4.0 25133 c7fe45cf4b819c5991fe208aaa96edf142730f1d)"
	.section	".note.GNU-stack","",@progbits
	.addrsig
	.addrsig_sym __hip_cuid_de5d87e4e00dbce7
	.amdgpu_metadata
---
amdhsa.kernels:
  - .agpr_count:     0
    .args:
      - .offset:         0
        .size:           4
        .value_kind:     by_value
      - .actual_access:  read_only
        .address_space:  global
        .offset:         8
        .size:           8
        .value_kind:     global_buffer
      - .offset:         16
        .size:           8
        .value_kind:     by_value
      - .offset:         24
        .size:           4
        .value_kind:     by_value
      - .offset:         32
        .size:           8
        .value_kind:     by_value
      - .actual_access:  read_only
        .address_space:  global
        .offset:         40
        .size:           8
        .value_kind:     global_buffer
      - .offset:         48
        .size:           8
        .value_kind:     by_value
      - .offset:         56
        .size:           4
        .value_kind:     by_value
      - .offset:         64
        .size:           8
        .value_kind:     by_value
      - .offset:         72
        .size:           4
        .value_kind:     by_value
      - .actual_access:  write_only
        .address_space:  global
        .offset:         80
        .size:           8
        .value_kind:     global_buffer
    .group_segment_fixed_size: 0
    .kernarg_segment_align: 8
    .kernarg_segment_size: 88
    .language:       OpenCL C
    .language_version:
      - 2
      - 0
    .max_flat_workgroup_size: 128
    .name:           _ZL28rocblas_dot_batched_4_kernelIiLi32ELi4ELb0EDF16_DF16_PKDF16_EviT5_lT_lS2_lS3_liPT4_
    .private_segment_fixed_size: 0
    .sgpr_count:     28
    .sgpr_spill_count: 0
    .symbol:         _ZL28rocblas_dot_batched_4_kernelIiLi32ELi4ELb0EDF16_DF16_PKDF16_EviT5_lT_lS2_lS3_liPT4_.kd
    .uniform_work_group_size: 1
    .uses_dynamic_stack: false
    .vgpr_count:     13
    .vgpr_spill_count: 0
    .wavefront_size: 64
  - .agpr_count:     0
    .args:
      - .offset:         0
        .size:           4
        .value_kind:     by_value
      - .actual_access:  read_only
        .address_space:  global
        .offset:         8
        .size:           8
        .value_kind:     global_buffer
      - .offset:         16
        .size:           8
        .value_kind:     by_value
      - .offset:         24
        .size:           4
        .value_kind:     by_value
      - .offset:         32
        .size:           8
        .value_kind:     by_value
      - .actual_access:  read_only
        .address_space:  global
        .offset:         40
        .size:           8
        .value_kind:     global_buffer
      - .offset:         48
        .size:           8
        .value_kind:     by_value
      - .offset:         56
        .size:           4
        .value_kind:     by_value
      - .offset:         64
        .size:           8
        .value_kind:     by_value
      - .offset:         72
        .size:           4
        .value_kind:     by_value
      - .actual_access:  write_only
        .address_space:  global
        .offset:         80
        .size:           8
        .value_kind:     global_buffer
    .group_segment_fixed_size: 0
    .kernarg_segment_align: 8
    .kernarg_segment_size: 88
    .language:       OpenCL C
    .language_version:
      - 2
      - 0
    .max_flat_workgroup_size: 256
    .name:           _ZL28rocblas_dot_batched_4_kernelIiLi64ELi4ELb0EDF16_DF16_PKDF16_EviT5_lT_lS2_lS3_liPT4_
    .private_segment_fixed_size: 0
    .sgpr_count:     28
    .sgpr_spill_count: 0
    .symbol:         _ZL28rocblas_dot_batched_4_kernelIiLi64ELi4ELb0EDF16_DF16_PKDF16_EviT5_lT_lS2_lS3_liPT4_.kd
    .uniform_work_group_size: 1
    .uses_dynamic_stack: false
    .vgpr_count:     13
    .vgpr_spill_count: 0
    .wavefront_size: 64
  - .agpr_count:     0
    .args:
      - .offset:         0
        .size:           4
        .value_kind:     by_value
      - .actual_access:  read_only
        .address_space:  global
        .offset:         8
        .size:           8
        .value_kind:     global_buffer
      - .offset:         16
        .size:           8
        .value_kind:     by_value
      - .offset:         24
        .size:           8
        .value_kind:     by_value
      - .actual_access:  read_only
        .address_space:  global
        .offset:         32
        .size:           8
        .value_kind:     global_buffer
      - .offset:         40
        .size:           8
        .value_kind:     by_value
      - .offset:         48
        .size:           8
        .value_kind:     by_value
      - .offset:         56
        .size:           4
        .value_kind:     by_value
      - .actual_access:  read_only
        .address_space:  global
        .offset:         64
        .size:           8
        .value_kind:     global_buffer
      - .actual_access:  write_only
        .address_space:  global
        .offset:         72
        .size:           8
        .value_kind:     global_buffer
    .group_segment_fixed_size: 128
    .kernarg_segment_align: 8
    .kernarg_segment_size: 80
    .language:       OpenCL C
    .language_version:
      - 2
      - 0
    .max_flat_workgroup_size: 1024
    .name:           _ZL26rocblas_dot_kernel_inc1by2ILb1ELi1024ELi32ELb0EDF16_PKDF16_DF16_EviT4_llS2_lliPT5_PT3_
    .private_segment_fixed_size: 0
    .sgpr_count:     32
    .sgpr_spill_count: 0
    .symbol:         _ZL26rocblas_dot_kernel_inc1by2ILb1ELi1024ELi32ELb0EDF16_PKDF16_DF16_EviT4_llS2_lliPT5_PT3_.kd
    .uniform_work_group_size: 1
    .uses_dynamic_stack: false
    .vgpr_count:     11
    .vgpr_spill_count: 0
    .wavefront_size: 64
  - .agpr_count:     0
    .args:
      - .offset:         0
        .size:           4
        .value_kind:     by_value
      - .actual_access:  read_only
        .address_space:  global
        .offset:         8
        .size:           8
        .value_kind:     global_buffer
      - .offset:         16
        .size:           8
        .value_kind:     by_value
      - .offset:         24
        .size:           4
        .value_kind:     by_value
      - .offset:         32
        .size:           8
        .value_kind:     by_value
      - .actual_access:  read_only
        .address_space:  global
        .offset:         40
        .size:           8
        .value_kind:     global_buffer
      - .offset:         48
        .size:           8
        .value_kind:     by_value
      - .offset:         56
        .size:           4
        .value_kind:     by_value
      - .offset:         64
        .size:           8
        .value_kind:     by_value
      - .offset:         72
        .size:           4
        .value_kind:     by_value
      - .actual_access:  read_only
        .address_space:  global
        .offset:         80
        .size:           8
        .value_kind:     global_buffer
      - .actual_access:  write_only
        .address_space:  global
        .offset:         88
        .size:           8
        .value_kind:     global_buffer
      - .offset:         96
        .size:           4
        .value_kind:     hidden_block_count_x
      - .offset:         100
        .size:           4
        .value_kind:     hidden_block_count_y
      - .offset:         104
        .size:           4
        .value_kind:     hidden_block_count_z
      - .offset:         108
        .size:           2
        .value_kind:     hidden_group_size_x
      - .offset:         110
        .size:           2
        .value_kind:     hidden_group_size_y
      - .offset:         112
        .size:           2
        .value_kind:     hidden_group_size_z
      - .offset:         114
        .size:           2
        .value_kind:     hidden_remainder_x
      - .offset:         116
        .size:           2
        .value_kind:     hidden_remainder_y
      - .offset:         118
        .size:           2
        .value_kind:     hidden_remainder_z
      - .offset:         136
        .size:           8
        .value_kind:     hidden_global_offset_x
      - .offset:         144
        .size:           8
        .value_kind:     hidden_global_offset_y
      - .offset:         152
        .size:           8
        .value_kind:     hidden_global_offset_z
      - .offset:         160
        .size:           2
        .value_kind:     hidden_grid_dims
    .group_segment_fixed_size: 128
    .kernarg_segment_align: 8
    .kernarg_segment_size: 352
    .language:       OpenCL C
    .language_version:
      - 2
      - 0
    .max_flat_workgroup_size: 1024
    .name:           _ZL18rocblas_dot_kernelIiLb1ELi1024ELi32ELb0EDF16_PKDF16_DF16_EviT5_lT_lS2_lS3_liPT6_PT4_
    .private_segment_fixed_size: 0
    .sgpr_count:     28
    .sgpr_spill_count: 0
    .symbol:         _ZL18rocblas_dot_kernelIiLb1ELi1024ELi32ELb0EDF16_PKDF16_DF16_EviT5_lT_lS2_lS3_liPT6_PT4_.kd
    .uniform_work_group_size: 1
    .uses_dynamic_stack: false
    .vgpr_count:     11
    .vgpr_spill_count: 0
    .wavefront_size: 64
  - .agpr_count:     0
    .args:
      - .offset:         0
        .size:           4
        .value_kind:     by_value
      - .actual_access:  read_only
        .address_space:  global
        .offset:         8
        .size:           8
        .value_kind:     global_buffer
      - .offset:         16
        .size:           8
        .value_kind:     by_value
      - .offset:         24
        .size:           4
        .value_kind:     by_value
      - .offset:         32
        .size:           8
        .value_kind:     by_value
      - .offset:         40
        .size:           4
        .value_kind:     by_value
      - .actual_access:  read_only
        .address_space:  global
        .offset:         48
        .size:           8
        .value_kind:     global_buffer
      - .actual_access:  write_only
        .address_space:  global
        .offset:         56
        .size:           8
        .value_kind:     global_buffer
      - .offset:         64
        .size:           4
        .value_kind:     hidden_block_count_x
      - .offset:         68
        .size:           4
        .value_kind:     hidden_block_count_y
      - .offset:         72
        .size:           4
        .value_kind:     hidden_block_count_z
      - .offset:         76
        .size:           2
        .value_kind:     hidden_group_size_x
      - .offset:         78
        .size:           2
        .value_kind:     hidden_group_size_y
      - .offset:         80
        .size:           2
        .value_kind:     hidden_group_size_z
      - .offset:         82
        .size:           2
        .value_kind:     hidden_remainder_x
      - .offset:         84
        .size:           2
        .value_kind:     hidden_remainder_y
      - .offset:         86
        .size:           2
        .value_kind:     hidden_remainder_z
      - .offset:         104
        .size:           8
        .value_kind:     hidden_global_offset_x
      - .offset:         112
        .size:           8
        .value_kind:     hidden_global_offset_y
      - .offset:         120
        .size:           8
        .value_kind:     hidden_global_offset_z
      - .offset:         128
        .size:           2
        .value_kind:     hidden_grid_dims
    .group_segment_fixed_size: 128
    .kernarg_segment_align: 8
    .kernarg_segment_size: 320
    .language:       OpenCL C
    .language_version:
      - 2
      - 0
    .max_flat_workgroup_size: 1024
    .name:           _ZL24rocblas_dot_kernel_magsqIiLb1ELi1024ELi32ELb0EDF16_PKDF16_DF16_EviT5_lT_liPT6_PT4_
    .private_segment_fixed_size: 0
    .sgpr_count:     24
    .sgpr_spill_count: 0
    .symbol:         _ZL24rocblas_dot_kernel_magsqIiLb1ELi1024ELi32ELb0EDF16_PKDF16_DF16_EviT5_lT_liPT6_PT4_.kd
    .uniform_work_group_size: 1
    .uses_dynamic_stack: false
    .vgpr_count:     10
    .vgpr_spill_count: 0
    .wavefront_size: 64
  - .agpr_count:     0
    .args:
      - .offset:         0
        .size:           4
        .value_kind:     by_value
      - .actual_access:  read_only
        .address_space:  global
        .offset:         8
        .size:           8
        .value_kind:     global_buffer
      - .offset:         16
        .size:           8
        .value_kind:     by_value
      - .offset:         24
        .size:           4
        .value_kind:     by_value
      - .offset:         32
        .size:           8
        .value_kind:     by_value
      - .actual_access:  read_only
        .address_space:  global
        .offset:         40
        .size:           8
        .value_kind:     global_buffer
      - .offset:         48
        .size:           8
        .value_kind:     by_value
      - .offset:         56
        .size:           4
        .value_kind:     by_value
      - .offset:         64
        .size:           8
        .value_kind:     by_value
      - .actual_access:  read_only
        .address_space:  global
        .offset:         72
        .size:           8
        .value_kind:     global_buffer
      - .actual_access:  read_only
        .address_space:  global
        .offset:         80
        .size:           8
        .value_kind:     global_buffer
    .group_segment_fixed_size: 0
    .kernarg_segment_align: 8
    .kernarg_segment_size: 88
    .language:       OpenCL C
    .language_version:
      - 2
      - 0
    .max_flat_workgroup_size: 1024
    .name:           _ZL38rocblas_dot_kernel_gfx942_float_doubleIiLi1024EDF16_PKDF16_DF16_EviT2_lT_lS2_lS3_lPT3_PT1_
    .private_segment_fixed_size: 0
    .sgpr_count:     4
    .sgpr_spill_count: 0
    .symbol:         _ZL38rocblas_dot_kernel_gfx942_float_doubleIiLi1024EDF16_PKDF16_DF16_EviT2_lT_lS2_lS3_lPT3_PT1_.kd
    .uniform_work_group_size: 1
    .uses_dynamic_stack: false
    .vgpr_count:     0
    .vgpr_spill_count: 0
    .wavefront_size: 64
  - .agpr_count:     0
    .args:
      - .offset:         0
        .size:           4
        .value_kind:     by_value
      - .actual_access:  read_only
        .address_space:  global
        .offset:         8
        .size:           8
        .value_kind:     global_buffer
      - .actual_access:  write_only
        .address_space:  global
        .offset:         16
        .size:           8
        .value_kind:     global_buffer
    .group_segment_fixed_size: 128
    .kernarg_segment_align: 8
    .kernarg_segment_size: 24
    .language:       OpenCL C
    .language_version:
      - 2
      - 0
    .max_flat_workgroup_size: 1024
    .name:           _ZL30rocblas_reduction_kernel_part2ILi1024ELi4E25rocblas_finalize_identityDF16_DF16_EviPT2_PT3_
    .private_segment_fixed_size: 0
    .sgpr_count:     18
    .sgpr_spill_count: 0
    .symbol:         _ZL30rocblas_reduction_kernel_part2ILi1024ELi4E25rocblas_finalize_identityDF16_DF16_EviPT2_PT3_.kd
    .uniform_work_group_size: 1
    .uses_dynamic_stack: false
    .vgpr_count:     11
    .vgpr_spill_count: 0
    .wavefront_size: 64
  - .agpr_count:     0
    .args:
      - .offset:         0
        .size:           4
        .value_kind:     by_value
      - .actual_access:  read_only
        .address_space:  global
        .offset:         8
        .size:           8
        .value_kind:     global_buffer
      - .offset:         16
        .size:           8
        .value_kind:     by_value
      - .offset:         24
        .size:           8
        .value_kind:     by_value
      - .actual_access:  read_only
        .address_space:  global
        .offset:         32
        .size:           8
        .value_kind:     global_buffer
      - .offset:         40
        .size:           8
        .value_kind:     by_value
      - .offset:         48
        .size:           8
        .value_kind:     by_value
      - .offset:         56
        .size:           4
        .value_kind:     by_value
      - .actual_access:  write_only
        .address_space:  global
        .offset:         64
        .size:           8
        .value_kind:     global_buffer
      - .actual_access:  write_only
        .address_space:  global
        .offset:         72
        .size:           8
        .value_kind:     global_buffer
      - .offset:         80
        .size:           4
        .value_kind:     hidden_block_count_x
      - .offset:         84
        .size:           4
        .value_kind:     hidden_block_count_y
      - .offset:         88
        .size:           4
        .value_kind:     hidden_block_count_z
      - .offset:         92
        .size:           2
        .value_kind:     hidden_group_size_x
      - .offset:         94
        .size:           2
        .value_kind:     hidden_group_size_y
      - .offset:         96
        .size:           2
        .value_kind:     hidden_group_size_z
      - .offset:         98
        .size:           2
        .value_kind:     hidden_remainder_x
      - .offset:         100
        .size:           2
        .value_kind:     hidden_remainder_y
      - .offset:         102
        .size:           2
        .value_kind:     hidden_remainder_z
      - .offset:         120
        .size:           8
        .value_kind:     hidden_global_offset_x
      - .offset:         128
        .size:           8
        .value_kind:     hidden_global_offset_y
      - .offset:         136
        .size:           8
        .value_kind:     hidden_global_offset_z
      - .offset:         144
        .size:           2
        .value_kind:     hidden_grid_dims
    .group_segment_fixed_size: 128
    .kernarg_segment_align: 8
    .kernarg_segment_size: 336
    .language:       OpenCL C
    .language_version:
      - 2
      - 0
    .max_flat_workgroup_size: 512
    .name:           _ZL23rocblas_dot_kernel_inc1ILb0ELi512ELi8ELb0EDF16_PKDF16_DF16_EviT4_llS2_lliPT5_PT3_
    .private_segment_fixed_size: 0
    .sgpr_count:     32
    .sgpr_spill_count: 0
    .symbol:         _ZL23rocblas_dot_kernel_inc1ILb0ELi512ELi8ELb0EDF16_PKDF16_DF16_EviT4_llS2_lliPT5_PT3_.kd
    .uniform_work_group_size: 1
    .uses_dynamic_stack: false
    .vgpr_count:     14
    .vgpr_spill_count: 0
    .wavefront_size: 64
  - .agpr_count:     0
    .args:
      - .offset:         0
        .size:           4
        .value_kind:     by_value
      - .actual_access:  read_only
        .address_space:  global
        .offset:         8
        .size:           8
        .value_kind:     global_buffer
      - .offset:         16
        .size:           8
        .value_kind:     by_value
      - .offset:         24
        .size:           4
        .value_kind:     by_value
      - .offset:         32
        .size:           8
        .value_kind:     by_value
      - .actual_access:  read_only
        .address_space:  global
        .offset:         40
        .size:           8
        .value_kind:     global_buffer
      - .offset:         48
        .size:           8
        .value_kind:     by_value
      - .offset:         56
        .size:           4
        .value_kind:     by_value
      - .offset:         64
        .size:           8
        .value_kind:     by_value
      - .offset:         72
        .size:           4
        .value_kind:     by_value
      - .actual_access:  write_only
        .address_space:  global
        .offset:         80
        .size:           8
        .value_kind:     global_buffer
      - .actual_access:  write_only
        .address_space:  global
        .offset:         88
        .size:           8
        .value_kind:     global_buffer
      - .offset:         96
        .size:           4
        .value_kind:     hidden_block_count_x
      - .offset:         100
        .size:           4
        .value_kind:     hidden_block_count_y
      - .offset:         104
        .size:           4
        .value_kind:     hidden_block_count_z
      - .offset:         108
        .size:           2
        .value_kind:     hidden_group_size_x
      - .offset:         110
        .size:           2
        .value_kind:     hidden_group_size_y
      - .offset:         112
        .size:           2
        .value_kind:     hidden_group_size_z
      - .offset:         114
        .size:           2
        .value_kind:     hidden_remainder_x
      - .offset:         116
        .size:           2
        .value_kind:     hidden_remainder_y
      - .offset:         118
        .size:           2
        .value_kind:     hidden_remainder_z
      - .offset:         136
        .size:           8
        .value_kind:     hidden_global_offset_x
      - .offset:         144
        .size:           8
        .value_kind:     hidden_global_offset_y
      - .offset:         152
        .size:           8
        .value_kind:     hidden_global_offset_z
      - .offset:         160
        .size:           2
        .value_kind:     hidden_grid_dims
    .group_segment_fixed_size: 128
    .kernarg_segment_align: 8
    .kernarg_segment_size: 352
    .language:       OpenCL C
    .language_version:
      - 2
      - 0
    .max_flat_workgroup_size: 512
    .name:           _ZL18rocblas_dot_kernelIiLb0ELi512ELi8ELb0EDF16_PKDF16_DF16_EviT5_lT_lS2_lS3_liPT6_PT4_
    .private_segment_fixed_size: 0
    .sgpr_count:     32
    .sgpr_spill_count: 0
    .symbol:         _ZL18rocblas_dot_kernelIiLb0ELi512ELi8ELb0EDF16_PKDF16_DF16_EviT5_lT_lS2_lS3_liPT6_PT4_.kd
    .uniform_work_group_size: 1
    .uses_dynamic_stack: false
    .vgpr_count:     11
    .vgpr_spill_count: 0
    .wavefront_size: 64
  - .agpr_count:     0
    .args:
      - .offset:         0
        .size:           4
        .value_kind:     by_value
      - .actual_access:  read_only
        .address_space:  global
        .offset:         8
        .size:           8
        .value_kind:     global_buffer
      - .offset:         16
        .size:           8
        .value_kind:     by_value
      - .offset:         24
        .size:           4
        .value_kind:     by_value
      - .offset:         32
        .size:           8
        .value_kind:     by_value
      - .offset:         40
        .size:           4
        .value_kind:     by_value
      - .actual_access:  write_only
        .address_space:  global
        .offset:         48
        .size:           8
        .value_kind:     global_buffer
      - .actual_access:  write_only
        .address_space:  global
        .offset:         56
        .size:           8
        .value_kind:     global_buffer
      - .offset:         64
        .size:           4
        .value_kind:     hidden_block_count_x
      - .offset:         68
        .size:           4
        .value_kind:     hidden_block_count_y
      - .offset:         72
        .size:           4
        .value_kind:     hidden_block_count_z
      - .offset:         76
        .size:           2
        .value_kind:     hidden_group_size_x
      - .offset:         78
        .size:           2
        .value_kind:     hidden_group_size_y
      - .offset:         80
        .size:           2
        .value_kind:     hidden_group_size_z
      - .offset:         82
        .size:           2
        .value_kind:     hidden_remainder_x
      - .offset:         84
        .size:           2
        .value_kind:     hidden_remainder_y
      - .offset:         86
        .size:           2
        .value_kind:     hidden_remainder_z
      - .offset:         104
        .size:           8
        .value_kind:     hidden_global_offset_x
      - .offset:         112
        .size:           8
        .value_kind:     hidden_global_offset_y
      - .offset:         120
        .size:           8
        .value_kind:     hidden_global_offset_z
      - .offset:         128
        .size:           2
        .value_kind:     hidden_grid_dims
    .group_segment_fixed_size: 128
    .kernarg_segment_align: 8
    .kernarg_segment_size: 320
    .language:       OpenCL C
    .language_version:
      - 2
      - 0
    .max_flat_workgroup_size: 512
    .name:           _ZL24rocblas_dot_kernel_magsqIiLb0ELi512ELi8ELb0EDF16_PKDF16_DF16_EviT5_lT_liPT6_PT4_
    .private_segment_fixed_size: 0
    .sgpr_count:     28
    .sgpr_spill_count: 0
    .symbol:         _ZL24rocblas_dot_kernel_magsqIiLb0ELi512ELi8ELb0EDF16_PKDF16_DF16_EviT5_lT_liPT6_PT4_.kd
    .uniform_work_group_size: 1
    .uses_dynamic_stack: false
    .vgpr_count:     10
    .vgpr_spill_count: 0
    .wavefront_size: 64
  - .agpr_count:     0
    .args:
      - .offset:         0
        .size:           4
        .value_kind:     by_value
      - .actual_access:  read_only
        .address_space:  global
        .offset:         8
        .size:           8
        .value_kind:     global_buffer
      - .offset:         16
        .size:           8
        .value_kind:     by_value
      - .offset:         24
        .size:           8
        .value_kind:     by_value
      - .offset:         32
        .size:           8
        .value_kind:     by_value
      - .actual_access:  read_only
        .address_space:  global
        .offset:         40
        .size:           8
        .value_kind:     global_buffer
      - .offset:         48
        .size:           8
        .value_kind:     by_value
      - .offset:         56
        .size:           8
        .value_kind:     by_value
      - .offset:         64
        .size:           8
        .value_kind:     by_value
      - .offset:         72
        .size:           4
        .value_kind:     by_value
      - .actual_access:  write_only
        .address_space:  global
        .offset:         80
        .size:           8
        .value_kind:     global_buffer
    .group_segment_fixed_size: 0
    .kernarg_segment_align: 8
    .kernarg_segment_size: 88
    .language:       OpenCL C
    .language_version:
      - 2
      - 0
    .max_flat_workgroup_size: 128
    .name:           _ZL28rocblas_dot_batched_4_kernelIlLi32ELi4ELb0EDF16_DF16_PKDF16_EviT5_lT_lS2_lS3_liPT4_
    .private_segment_fixed_size: 0
    .sgpr_count:     28
    .sgpr_spill_count: 0
    .symbol:         _ZL28rocblas_dot_batched_4_kernelIlLi32ELi4ELb0EDF16_DF16_PKDF16_EviT5_lT_lS2_lS3_liPT4_.kd
    .uniform_work_group_size: 1
    .uses_dynamic_stack: false
    .vgpr_count:     13
    .vgpr_spill_count: 0
    .wavefront_size: 64
  - .agpr_count:     0
    .args:
      - .offset:         0
        .size:           4
        .value_kind:     by_value
      - .actual_access:  read_only
        .address_space:  global
        .offset:         8
        .size:           8
        .value_kind:     global_buffer
      - .offset:         16
        .size:           8
        .value_kind:     by_value
      - .offset:         24
        .size:           8
        .value_kind:     by_value
      - .offset:         32
        .size:           8
        .value_kind:     by_value
      - .actual_access:  read_only
        .address_space:  global
        .offset:         40
        .size:           8
        .value_kind:     global_buffer
      - .offset:         48
        .size:           8
        .value_kind:     by_value
      - .offset:         56
        .size:           8
        .value_kind:     by_value
      - .offset:         64
        .size:           8
        .value_kind:     by_value
      - .offset:         72
        .size:           4
        .value_kind:     by_value
      - .actual_access:  write_only
        .address_space:  global
        .offset:         80
        .size:           8
        .value_kind:     global_buffer
    .group_segment_fixed_size: 0
    .kernarg_segment_align: 8
    .kernarg_segment_size: 88
    .language:       OpenCL C
    .language_version:
      - 2
      - 0
    .max_flat_workgroup_size: 256
    .name:           _ZL28rocblas_dot_batched_4_kernelIlLi64ELi4ELb0EDF16_DF16_PKDF16_EviT5_lT_lS2_lS3_liPT4_
    .private_segment_fixed_size: 0
    .sgpr_count:     28
    .sgpr_spill_count: 0
    .symbol:         _ZL28rocblas_dot_batched_4_kernelIlLi64ELi4ELb0EDF16_DF16_PKDF16_EviT5_lT_lS2_lS3_liPT4_.kd
    .uniform_work_group_size: 1
    .uses_dynamic_stack: false
    .vgpr_count:     13
    .vgpr_spill_count: 0
    .wavefront_size: 64
  - .agpr_count:     0
    .args:
      - .offset:         0
        .size:           4
        .value_kind:     by_value
      - .actual_access:  read_only
        .address_space:  global
        .offset:         8
        .size:           8
        .value_kind:     global_buffer
      - .offset:         16
        .size:           8
        .value_kind:     by_value
      - .offset:         24
        .size:           8
        .value_kind:     by_value
      - .offset:         32
        .size:           8
        .value_kind:     by_value
      - .actual_access:  read_only
        .address_space:  global
        .offset:         40
        .size:           8
        .value_kind:     global_buffer
      - .offset:         48
        .size:           8
        .value_kind:     by_value
      - .offset:         56
        .size:           8
        .value_kind:     by_value
      - .offset:         64
        .size:           8
        .value_kind:     by_value
      - .offset:         72
        .size:           4
        .value_kind:     by_value
      - .actual_access:  read_only
        .address_space:  global
        .offset:         80
        .size:           8
        .value_kind:     global_buffer
      - .actual_access:  write_only
        .address_space:  global
        .offset:         88
        .size:           8
        .value_kind:     global_buffer
      - .offset:         96
        .size:           4
        .value_kind:     hidden_block_count_x
      - .offset:         100
        .size:           4
        .value_kind:     hidden_block_count_y
      - .offset:         104
        .size:           4
        .value_kind:     hidden_block_count_z
      - .offset:         108
        .size:           2
        .value_kind:     hidden_group_size_x
      - .offset:         110
        .size:           2
        .value_kind:     hidden_group_size_y
      - .offset:         112
        .size:           2
        .value_kind:     hidden_group_size_z
      - .offset:         114
        .size:           2
        .value_kind:     hidden_remainder_x
      - .offset:         116
        .size:           2
        .value_kind:     hidden_remainder_y
      - .offset:         118
        .size:           2
        .value_kind:     hidden_remainder_z
      - .offset:         136
        .size:           8
        .value_kind:     hidden_global_offset_x
      - .offset:         144
        .size:           8
        .value_kind:     hidden_global_offset_y
      - .offset:         152
        .size:           8
        .value_kind:     hidden_global_offset_z
      - .offset:         160
        .size:           2
        .value_kind:     hidden_grid_dims
    .group_segment_fixed_size: 128
    .kernarg_segment_align: 8
    .kernarg_segment_size: 352
    .language:       OpenCL C
    .language_version:
      - 2
      - 0
    .max_flat_workgroup_size: 1024
    .name:           _ZL18rocblas_dot_kernelIlLb1ELi1024ELi32ELb0EDF16_PKDF16_DF16_EviT5_lT_lS2_lS3_liPT6_PT4_
    .private_segment_fixed_size: 0
    .sgpr_count:     30
    .sgpr_spill_count: 0
    .symbol:         _ZL18rocblas_dot_kernelIlLb1ELi1024ELi32ELb0EDF16_PKDF16_DF16_EviT5_lT_lS2_lS3_liPT6_PT4_.kd
    .uniform_work_group_size: 1
    .uses_dynamic_stack: false
    .vgpr_count:     11
    .vgpr_spill_count: 0
    .wavefront_size: 64
  - .agpr_count:     0
    .args:
      - .offset:         0
        .size:           4
        .value_kind:     by_value
      - .actual_access:  read_only
        .address_space:  global
        .offset:         8
        .size:           8
        .value_kind:     global_buffer
      - .offset:         16
        .size:           8
        .value_kind:     by_value
      - .offset:         24
        .size:           8
        .value_kind:     by_value
      - .offset:         32
        .size:           8
        .value_kind:     by_value
      - .offset:         40
        .size:           4
        .value_kind:     by_value
      - .actual_access:  read_only
        .address_space:  global
        .offset:         48
        .size:           8
        .value_kind:     global_buffer
      - .actual_access:  write_only
        .address_space:  global
        .offset:         56
        .size:           8
        .value_kind:     global_buffer
      - .offset:         64
        .size:           4
        .value_kind:     hidden_block_count_x
      - .offset:         68
        .size:           4
        .value_kind:     hidden_block_count_y
      - .offset:         72
        .size:           4
        .value_kind:     hidden_block_count_z
      - .offset:         76
        .size:           2
        .value_kind:     hidden_group_size_x
      - .offset:         78
        .size:           2
        .value_kind:     hidden_group_size_y
      - .offset:         80
        .size:           2
        .value_kind:     hidden_group_size_z
      - .offset:         82
        .size:           2
        .value_kind:     hidden_remainder_x
      - .offset:         84
        .size:           2
        .value_kind:     hidden_remainder_y
      - .offset:         86
        .size:           2
        .value_kind:     hidden_remainder_z
      - .offset:         104
        .size:           8
        .value_kind:     hidden_global_offset_x
      - .offset:         112
        .size:           8
        .value_kind:     hidden_global_offset_y
      - .offset:         120
        .size:           8
        .value_kind:     hidden_global_offset_z
      - .offset:         128
        .size:           2
        .value_kind:     hidden_grid_dims
    .group_segment_fixed_size: 128
    .kernarg_segment_align: 8
    .kernarg_segment_size: 320
    .language:       OpenCL C
    .language_version:
      - 2
      - 0
    .max_flat_workgroup_size: 1024
    .name:           _ZL24rocblas_dot_kernel_magsqIlLb1ELi1024ELi32ELb0EDF16_PKDF16_DF16_EviT5_lT_liPT6_PT4_
    .private_segment_fixed_size: 0
    .sgpr_count:     24
    .sgpr_spill_count: 0
    .symbol:         _ZL24rocblas_dot_kernel_magsqIlLb1ELi1024ELi32ELb0EDF16_PKDF16_DF16_EviT5_lT_liPT6_PT4_.kd
    .uniform_work_group_size: 1
    .uses_dynamic_stack: false
    .vgpr_count:     10
    .vgpr_spill_count: 0
    .wavefront_size: 64
  - .agpr_count:     0
    .args:
      - .offset:         0
        .size:           4
        .value_kind:     by_value
      - .actual_access:  read_only
        .address_space:  global
        .offset:         8
        .size:           8
        .value_kind:     global_buffer
      - .offset:         16
        .size:           8
        .value_kind:     by_value
      - .offset:         24
        .size:           8
        .value_kind:     by_value
      - .offset:         32
        .size:           8
        .value_kind:     by_value
      - .actual_access:  read_only
        .address_space:  global
        .offset:         40
        .size:           8
        .value_kind:     global_buffer
      - .offset:         48
        .size:           8
        .value_kind:     by_value
      - .offset:         56
        .size:           8
        .value_kind:     by_value
      - .offset:         64
        .size:           8
        .value_kind:     by_value
      - .actual_access:  read_only
        .address_space:  global
        .offset:         72
        .size:           8
        .value_kind:     global_buffer
      - .actual_access:  read_only
        .address_space:  global
        .offset:         80
        .size:           8
        .value_kind:     global_buffer
    .group_segment_fixed_size: 0
    .kernarg_segment_align: 8
    .kernarg_segment_size: 88
    .language:       OpenCL C
    .language_version:
      - 2
      - 0
    .max_flat_workgroup_size: 1024
    .name:           _ZL38rocblas_dot_kernel_gfx942_float_doubleIlLi1024EDF16_PKDF16_DF16_EviT2_lT_lS2_lS3_lPT3_PT1_
    .private_segment_fixed_size: 0
    .sgpr_count:     4
    .sgpr_spill_count: 0
    .symbol:         _ZL38rocblas_dot_kernel_gfx942_float_doubleIlLi1024EDF16_PKDF16_DF16_EviT2_lT_lS2_lS3_lPT3_PT1_.kd
    .uniform_work_group_size: 1
    .uses_dynamic_stack: false
    .vgpr_count:     0
    .vgpr_spill_count: 0
    .wavefront_size: 64
  - .agpr_count:     0
    .args:
      - .offset:         0
        .size:           4
        .value_kind:     by_value
      - .actual_access:  read_only
        .address_space:  global
        .offset:         8
        .size:           8
        .value_kind:     global_buffer
      - .offset:         16
        .size:           8
        .value_kind:     by_value
      - .offset:         24
        .size:           8
        .value_kind:     by_value
      - .offset:         32
        .size:           8
        .value_kind:     by_value
      - .actual_access:  read_only
        .address_space:  global
        .offset:         40
        .size:           8
        .value_kind:     global_buffer
      - .offset:         48
        .size:           8
        .value_kind:     by_value
      - .offset:         56
        .size:           8
        .value_kind:     by_value
      - .offset:         64
        .size:           8
        .value_kind:     by_value
      - .offset:         72
        .size:           4
        .value_kind:     by_value
      - .actual_access:  write_only
        .address_space:  global
        .offset:         80
        .size:           8
        .value_kind:     global_buffer
      - .actual_access:  write_only
        .address_space:  global
        .offset:         88
        .size:           8
        .value_kind:     global_buffer
      - .offset:         96
        .size:           4
        .value_kind:     hidden_block_count_x
      - .offset:         100
        .size:           4
        .value_kind:     hidden_block_count_y
      - .offset:         104
        .size:           4
        .value_kind:     hidden_block_count_z
      - .offset:         108
        .size:           2
        .value_kind:     hidden_group_size_x
      - .offset:         110
        .size:           2
        .value_kind:     hidden_group_size_y
      - .offset:         112
        .size:           2
        .value_kind:     hidden_group_size_z
      - .offset:         114
        .size:           2
        .value_kind:     hidden_remainder_x
      - .offset:         116
        .size:           2
        .value_kind:     hidden_remainder_y
      - .offset:         118
        .size:           2
        .value_kind:     hidden_remainder_z
      - .offset:         136
        .size:           8
        .value_kind:     hidden_global_offset_x
      - .offset:         144
        .size:           8
        .value_kind:     hidden_global_offset_y
      - .offset:         152
        .size:           8
        .value_kind:     hidden_global_offset_z
      - .offset:         160
        .size:           2
        .value_kind:     hidden_grid_dims
    .group_segment_fixed_size: 128
    .kernarg_segment_align: 8
    .kernarg_segment_size: 352
    .language:       OpenCL C
    .language_version:
      - 2
      - 0
    .max_flat_workgroup_size: 512
    .name:           _ZL18rocblas_dot_kernelIlLb0ELi512ELi8ELb0EDF16_PKDF16_DF16_EviT5_lT_lS2_lS3_liPT6_PT4_
    .private_segment_fixed_size: 0
    .sgpr_count:     34
    .sgpr_spill_count: 0
    .symbol:         _ZL18rocblas_dot_kernelIlLb0ELi512ELi8ELb0EDF16_PKDF16_DF16_EviT5_lT_lS2_lS3_liPT6_PT4_.kd
    .uniform_work_group_size: 1
    .uses_dynamic_stack: false
    .vgpr_count:     11
    .vgpr_spill_count: 0
    .wavefront_size: 64
  - .agpr_count:     0
    .args:
      - .offset:         0
        .size:           4
        .value_kind:     by_value
      - .actual_access:  read_only
        .address_space:  global
        .offset:         8
        .size:           8
        .value_kind:     global_buffer
      - .offset:         16
        .size:           8
        .value_kind:     by_value
      - .offset:         24
        .size:           8
        .value_kind:     by_value
      - .offset:         32
        .size:           8
        .value_kind:     by_value
      - .offset:         40
        .size:           4
        .value_kind:     by_value
      - .actual_access:  write_only
        .address_space:  global
        .offset:         48
        .size:           8
        .value_kind:     global_buffer
      - .actual_access:  write_only
        .address_space:  global
        .offset:         56
        .size:           8
        .value_kind:     global_buffer
      - .offset:         64
        .size:           4
        .value_kind:     hidden_block_count_x
      - .offset:         68
        .size:           4
        .value_kind:     hidden_block_count_y
      - .offset:         72
        .size:           4
        .value_kind:     hidden_block_count_z
      - .offset:         76
        .size:           2
        .value_kind:     hidden_group_size_x
      - .offset:         78
        .size:           2
        .value_kind:     hidden_group_size_y
      - .offset:         80
        .size:           2
        .value_kind:     hidden_group_size_z
      - .offset:         82
        .size:           2
        .value_kind:     hidden_remainder_x
      - .offset:         84
        .size:           2
        .value_kind:     hidden_remainder_y
      - .offset:         86
        .size:           2
        .value_kind:     hidden_remainder_z
      - .offset:         104
        .size:           8
        .value_kind:     hidden_global_offset_x
      - .offset:         112
        .size:           8
        .value_kind:     hidden_global_offset_y
      - .offset:         120
        .size:           8
        .value_kind:     hidden_global_offset_z
      - .offset:         128
        .size:           2
        .value_kind:     hidden_grid_dims
    .group_segment_fixed_size: 128
    .kernarg_segment_align: 8
    .kernarg_segment_size: 320
    .language:       OpenCL C
    .language_version:
      - 2
      - 0
    .max_flat_workgroup_size: 512
    .name:           _ZL24rocblas_dot_kernel_magsqIlLb0ELi512ELi8ELb0EDF16_PKDF16_DF16_EviT5_lT_liPT6_PT4_
    .private_segment_fixed_size: 0
    .sgpr_count:     28
    .sgpr_spill_count: 0
    .symbol:         _ZL24rocblas_dot_kernel_magsqIlLb0ELi512ELi8ELb0EDF16_PKDF16_DF16_EviT5_lT_liPT6_PT4_.kd
    .uniform_work_group_size: 1
    .uses_dynamic_stack: false
    .vgpr_count:     10
    .vgpr_spill_count: 0
    .wavefront_size: 64
  - .agpr_count:     0
    .args:
      - .offset:         0
        .size:           4
        .value_kind:     by_value
      - .actual_access:  read_only
        .address_space:  global
        .offset:         8
        .size:           8
        .value_kind:     global_buffer
      - .offset:         16
        .size:           8
        .value_kind:     by_value
      - .offset:         24
        .size:           4
        .value_kind:     by_value
      - .offset:         32
        .size:           8
        .value_kind:     by_value
      - .actual_access:  read_only
        .address_space:  global
        .offset:         40
        .size:           8
        .value_kind:     global_buffer
      - .offset:         48
        .size:           8
        .value_kind:     by_value
      - .offset:         56
        .size:           4
        .value_kind:     by_value
      - .offset:         64
        .size:           8
        .value_kind:     by_value
      - .offset:         72
        .size:           4
        .value_kind:     by_value
      - .actual_access:  write_only
        .address_space:  global
        .offset:         80
        .size:           8
        .value_kind:     global_buffer
    .group_segment_fixed_size: 0
    .kernarg_segment_align: 8
    .kernarg_segment_size: 88
    .language:       OpenCL C
    .language_version:
      - 2
      - 0
    .max_flat_workgroup_size: 128
    .name:           _ZL28rocblas_dot_batched_4_kernelIiLi32ELi4ELb0Ef16rocblas_bfloat16PKS0_EviT5_lT_lS3_lS4_liPT4_
    .private_segment_fixed_size: 0
    .sgpr_count:     28
    .sgpr_spill_count: 0
    .symbol:         _ZL28rocblas_dot_batched_4_kernelIiLi32ELi4ELb0Ef16rocblas_bfloat16PKS0_EviT5_lT_lS3_lS4_liPT4_.kd
    .uniform_work_group_size: 1
    .uses_dynamic_stack: false
    .vgpr_count:     13
    .vgpr_spill_count: 0
    .wavefront_size: 64
  - .agpr_count:     0
    .args:
      - .offset:         0
        .size:           4
        .value_kind:     by_value
      - .actual_access:  read_only
        .address_space:  global
        .offset:         8
        .size:           8
        .value_kind:     global_buffer
      - .offset:         16
        .size:           8
        .value_kind:     by_value
      - .offset:         24
        .size:           4
        .value_kind:     by_value
      - .offset:         32
        .size:           8
        .value_kind:     by_value
      - .actual_access:  read_only
        .address_space:  global
        .offset:         40
        .size:           8
        .value_kind:     global_buffer
      - .offset:         48
        .size:           8
        .value_kind:     by_value
      - .offset:         56
        .size:           4
        .value_kind:     by_value
      - .offset:         64
        .size:           8
        .value_kind:     by_value
      - .offset:         72
        .size:           4
        .value_kind:     by_value
      - .actual_access:  write_only
        .address_space:  global
        .offset:         80
        .size:           8
        .value_kind:     global_buffer
    .group_segment_fixed_size: 0
    .kernarg_segment_align: 8
    .kernarg_segment_size: 88
    .language:       OpenCL C
    .language_version:
      - 2
      - 0
    .max_flat_workgroup_size: 256
    .name:           _ZL28rocblas_dot_batched_4_kernelIiLi64ELi4ELb0Ef16rocblas_bfloat16PKS0_EviT5_lT_lS3_lS4_liPT4_
    .private_segment_fixed_size: 0
    .sgpr_count:     28
    .sgpr_spill_count: 0
    .symbol:         _ZL28rocblas_dot_batched_4_kernelIiLi64ELi4ELb0Ef16rocblas_bfloat16PKS0_EviT5_lT_lS3_lS4_liPT4_.kd
    .uniform_work_group_size: 1
    .uses_dynamic_stack: false
    .vgpr_count:     13
    .vgpr_spill_count: 0
    .wavefront_size: 64
  - .agpr_count:     0
    .args:
      - .offset:         0
        .size:           4
        .value_kind:     by_value
      - .actual_access:  read_only
        .address_space:  global
        .offset:         8
        .size:           8
        .value_kind:     global_buffer
      - .offset:         16
        .size:           8
        .value_kind:     by_value
      - .offset:         24
        .size:           8
        .value_kind:     by_value
      - .actual_access:  read_only
        .address_space:  global
        .offset:         32
        .size:           8
        .value_kind:     global_buffer
      - .offset:         40
        .size:           8
        .value_kind:     by_value
      - .offset:         48
        .size:           8
        .value_kind:     by_value
      - .offset:         56
        .size:           4
        .value_kind:     by_value
      - .actual_access:  read_only
        .address_space:  global
        .offset:         64
        .size:           8
        .value_kind:     global_buffer
      - .actual_access:  write_only
        .address_space:  global
        .offset:         72
        .size:           8
        .value_kind:     global_buffer
    .group_segment_fixed_size: 256
    .kernarg_segment_align: 8
    .kernarg_segment_size: 80
    .language:       OpenCL C
    .language_version:
      - 2
      - 0
    .max_flat_workgroup_size: 1024
    .name:           _ZL26rocblas_dot_kernel_inc1by2ILb1ELi1024ELi32ELb0E16rocblas_bfloat16PKS0_fEviT4_llS3_lliPT5_PT3_
    .private_segment_fixed_size: 0
    .sgpr_count:     32
    .sgpr_spill_count: 0
    .symbol:         _ZL26rocblas_dot_kernel_inc1by2ILb1ELi1024ELi32ELb0E16rocblas_bfloat16PKS0_fEviT4_llS3_lliPT5_PT3_.kd
    .uniform_work_group_size: 1
    .uses_dynamic_stack: false
    .vgpr_count:     12
    .vgpr_spill_count: 0
    .wavefront_size: 64
  - .agpr_count:     0
    .args:
      - .offset:         0
        .size:           4
        .value_kind:     by_value
      - .actual_access:  read_only
        .address_space:  global
        .offset:         8
        .size:           8
        .value_kind:     global_buffer
      - .offset:         16
        .size:           8
        .value_kind:     by_value
      - .offset:         24
        .size:           4
        .value_kind:     by_value
      - .offset:         32
        .size:           8
        .value_kind:     by_value
      - .actual_access:  read_only
        .address_space:  global
        .offset:         40
        .size:           8
        .value_kind:     global_buffer
      - .offset:         48
        .size:           8
        .value_kind:     by_value
      - .offset:         56
        .size:           4
        .value_kind:     by_value
      - .offset:         64
        .size:           8
        .value_kind:     by_value
      - .offset:         72
        .size:           4
        .value_kind:     by_value
      - .actual_access:  read_only
        .address_space:  global
        .offset:         80
        .size:           8
        .value_kind:     global_buffer
      - .actual_access:  write_only
        .address_space:  global
        .offset:         88
        .size:           8
        .value_kind:     global_buffer
      - .offset:         96
        .size:           4
        .value_kind:     hidden_block_count_x
      - .offset:         100
        .size:           4
        .value_kind:     hidden_block_count_y
      - .offset:         104
        .size:           4
        .value_kind:     hidden_block_count_z
      - .offset:         108
        .size:           2
        .value_kind:     hidden_group_size_x
      - .offset:         110
        .size:           2
        .value_kind:     hidden_group_size_y
      - .offset:         112
        .size:           2
        .value_kind:     hidden_group_size_z
      - .offset:         114
        .size:           2
        .value_kind:     hidden_remainder_x
      - .offset:         116
        .size:           2
        .value_kind:     hidden_remainder_y
      - .offset:         118
        .size:           2
        .value_kind:     hidden_remainder_z
      - .offset:         136
        .size:           8
        .value_kind:     hidden_global_offset_x
      - .offset:         144
        .size:           8
        .value_kind:     hidden_global_offset_y
      - .offset:         152
        .size:           8
        .value_kind:     hidden_global_offset_z
      - .offset:         160
        .size:           2
        .value_kind:     hidden_grid_dims
    .group_segment_fixed_size: 256
    .kernarg_segment_align: 8
    .kernarg_segment_size: 352
    .language:       OpenCL C
    .language_version:
      - 2
      - 0
    .max_flat_workgroup_size: 1024
    .name:           _ZL18rocblas_dot_kernelIiLb1ELi1024ELi32ELb0E16rocblas_bfloat16PKS0_fEviT5_lT_lS3_lS4_liPT6_PT4_
    .private_segment_fixed_size: 0
    .sgpr_count:     28
    .sgpr_spill_count: 0
    .symbol:         _ZL18rocblas_dot_kernelIiLb1ELi1024ELi32ELb0E16rocblas_bfloat16PKS0_fEviT5_lT_lS3_lS4_liPT6_PT4_.kd
    .uniform_work_group_size: 1
    .uses_dynamic_stack: false
    .vgpr_count:     11
    .vgpr_spill_count: 0
    .wavefront_size: 64
  - .agpr_count:     0
    .args:
      - .offset:         0
        .size:           4
        .value_kind:     by_value
      - .actual_access:  read_only
        .address_space:  global
        .offset:         8
        .size:           8
        .value_kind:     global_buffer
      - .offset:         16
        .size:           8
        .value_kind:     by_value
      - .offset:         24
        .size:           4
        .value_kind:     by_value
      - .offset:         32
        .size:           8
        .value_kind:     by_value
      - .offset:         40
        .size:           4
        .value_kind:     by_value
      - .actual_access:  read_only
        .address_space:  global
        .offset:         48
        .size:           8
        .value_kind:     global_buffer
      - .actual_access:  write_only
        .address_space:  global
        .offset:         56
        .size:           8
        .value_kind:     global_buffer
      - .offset:         64
        .size:           4
        .value_kind:     hidden_block_count_x
      - .offset:         68
        .size:           4
        .value_kind:     hidden_block_count_y
      - .offset:         72
        .size:           4
        .value_kind:     hidden_block_count_z
      - .offset:         76
        .size:           2
        .value_kind:     hidden_group_size_x
      - .offset:         78
        .size:           2
        .value_kind:     hidden_group_size_y
      - .offset:         80
        .size:           2
        .value_kind:     hidden_group_size_z
      - .offset:         82
        .size:           2
        .value_kind:     hidden_remainder_x
      - .offset:         84
        .size:           2
        .value_kind:     hidden_remainder_y
      - .offset:         86
        .size:           2
        .value_kind:     hidden_remainder_z
      - .offset:         104
        .size:           8
        .value_kind:     hidden_global_offset_x
      - .offset:         112
        .size:           8
        .value_kind:     hidden_global_offset_y
      - .offset:         120
        .size:           8
        .value_kind:     hidden_global_offset_z
      - .offset:         128
        .size:           2
        .value_kind:     hidden_grid_dims
    .group_segment_fixed_size: 256
    .kernarg_segment_align: 8
    .kernarg_segment_size: 320
    .language:       OpenCL C
    .language_version:
      - 2
      - 0
    .max_flat_workgroup_size: 1024
    .name:           _ZL24rocblas_dot_kernel_magsqIiLb1ELi1024ELi32ELb0E16rocblas_bfloat16PKS0_fEviT5_lT_liPT6_PT4_
    .private_segment_fixed_size: 0
    .sgpr_count:     24
    .sgpr_spill_count: 0
    .symbol:         _ZL24rocblas_dot_kernel_magsqIiLb1ELi1024ELi32ELb0E16rocblas_bfloat16PKS0_fEviT5_lT_liPT6_PT4_.kd
    .uniform_work_group_size: 1
    .uses_dynamic_stack: false
    .vgpr_count:     10
    .vgpr_spill_count: 0
    .wavefront_size: 64
  - .agpr_count:     0
    .args:
      - .offset:         0
        .size:           4
        .value_kind:     by_value
      - .actual_access:  read_only
        .address_space:  global
        .offset:         8
        .size:           8
        .value_kind:     global_buffer
      - .offset:         16
        .size:           8
        .value_kind:     by_value
      - .offset:         24
        .size:           4
        .value_kind:     by_value
      - .offset:         32
        .size:           8
        .value_kind:     by_value
      - .actual_access:  read_only
        .address_space:  global
        .offset:         40
        .size:           8
        .value_kind:     global_buffer
      - .offset:         48
        .size:           8
        .value_kind:     by_value
      - .offset:         56
        .size:           4
        .value_kind:     by_value
      - .offset:         64
        .size:           8
        .value_kind:     by_value
      - .actual_access:  read_only
        .address_space:  global
        .offset:         72
        .size:           8
        .value_kind:     global_buffer
      - .actual_access:  read_only
        .address_space:  global
        .offset:         80
        .size:           8
        .value_kind:     global_buffer
    .group_segment_fixed_size: 0
    .kernarg_segment_align: 8
    .kernarg_segment_size: 88
    .language:       OpenCL C
    .language_version:
      - 2
      - 0
    .max_flat_workgroup_size: 1024
    .name:           _ZL38rocblas_dot_kernel_gfx942_float_doubleIiLi1024E16rocblas_bfloat16PKS0_fEviT2_lT_lS3_lS4_lPT3_PT1_
    .private_segment_fixed_size: 0
    .sgpr_count:     4
    .sgpr_spill_count: 0
    .symbol:         _ZL38rocblas_dot_kernel_gfx942_float_doubleIiLi1024E16rocblas_bfloat16PKS0_fEviT2_lT_lS3_lS4_lPT3_PT1_.kd
    .uniform_work_group_size: 1
    .uses_dynamic_stack: false
    .vgpr_count:     0
    .vgpr_spill_count: 0
    .wavefront_size: 64
  - .agpr_count:     0
    .args:
      - .offset:         0
        .size:           4
        .value_kind:     by_value
      - .actual_access:  read_only
        .address_space:  global
        .offset:         8
        .size:           8
        .value_kind:     global_buffer
      - .actual_access:  write_only
        .address_space:  global
        .offset:         16
        .size:           8
        .value_kind:     global_buffer
    .group_segment_fixed_size: 256
    .kernarg_segment_align: 8
    .kernarg_segment_size: 24
    .language:       OpenCL C
    .language_version:
      - 2
      - 0
    .max_flat_workgroup_size: 1024
    .name:           _ZL30rocblas_reduction_kernel_part2ILi1024ELi4E25rocblas_finalize_identityf16rocblas_bfloat16EviPT2_PT3_
    .private_segment_fixed_size: 0
    .sgpr_count:     18
    .sgpr_spill_count: 0
    .symbol:         _ZL30rocblas_reduction_kernel_part2ILi1024ELi4E25rocblas_finalize_identityf16rocblas_bfloat16EviPT2_PT3_.kd
    .uniform_work_group_size: 1
    .uses_dynamic_stack: false
    .vgpr_count:     10
    .vgpr_spill_count: 0
    .wavefront_size: 64
  - .agpr_count:     0
    .args:
      - .offset:         0
        .size:           4
        .value_kind:     by_value
      - .actual_access:  read_only
        .address_space:  global
        .offset:         8
        .size:           8
        .value_kind:     global_buffer
      - .offset:         16
        .size:           8
        .value_kind:     by_value
      - .offset:         24
        .size:           8
        .value_kind:     by_value
      - .actual_access:  read_only
        .address_space:  global
        .offset:         32
        .size:           8
        .value_kind:     global_buffer
      - .offset:         40
        .size:           8
        .value_kind:     by_value
      - .offset:         48
        .size:           8
        .value_kind:     by_value
      - .offset:         56
        .size:           4
        .value_kind:     by_value
      - .actual_access:  write_only
        .address_space:  global
        .offset:         64
        .size:           8
        .value_kind:     global_buffer
      - .actual_access:  write_only
        .address_space:  global
        .offset:         72
        .size:           8
        .value_kind:     global_buffer
      - .offset:         80
        .size:           4
        .value_kind:     hidden_block_count_x
      - .offset:         84
        .size:           4
        .value_kind:     hidden_block_count_y
      - .offset:         88
        .size:           4
        .value_kind:     hidden_block_count_z
      - .offset:         92
        .size:           2
        .value_kind:     hidden_group_size_x
      - .offset:         94
        .size:           2
        .value_kind:     hidden_group_size_y
      - .offset:         96
        .size:           2
        .value_kind:     hidden_group_size_z
      - .offset:         98
        .size:           2
        .value_kind:     hidden_remainder_x
      - .offset:         100
        .size:           2
        .value_kind:     hidden_remainder_y
      - .offset:         102
        .size:           2
        .value_kind:     hidden_remainder_z
      - .offset:         120
        .size:           8
        .value_kind:     hidden_global_offset_x
      - .offset:         128
        .size:           8
        .value_kind:     hidden_global_offset_y
      - .offset:         136
        .size:           8
        .value_kind:     hidden_global_offset_z
      - .offset:         144
        .size:           2
        .value_kind:     hidden_grid_dims
    .group_segment_fixed_size: 256
    .kernarg_segment_align: 8
    .kernarg_segment_size: 336
    .language:       OpenCL C
    .language_version:
      - 2
      - 0
    .max_flat_workgroup_size: 512
    .name:           _ZL23rocblas_dot_kernel_inc1ILb0ELi512ELi8ELb0E16rocblas_bfloat16PKS0_fEviT4_llS3_lliPT5_PT3_
    .private_segment_fixed_size: 0
    .sgpr_count:     32
    .sgpr_spill_count: 0
    .symbol:         _ZL23rocblas_dot_kernel_inc1ILb0ELi512ELi8ELb0E16rocblas_bfloat16PKS0_fEviT4_llS3_lliPT5_PT3_.kd
    .uniform_work_group_size: 1
    .uses_dynamic_stack: false
    .vgpr_count:     14
    .vgpr_spill_count: 0
    .wavefront_size: 64
  - .agpr_count:     0
    .args:
      - .offset:         0
        .size:           4
        .value_kind:     by_value
      - .actual_access:  read_only
        .address_space:  global
        .offset:         8
        .size:           8
        .value_kind:     global_buffer
      - .offset:         16
        .size:           8
        .value_kind:     by_value
      - .offset:         24
        .size:           4
        .value_kind:     by_value
      - .offset:         32
        .size:           8
        .value_kind:     by_value
      - .actual_access:  read_only
        .address_space:  global
        .offset:         40
        .size:           8
        .value_kind:     global_buffer
      - .offset:         48
        .size:           8
        .value_kind:     by_value
      - .offset:         56
        .size:           4
        .value_kind:     by_value
      - .offset:         64
        .size:           8
        .value_kind:     by_value
      - .offset:         72
        .size:           4
        .value_kind:     by_value
      - .actual_access:  write_only
        .address_space:  global
        .offset:         80
        .size:           8
        .value_kind:     global_buffer
      - .actual_access:  write_only
        .address_space:  global
        .offset:         88
        .size:           8
        .value_kind:     global_buffer
      - .offset:         96
        .size:           4
        .value_kind:     hidden_block_count_x
      - .offset:         100
        .size:           4
        .value_kind:     hidden_block_count_y
      - .offset:         104
        .size:           4
        .value_kind:     hidden_block_count_z
      - .offset:         108
        .size:           2
        .value_kind:     hidden_group_size_x
      - .offset:         110
        .size:           2
        .value_kind:     hidden_group_size_y
      - .offset:         112
        .size:           2
        .value_kind:     hidden_group_size_z
      - .offset:         114
        .size:           2
        .value_kind:     hidden_remainder_x
      - .offset:         116
        .size:           2
        .value_kind:     hidden_remainder_y
      - .offset:         118
        .size:           2
        .value_kind:     hidden_remainder_z
      - .offset:         136
        .size:           8
        .value_kind:     hidden_global_offset_x
      - .offset:         144
        .size:           8
        .value_kind:     hidden_global_offset_y
      - .offset:         152
        .size:           8
        .value_kind:     hidden_global_offset_z
      - .offset:         160
        .size:           2
        .value_kind:     hidden_grid_dims
    .group_segment_fixed_size: 256
    .kernarg_segment_align: 8
    .kernarg_segment_size: 352
    .language:       OpenCL C
    .language_version:
      - 2
      - 0
    .max_flat_workgroup_size: 512
    .name:           _ZL18rocblas_dot_kernelIiLb0ELi512ELi8ELb0E16rocblas_bfloat16PKS0_fEviT5_lT_lS3_lS4_liPT6_PT4_
    .private_segment_fixed_size: 0
    .sgpr_count:     32
    .sgpr_spill_count: 0
    .symbol:         _ZL18rocblas_dot_kernelIiLb0ELi512ELi8ELb0E16rocblas_bfloat16PKS0_fEviT5_lT_lS3_lS4_liPT6_PT4_.kd
    .uniform_work_group_size: 1
    .uses_dynamic_stack: false
    .vgpr_count:     11
    .vgpr_spill_count: 0
    .wavefront_size: 64
  - .agpr_count:     0
    .args:
      - .offset:         0
        .size:           4
        .value_kind:     by_value
      - .actual_access:  read_only
        .address_space:  global
        .offset:         8
        .size:           8
        .value_kind:     global_buffer
      - .offset:         16
        .size:           8
        .value_kind:     by_value
      - .offset:         24
        .size:           4
        .value_kind:     by_value
      - .offset:         32
        .size:           8
        .value_kind:     by_value
      - .offset:         40
        .size:           4
        .value_kind:     by_value
      - .actual_access:  write_only
        .address_space:  global
        .offset:         48
        .size:           8
        .value_kind:     global_buffer
      - .actual_access:  write_only
        .address_space:  global
        .offset:         56
        .size:           8
        .value_kind:     global_buffer
      - .offset:         64
        .size:           4
        .value_kind:     hidden_block_count_x
      - .offset:         68
        .size:           4
        .value_kind:     hidden_block_count_y
      - .offset:         72
        .size:           4
        .value_kind:     hidden_block_count_z
      - .offset:         76
        .size:           2
        .value_kind:     hidden_group_size_x
      - .offset:         78
        .size:           2
        .value_kind:     hidden_group_size_y
      - .offset:         80
        .size:           2
        .value_kind:     hidden_group_size_z
      - .offset:         82
        .size:           2
        .value_kind:     hidden_remainder_x
      - .offset:         84
        .size:           2
        .value_kind:     hidden_remainder_y
      - .offset:         86
        .size:           2
        .value_kind:     hidden_remainder_z
      - .offset:         104
        .size:           8
        .value_kind:     hidden_global_offset_x
      - .offset:         112
        .size:           8
        .value_kind:     hidden_global_offset_y
      - .offset:         120
        .size:           8
        .value_kind:     hidden_global_offset_z
      - .offset:         128
        .size:           2
        .value_kind:     hidden_grid_dims
    .group_segment_fixed_size: 256
    .kernarg_segment_align: 8
    .kernarg_segment_size: 320
    .language:       OpenCL C
    .language_version:
      - 2
      - 0
    .max_flat_workgroup_size: 512
    .name:           _ZL24rocblas_dot_kernel_magsqIiLb0ELi512ELi8ELb0E16rocblas_bfloat16PKS0_fEviT5_lT_liPT6_PT4_
    .private_segment_fixed_size: 0
    .sgpr_count:     28
    .sgpr_spill_count: 0
    .symbol:         _ZL24rocblas_dot_kernel_magsqIiLb0ELi512ELi8ELb0E16rocblas_bfloat16PKS0_fEviT5_lT_liPT6_PT4_.kd
    .uniform_work_group_size: 1
    .uses_dynamic_stack: false
    .vgpr_count:     9
    .vgpr_spill_count: 0
    .wavefront_size: 64
  - .agpr_count:     0
    .args:
      - .offset:         0
        .size:           4
        .value_kind:     by_value
      - .actual_access:  read_only
        .address_space:  global
        .offset:         8
        .size:           8
        .value_kind:     global_buffer
      - .offset:         16
        .size:           8
        .value_kind:     by_value
      - .offset:         24
        .size:           4
        .value_kind:     by_value
      - .offset:         32
        .size:           8
        .value_kind:     by_value
      - .actual_access:  read_only
        .address_space:  global
        .offset:         40
        .size:           8
        .value_kind:     global_buffer
      - .offset:         48
        .size:           8
        .value_kind:     by_value
      - .offset:         56
        .size:           4
        .value_kind:     by_value
      - .offset:         64
        .size:           8
        .value_kind:     by_value
      - .offset:         72
        .size:           4
        .value_kind:     by_value
      - .actual_access:  write_only
        .address_space:  global
        .offset:         80
        .size:           8
        .value_kind:     global_buffer
    .group_segment_fixed_size: 0
    .kernarg_segment_align: 8
    .kernarg_segment_size: 88
    .language:       OpenCL C
    .language_version:
      - 2
      - 0
    .max_flat_workgroup_size: 128
    .name:           _ZL28rocblas_dot_batched_4_kernelIiLi32ELi4ELb0EffPK16rocblas_bfloat16EviT5_lT_lS3_lS4_liPT4_
    .private_segment_fixed_size: 0
    .sgpr_count:     28
    .sgpr_spill_count: 0
    .symbol:         _ZL28rocblas_dot_batched_4_kernelIiLi32ELi4ELb0EffPK16rocblas_bfloat16EviT5_lT_lS3_lS4_liPT4_.kd
    .uniform_work_group_size: 1
    .uses_dynamic_stack: false
    .vgpr_count:     13
    .vgpr_spill_count: 0
    .wavefront_size: 64
  - .agpr_count:     0
    .args:
      - .offset:         0
        .size:           4
        .value_kind:     by_value
      - .actual_access:  read_only
        .address_space:  global
        .offset:         8
        .size:           8
        .value_kind:     global_buffer
      - .offset:         16
        .size:           8
        .value_kind:     by_value
      - .offset:         24
        .size:           4
        .value_kind:     by_value
      - .offset:         32
        .size:           8
        .value_kind:     by_value
      - .actual_access:  read_only
        .address_space:  global
        .offset:         40
        .size:           8
        .value_kind:     global_buffer
      - .offset:         48
        .size:           8
        .value_kind:     by_value
      - .offset:         56
        .size:           4
        .value_kind:     by_value
      - .offset:         64
        .size:           8
        .value_kind:     by_value
      - .offset:         72
        .size:           4
        .value_kind:     by_value
      - .actual_access:  write_only
        .address_space:  global
        .offset:         80
        .size:           8
        .value_kind:     global_buffer
    .group_segment_fixed_size: 0
    .kernarg_segment_align: 8
    .kernarg_segment_size: 88
    .language:       OpenCL C
    .language_version:
      - 2
      - 0
    .max_flat_workgroup_size: 256
    .name:           _ZL28rocblas_dot_batched_4_kernelIiLi64ELi4ELb0EffPK16rocblas_bfloat16EviT5_lT_lS3_lS4_liPT4_
    .private_segment_fixed_size: 0
    .sgpr_count:     28
    .sgpr_spill_count: 0
    .symbol:         _ZL28rocblas_dot_batched_4_kernelIiLi64ELi4ELb0EffPK16rocblas_bfloat16EviT5_lT_lS3_lS4_liPT4_.kd
    .uniform_work_group_size: 1
    .uses_dynamic_stack: false
    .vgpr_count:     13
    .vgpr_spill_count: 0
    .wavefront_size: 64
  - .agpr_count:     0
    .args:
      - .offset:         0
        .size:           4
        .value_kind:     by_value
      - .actual_access:  read_only
        .address_space:  global
        .offset:         8
        .size:           8
        .value_kind:     global_buffer
      - .offset:         16
        .size:           8
        .value_kind:     by_value
      - .offset:         24
        .size:           4
        .value_kind:     by_value
      - .offset:         32
        .size:           8
        .value_kind:     by_value
      - .actual_access:  read_only
        .address_space:  global
        .offset:         40
        .size:           8
        .value_kind:     global_buffer
      - .offset:         48
        .size:           8
        .value_kind:     by_value
      - .offset:         56
        .size:           4
        .value_kind:     by_value
      - .offset:         64
        .size:           8
        .value_kind:     by_value
      - .offset:         72
        .size:           4
        .value_kind:     by_value
      - .actual_access:  read_only
        .address_space:  global
        .offset:         80
        .size:           8
        .value_kind:     global_buffer
      - .actual_access:  write_only
        .address_space:  global
        .offset:         88
        .size:           8
        .value_kind:     global_buffer
      - .offset:         96
        .size:           4
        .value_kind:     hidden_block_count_x
      - .offset:         100
        .size:           4
        .value_kind:     hidden_block_count_y
      - .offset:         104
        .size:           4
        .value_kind:     hidden_block_count_z
      - .offset:         108
        .size:           2
        .value_kind:     hidden_group_size_x
      - .offset:         110
        .size:           2
        .value_kind:     hidden_group_size_y
      - .offset:         112
        .size:           2
        .value_kind:     hidden_group_size_z
      - .offset:         114
        .size:           2
        .value_kind:     hidden_remainder_x
      - .offset:         116
        .size:           2
        .value_kind:     hidden_remainder_y
      - .offset:         118
        .size:           2
        .value_kind:     hidden_remainder_z
      - .offset:         136
        .size:           8
        .value_kind:     hidden_global_offset_x
      - .offset:         144
        .size:           8
        .value_kind:     hidden_global_offset_y
      - .offset:         152
        .size:           8
        .value_kind:     hidden_global_offset_z
      - .offset:         160
        .size:           2
        .value_kind:     hidden_grid_dims
    .group_segment_fixed_size: 256
    .kernarg_segment_align: 8
    .kernarg_segment_size: 352
    .language:       OpenCL C
    .language_version:
      - 2
      - 0
    .max_flat_workgroup_size: 1024
    .name:           _ZL18rocblas_dot_kernelIiLb1ELi1024ELi32ELb0EfPK16rocblas_bfloat16fEviT5_lT_lS3_lS4_liPT6_PT4_
    .private_segment_fixed_size: 0
    .sgpr_count:     28
    .sgpr_spill_count: 0
    .symbol:         _ZL18rocblas_dot_kernelIiLb1ELi1024ELi32ELb0EfPK16rocblas_bfloat16fEviT5_lT_lS3_lS4_liPT6_PT4_.kd
    .uniform_work_group_size: 1
    .uses_dynamic_stack: false
    .vgpr_count:     11
    .vgpr_spill_count: 0
    .wavefront_size: 64
  - .agpr_count:     0
    .args:
      - .offset:         0
        .size:           4
        .value_kind:     by_value
      - .actual_access:  read_only
        .address_space:  global
        .offset:         8
        .size:           8
        .value_kind:     global_buffer
      - .offset:         16
        .size:           8
        .value_kind:     by_value
      - .offset:         24
        .size:           4
        .value_kind:     by_value
      - .offset:         32
        .size:           8
        .value_kind:     by_value
      - .offset:         40
        .size:           4
        .value_kind:     by_value
      - .actual_access:  read_only
        .address_space:  global
        .offset:         48
        .size:           8
        .value_kind:     global_buffer
      - .actual_access:  write_only
        .address_space:  global
        .offset:         56
        .size:           8
        .value_kind:     global_buffer
      - .offset:         64
        .size:           4
        .value_kind:     hidden_block_count_x
      - .offset:         68
        .size:           4
        .value_kind:     hidden_block_count_y
      - .offset:         72
        .size:           4
        .value_kind:     hidden_block_count_z
      - .offset:         76
        .size:           2
        .value_kind:     hidden_group_size_x
      - .offset:         78
        .size:           2
        .value_kind:     hidden_group_size_y
      - .offset:         80
        .size:           2
        .value_kind:     hidden_group_size_z
      - .offset:         82
        .size:           2
        .value_kind:     hidden_remainder_x
      - .offset:         84
        .size:           2
        .value_kind:     hidden_remainder_y
      - .offset:         86
        .size:           2
        .value_kind:     hidden_remainder_z
      - .offset:         104
        .size:           8
        .value_kind:     hidden_global_offset_x
      - .offset:         112
        .size:           8
        .value_kind:     hidden_global_offset_y
      - .offset:         120
        .size:           8
        .value_kind:     hidden_global_offset_z
      - .offset:         128
        .size:           2
        .value_kind:     hidden_grid_dims
    .group_segment_fixed_size: 256
    .kernarg_segment_align: 8
    .kernarg_segment_size: 320
    .language:       OpenCL C
    .language_version:
      - 2
      - 0
    .max_flat_workgroup_size: 1024
    .name:           _ZL24rocblas_dot_kernel_magsqIiLb1ELi1024ELi32ELb0EfPK16rocblas_bfloat16fEviT5_lT_liPT6_PT4_
    .private_segment_fixed_size: 0
    .sgpr_count:     24
    .sgpr_spill_count: 0
    .symbol:         _ZL24rocblas_dot_kernel_magsqIiLb1ELi1024ELi32ELb0EfPK16rocblas_bfloat16fEviT5_lT_liPT6_PT4_.kd
    .uniform_work_group_size: 1
    .uses_dynamic_stack: false
    .vgpr_count:     10
    .vgpr_spill_count: 0
    .wavefront_size: 64
  - .agpr_count:     0
    .args:
      - .offset:         0
        .size:           4
        .value_kind:     by_value
      - .actual_access:  read_only
        .address_space:  global
        .offset:         8
        .size:           8
        .value_kind:     global_buffer
      - .offset:         16
        .size:           8
        .value_kind:     by_value
      - .offset:         24
        .size:           4
        .value_kind:     by_value
      - .offset:         32
        .size:           8
        .value_kind:     by_value
      - .actual_access:  read_only
        .address_space:  global
        .offset:         40
        .size:           8
        .value_kind:     global_buffer
      - .offset:         48
        .size:           8
        .value_kind:     by_value
      - .offset:         56
        .size:           4
        .value_kind:     by_value
      - .offset:         64
        .size:           8
        .value_kind:     by_value
      - .actual_access:  read_only
        .address_space:  global
        .offset:         72
        .size:           8
        .value_kind:     global_buffer
      - .actual_access:  read_only
        .address_space:  global
        .offset:         80
        .size:           8
        .value_kind:     global_buffer
    .group_segment_fixed_size: 0
    .kernarg_segment_align: 8
    .kernarg_segment_size: 88
    .language:       OpenCL C
    .language_version:
      - 2
      - 0
    .max_flat_workgroup_size: 1024
    .name:           _ZL38rocblas_dot_kernel_gfx942_float_doubleIiLi1024EfPK16rocblas_bfloat16fEviT2_lT_lS3_lS4_lPT3_PT1_
    .private_segment_fixed_size: 0
    .sgpr_count:     4
    .sgpr_spill_count: 0
    .symbol:         _ZL38rocblas_dot_kernel_gfx942_float_doubleIiLi1024EfPK16rocblas_bfloat16fEviT2_lT_lS3_lS4_lPT3_PT1_.kd
    .uniform_work_group_size: 1
    .uses_dynamic_stack: false
    .vgpr_count:     0
    .vgpr_spill_count: 0
    .wavefront_size: 64
  - .agpr_count:     0
    .args:
      - .offset:         0
        .size:           4
        .value_kind:     by_value
      - .actual_access:  read_only
        .address_space:  global
        .offset:         8
        .size:           8
        .value_kind:     global_buffer
      - .offset:         16
        .size:           8
        .value_kind:     by_value
      - .offset:         24
        .size:           4
        .value_kind:     by_value
      - .offset:         32
        .size:           8
        .value_kind:     by_value
      - .actual_access:  read_only
        .address_space:  global
        .offset:         40
        .size:           8
        .value_kind:     global_buffer
      - .offset:         48
        .size:           8
        .value_kind:     by_value
      - .offset:         56
        .size:           4
        .value_kind:     by_value
      - .offset:         64
        .size:           8
        .value_kind:     by_value
      - .offset:         72
        .size:           4
        .value_kind:     by_value
      - .actual_access:  write_only
        .address_space:  global
        .offset:         80
        .size:           8
        .value_kind:     global_buffer
      - .actual_access:  write_only
        .address_space:  global
        .offset:         88
        .size:           8
        .value_kind:     global_buffer
      - .offset:         96
        .size:           4
        .value_kind:     hidden_block_count_x
      - .offset:         100
        .size:           4
        .value_kind:     hidden_block_count_y
      - .offset:         104
        .size:           4
        .value_kind:     hidden_block_count_z
      - .offset:         108
        .size:           2
        .value_kind:     hidden_group_size_x
      - .offset:         110
        .size:           2
        .value_kind:     hidden_group_size_y
      - .offset:         112
        .size:           2
        .value_kind:     hidden_group_size_z
      - .offset:         114
        .size:           2
        .value_kind:     hidden_remainder_x
      - .offset:         116
        .size:           2
        .value_kind:     hidden_remainder_y
      - .offset:         118
        .size:           2
        .value_kind:     hidden_remainder_z
      - .offset:         136
        .size:           8
        .value_kind:     hidden_global_offset_x
      - .offset:         144
        .size:           8
        .value_kind:     hidden_global_offset_y
      - .offset:         152
        .size:           8
        .value_kind:     hidden_global_offset_z
      - .offset:         160
        .size:           2
        .value_kind:     hidden_grid_dims
    .group_segment_fixed_size: 256
    .kernarg_segment_align: 8
    .kernarg_segment_size: 352
    .language:       OpenCL C
    .language_version:
      - 2
      - 0
    .max_flat_workgroup_size: 512
    .name:           _ZL18rocblas_dot_kernelIiLb0ELi512ELi4ELb0EfPK16rocblas_bfloat16fEviT5_lT_lS3_lS4_liPT6_PT4_
    .private_segment_fixed_size: 0
    .sgpr_count:     32
    .sgpr_spill_count: 0
    .symbol:         _ZL18rocblas_dot_kernelIiLb0ELi512ELi4ELb0EfPK16rocblas_bfloat16fEviT5_lT_lS3_lS4_liPT6_PT4_.kd
    .uniform_work_group_size: 1
    .uses_dynamic_stack: false
    .vgpr_count:     11
    .vgpr_spill_count: 0
    .wavefront_size: 64
  - .agpr_count:     0
    .args:
      - .offset:         0
        .size:           4
        .value_kind:     by_value
      - .actual_access:  read_only
        .address_space:  global
        .offset:         8
        .size:           8
        .value_kind:     global_buffer
      - .offset:         16
        .size:           8
        .value_kind:     by_value
      - .offset:         24
        .size:           4
        .value_kind:     by_value
      - .offset:         32
        .size:           8
        .value_kind:     by_value
      - .offset:         40
        .size:           4
        .value_kind:     by_value
      - .actual_access:  write_only
        .address_space:  global
        .offset:         48
        .size:           8
        .value_kind:     global_buffer
      - .actual_access:  write_only
        .address_space:  global
        .offset:         56
        .size:           8
        .value_kind:     global_buffer
      - .offset:         64
        .size:           4
        .value_kind:     hidden_block_count_x
      - .offset:         68
        .size:           4
        .value_kind:     hidden_block_count_y
      - .offset:         72
        .size:           4
        .value_kind:     hidden_block_count_z
      - .offset:         76
        .size:           2
        .value_kind:     hidden_group_size_x
      - .offset:         78
        .size:           2
        .value_kind:     hidden_group_size_y
      - .offset:         80
        .size:           2
        .value_kind:     hidden_group_size_z
      - .offset:         82
        .size:           2
        .value_kind:     hidden_remainder_x
      - .offset:         84
        .size:           2
        .value_kind:     hidden_remainder_y
      - .offset:         86
        .size:           2
        .value_kind:     hidden_remainder_z
      - .offset:         104
        .size:           8
        .value_kind:     hidden_global_offset_x
      - .offset:         112
        .size:           8
        .value_kind:     hidden_global_offset_y
      - .offset:         120
        .size:           8
        .value_kind:     hidden_global_offset_z
      - .offset:         128
        .size:           2
        .value_kind:     hidden_grid_dims
    .group_segment_fixed_size: 256
    .kernarg_segment_align: 8
    .kernarg_segment_size: 320
    .language:       OpenCL C
    .language_version:
      - 2
      - 0
    .max_flat_workgroup_size: 512
    .name:           _ZL24rocblas_dot_kernel_magsqIiLb0ELi512ELi4ELb0EfPK16rocblas_bfloat16fEviT5_lT_liPT6_PT4_
    .private_segment_fixed_size: 0
    .sgpr_count:     28
    .sgpr_spill_count: 0
    .symbol:         _ZL24rocblas_dot_kernel_magsqIiLb0ELi512ELi4ELb0EfPK16rocblas_bfloat16fEviT5_lT_liPT6_PT4_.kd
    .uniform_work_group_size: 1
    .uses_dynamic_stack: false
    .vgpr_count:     9
    .vgpr_spill_count: 0
    .wavefront_size: 64
  - .agpr_count:     0
    .args:
      - .offset:         0
        .size:           4
        .value_kind:     by_value
      - .actual_access:  read_only
        .address_space:  global
        .offset:         8
        .size:           8
        .value_kind:     global_buffer
      - .offset:         16
        .size:           8
        .value_kind:     by_value
      - .offset:         24
        .size:           8
        .value_kind:     by_value
      - .offset:         32
        .size:           8
        .value_kind:     by_value
      - .actual_access:  read_only
        .address_space:  global
        .offset:         40
        .size:           8
        .value_kind:     global_buffer
      - .offset:         48
        .size:           8
        .value_kind:     by_value
      - .offset:         56
        .size:           8
        .value_kind:     by_value
      - .offset:         64
        .size:           8
        .value_kind:     by_value
      - .offset:         72
        .size:           4
        .value_kind:     by_value
      - .actual_access:  write_only
        .address_space:  global
        .offset:         80
        .size:           8
        .value_kind:     global_buffer
    .group_segment_fixed_size: 0
    .kernarg_segment_align: 8
    .kernarg_segment_size: 88
    .language:       OpenCL C
    .language_version:
      - 2
      - 0
    .max_flat_workgroup_size: 128
    .name:           _ZL28rocblas_dot_batched_4_kernelIlLi32ELi4ELb0Ef16rocblas_bfloat16PKS0_EviT5_lT_lS3_lS4_liPT4_
    .private_segment_fixed_size: 0
    .sgpr_count:     28
    .sgpr_spill_count: 0
    .symbol:         _ZL28rocblas_dot_batched_4_kernelIlLi32ELi4ELb0Ef16rocblas_bfloat16PKS0_EviT5_lT_lS3_lS4_liPT4_.kd
    .uniform_work_group_size: 1
    .uses_dynamic_stack: false
    .vgpr_count:     13
    .vgpr_spill_count: 0
    .wavefront_size: 64
  - .agpr_count:     0
    .args:
      - .offset:         0
        .size:           4
        .value_kind:     by_value
      - .actual_access:  read_only
        .address_space:  global
        .offset:         8
        .size:           8
        .value_kind:     global_buffer
      - .offset:         16
        .size:           8
        .value_kind:     by_value
      - .offset:         24
        .size:           8
        .value_kind:     by_value
      - .offset:         32
        .size:           8
        .value_kind:     by_value
      - .actual_access:  read_only
        .address_space:  global
        .offset:         40
        .size:           8
        .value_kind:     global_buffer
      - .offset:         48
        .size:           8
        .value_kind:     by_value
      - .offset:         56
        .size:           8
        .value_kind:     by_value
      - .offset:         64
        .size:           8
        .value_kind:     by_value
      - .offset:         72
        .size:           4
        .value_kind:     by_value
      - .actual_access:  write_only
        .address_space:  global
        .offset:         80
        .size:           8
        .value_kind:     global_buffer
    .group_segment_fixed_size: 0
    .kernarg_segment_align: 8
    .kernarg_segment_size: 88
    .language:       OpenCL C
    .language_version:
      - 2
      - 0
    .max_flat_workgroup_size: 256
    .name:           _ZL28rocblas_dot_batched_4_kernelIlLi64ELi4ELb0Ef16rocblas_bfloat16PKS0_EviT5_lT_lS3_lS4_liPT4_
    .private_segment_fixed_size: 0
    .sgpr_count:     28
    .sgpr_spill_count: 0
    .symbol:         _ZL28rocblas_dot_batched_4_kernelIlLi64ELi4ELb0Ef16rocblas_bfloat16PKS0_EviT5_lT_lS3_lS4_liPT4_.kd
    .uniform_work_group_size: 1
    .uses_dynamic_stack: false
    .vgpr_count:     13
    .vgpr_spill_count: 0
    .wavefront_size: 64
  - .agpr_count:     0
    .args:
      - .offset:         0
        .size:           4
        .value_kind:     by_value
      - .actual_access:  read_only
        .address_space:  global
        .offset:         8
        .size:           8
        .value_kind:     global_buffer
      - .offset:         16
        .size:           8
        .value_kind:     by_value
      - .offset:         24
        .size:           8
        .value_kind:     by_value
      - .offset:         32
        .size:           8
        .value_kind:     by_value
      - .actual_access:  read_only
        .address_space:  global
        .offset:         40
        .size:           8
        .value_kind:     global_buffer
      - .offset:         48
        .size:           8
        .value_kind:     by_value
      - .offset:         56
        .size:           8
        .value_kind:     by_value
      - .offset:         64
        .size:           8
        .value_kind:     by_value
      - .offset:         72
        .size:           4
        .value_kind:     by_value
      - .actual_access:  read_only
        .address_space:  global
        .offset:         80
        .size:           8
        .value_kind:     global_buffer
      - .actual_access:  write_only
        .address_space:  global
        .offset:         88
        .size:           8
        .value_kind:     global_buffer
      - .offset:         96
        .size:           4
        .value_kind:     hidden_block_count_x
      - .offset:         100
        .size:           4
        .value_kind:     hidden_block_count_y
      - .offset:         104
        .size:           4
        .value_kind:     hidden_block_count_z
      - .offset:         108
        .size:           2
        .value_kind:     hidden_group_size_x
      - .offset:         110
        .size:           2
        .value_kind:     hidden_group_size_y
      - .offset:         112
        .size:           2
        .value_kind:     hidden_group_size_z
      - .offset:         114
        .size:           2
        .value_kind:     hidden_remainder_x
      - .offset:         116
        .size:           2
        .value_kind:     hidden_remainder_y
      - .offset:         118
        .size:           2
        .value_kind:     hidden_remainder_z
      - .offset:         136
        .size:           8
        .value_kind:     hidden_global_offset_x
      - .offset:         144
        .size:           8
        .value_kind:     hidden_global_offset_y
      - .offset:         152
        .size:           8
        .value_kind:     hidden_global_offset_z
      - .offset:         160
        .size:           2
        .value_kind:     hidden_grid_dims
    .group_segment_fixed_size: 256
    .kernarg_segment_align: 8
    .kernarg_segment_size: 352
    .language:       OpenCL C
    .language_version:
      - 2
      - 0
    .max_flat_workgroup_size: 1024
    .name:           _ZL18rocblas_dot_kernelIlLb1ELi1024ELi32ELb0E16rocblas_bfloat16PKS0_fEviT5_lT_lS3_lS4_liPT6_PT4_
    .private_segment_fixed_size: 0
    .sgpr_count:     30
    .sgpr_spill_count: 0
    .symbol:         _ZL18rocblas_dot_kernelIlLb1ELi1024ELi32ELb0E16rocblas_bfloat16PKS0_fEviT5_lT_lS3_lS4_liPT6_PT4_.kd
    .uniform_work_group_size: 1
    .uses_dynamic_stack: false
    .vgpr_count:     11
    .vgpr_spill_count: 0
    .wavefront_size: 64
  - .agpr_count:     0
    .args:
      - .offset:         0
        .size:           4
        .value_kind:     by_value
      - .actual_access:  read_only
        .address_space:  global
        .offset:         8
        .size:           8
        .value_kind:     global_buffer
      - .offset:         16
        .size:           8
        .value_kind:     by_value
      - .offset:         24
        .size:           8
        .value_kind:     by_value
      - .offset:         32
        .size:           8
        .value_kind:     by_value
      - .offset:         40
        .size:           4
        .value_kind:     by_value
      - .actual_access:  read_only
        .address_space:  global
        .offset:         48
        .size:           8
        .value_kind:     global_buffer
      - .actual_access:  write_only
        .address_space:  global
        .offset:         56
        .size:           8
        .value_kind:     global_buffer
      - .offset:         64
        .size:           4
        .value_kind:     hidden_block_count_x
      - .offset:         68
        .size:           4
        .value_kind:     hidden_block_count_y
      - .offset:         72
        .size:           4
        .value_kind:     hidden_block_count_z
      - .offset:         76
        .size:           2
        .value_kind:     hidden_group_size_x
      - .offset:         78
        .size:           2
        .value_kind:     hidden_group_size_y
      - .offset:         80
        .size:           2
        .value_kind:     hidden_group_size_z
      - .offset:         82
        .size:           2
        .value_kind:     hidden_remainder_x
      - .offset:         84
        .size:           2
        .value_kind:     hidden_remainder_y
      - .offset:         86
        .size:           2
        .value_kind:     hidden_remainder_z
      - .offset:         104
        .size:           8
        .value_kind:     hidden_global_offset_x
      - .offset:         112
        .size:           8
        .value_kind:     hidden_global_offset_y
      - .offset:         120
        .size:           8
        .value_kind:     hidden_global_offset_z
      - .offset:         128
        .size:           2
        .value_kind:     hidden_grid_dims
    .group_segment_fixed_size: 256
    .kernarg_segment_align: 8
    .kernarg_segment_size: 320
    .language:       OpenCL C
    .language_version:
      - 2
      - 0
    .max_flat_workgroup_size: 1024
    .name:           _ZL24rocblas_dot_kernel_magsqIlLb1ELi1024ELi32ELb0E16rocblas_bfloat16PKS0_fEviT5_lT_liPT6_PT4_
    .private_segment_fixed_size: 0
    .sgpr_count:     24
    .sgpr_spill_count: 0
    .symbol:         _ZL24rocblas_dot_kernel_magsqIlLb1ELi1024ELi32ELb0E16rocblas_bfloat16PKS0_fEviT5_lT_liPT6_PT4_.kd
    .uniform_work_group_size: 1
    .uses_dynamic_stack: false
    .vgpr_count:     10
    .vgpr_spill_count: 0
    .wavefront_size: 64
  - .agpr_count:     0
    .args:
      - .offset:         0
        .size:           4
        .value_kind:     by_value
      - .actual_access:  read_only
        .address_space:  global
        .offset:         8
        .size:           8
        .value_kind:     global_buffer
      - .offset:         16
        .size:           8
        .value_kind:     by_value
      - .offset:         24
        .size:           8
        .value_kind:     by_value
      - .offset:         32
        .size:           8
        .value_kind:     by_value
      - .actual_access:  read_only
        .address_space:  global
        .offset:         40
        .size:           8
        .value_kind:     global_buffer
      - .offset:         48
        .size:           8
        .value_kind:     by_value
      - .offset:         56
        .size:           8
        .value_kind:     by_value
      - .offset:         64
        .size:           8
        .value_kind:     by_value
      - .actual_access:  read_only
        .address_space:  global
        .offset:         72
        .size:           8
        .value_kind:     global_buffer
      - .actual_access:  read_only
        .address_space:  global
        .offset:         80
        .size:           8
        .value_kind:     global_buffer
    .group_segment_fixed_size: 0
    .kernarg_segment_align: 8
    .kernarg_segment_size: 88
    .language:       OpenCL C
    .language_version:
      - 2
      - 0
    .max_flat_workgroup_size: 1024
    .name:           _ZL38rocblas_dot_kernel_gfx942_float_doubleIlLi1024E16rocblas_bfloat16PKS0_fEviT2_lT_lS3_lS4_lPT3_PT1_
    .private_segment_fixed_size: 0
    .sgpr_count:     4
    .sgpr_spill_count: 0
    .symbol:         _ZL38rocblas_dot_kernel_gfx942_float_doubleIlLi1024E16rocblas_bfloat16PKS0_fEviT2_lT_lS3_lS4_lPT3_PT1_.kd
    .uniform_work_group_size: 1
    .uses_dynamic_stack: false
    .vgpr_count:     0
    .vgpr_spill_count: 0
    .wavefront_size: 64
  - .agpr_count:     0
    .args:
      - .offset:         0
        .size:           4
        .value_kind:     by_value
      - .actual_access:  read_only
        .address_space:  global
        .offset:         8
        .size:           8
        .value_kind:     global_buffer
      - .offset:         16
        .size:           8
        .value_kind:     by_value
      - .offset:         24
        .size:           8
        .value_kind:     by_value
      - .offset:         32
        .size:           8
        .value_kind:     by_value
      - .actual_access:  read_only
        .address_space:  global
        .offset:         40
        .size:           8
        .value_kind:     global_buffer
      - .offset:         48
        .size:           8
        .value_kind:     by_value
      - .offset:         56
        .size:           8
        .value_kind:     by_value
      - .offset:         64
        .size:           8
        .value_kind:     by_value
      - .offset:         72
        .size:           4
        .value_kind:     by_value
      - .actual_access:  write_only
        .address_space:  global
        .offset:         80
        .size:           8
        .value_kind:     global_buffer
      - .actual_access:  write_only
        .address_space:  global
        .offset:         88
        .size:           8
        .value_kind:     global_buffer
      - .offset:         96
        .size:           4
        .value_kind:     hidden_block_count_x
      - .offset:         100
        .size:           4
        .value_kind:     hidden_block_count_y
      - .offset:         104
        .size:           4
        .value_kind:     hidden_block_count_z
      - .offset:         108
        .size:           2
        .value_kind:     hidden_group_size_x
      - .offset:         110
        .size:           2
        .value_kind:     hidden_group_size_y
      - .offset:         112
        .size:           2
        .value_kind:     hidden_group_size_z
      - .offset:         114
        .size:           2
        .value_kind:     hidden_remainder_x
      - .offset:         116
        .size:           2
        .value_kind:     hidden_remainder_y
      - .offset:         118
        .size:           2
        .value_kind:     hidden_remainder_z
      - .offset:         136
        .size:           8
        .value_kind:     hidden_global_offset_x
      - .offset:         144
        .size:           8
        .value_kind:     hidden_global_offset_y
      - .offset:         152
        .size:           8
        .value_kind:     hidden_global_offset_z
      - .offset:         160
        .size:           2
        .value_kind:     hidden_grid_dims
    .group_segment_fixed_size: 256
    .kernarg_segment_align: 8
    .kernarg_segment_size: 352
    .language:       OpenCL C
    .language_version:
      - 2
      - 0
    .max_flat_workgroup_size: 512
    .name:           _ZL18rocblas_dot_kernelIlLb0ELi512ELi8ELb0E16rocblas_bfloat16PKS0_fEviT5_lT_lS3_lS4_liPT6_PT4_
    .private_segment_fixed_size: 0
    .sgpr_count:     34
    .sgpr_spill_count: 0
    .symbol:         _ZL18rocblas_dot_kernelIlLb0ELi512ELi8ELb0E16rocblas_bfloat16PKS0_fEviT5_lT_lS3_lS4_liPT6_PT4_.kd
    .uniform_work_group_size: 1
    .uses_dynamic_stack: false
    .vgpr_count:     11
    .vgpr_spill_count: 0
    .wavefront_size: 64
  - .agpr_count:     0
    .args:
      - .offset:         0
        .size:           4
        .value_kind:     by_value
      - .actual_access:  read_only
        .address_space:  global
        .offset:         8
        .size:           8
        .value_kind:     global_buffer
      - .offset:         16
        .size:           8
        .value_kind:     by_value
      - .offset:         24
        .size:           8
        .value_kind:     by_value
      - .offset:         32
        .size:           8
        .value_kind:     by_value
      - .offset:         40
        .size:           4
        .value_kind:     by_value
      - .actual_access:  write_only
        .address_space:  global
        .offset:         48
        .size:           8
        .value_kind:     global_buffer
      - .actual_access:  write_only
        .address_space:  global
        .offset:         56
        .size:           8
        .value_kind:     global_buffer
      - .offset:         64
        .size:           4
        .value_kind:     hidden_block_count_x
      - .offset:         68
        .size:           4
        .value_kind:     hidden_block_count_y
      - .offset:         72
        .size:           4
        .value_kind:     hidden_block_count_z
      - .offset:         76
        .size:           2
        .value_kind:     hidden_group_size_x
      - .offset:         78
        .size:           2
        .value_kind:     hidden_group_size_y
      - .offset:         80
        .size:           2
        .value_kind:     hidden_group_size_z
      - .offset:         82
        .size:           2
        .value_kind:     hidden_remainder_x
      - .offset:         84
        .size:           2
        .value_kind:     hidden_remainder_y
      - .offset:         86
        .size:           2
        .value_kind:     hidden_remainder_z
      - .offset:         104
        .size:           8
        .value_kind:     hidden_global_offset_x
      - .offset:         112
        .size:           8
        .value_kind:     hidden_global_offset_y
      - .offset:         120
        .size:           8
        .value_kind:     hidden_global_offset_z
      - .offset:         128
        .size:           2
        .value_kind:     hidden_grid_dims
    .group_segment_fixed_size: 256
    .kernarg_segment_align: 8
    .kernarg_segment_size: 320
    .language:       OpenCL C
    .language_version:
      - 2
      - 0
    .max_flat_workgroup_size: 512
    .name:           _ZL24rocblas_dot_kernel_magsqIlLb0ELi512ELi8ELb0E16rocblas_bfloat16PKS0_fEviT5_lT_liPT6_PT4_
    .private_segment_fixed_size: 0
    .sgpr_count:     28
    .sgpr_spill_count: 0
    .symbol:         _ZL24rocblas_dot_kernel_magsqIlLb0ELi512ELi8ELb0E16rocblas_bfloat16PKS0_fEviT5_lT_liPT6_PT4_.kd
    .uniform_work_group_size: 1
    .uses_dynamic_stack: false
    .vgpr_count:     9
    .vgpr_spill_count: 0
    .wavefront_size: 64
  - .agpr_count:     0
    .args:
      - .offset:         0
        .size:           4
        .value_kind:     by_value
      - .actual_access:  read_only
        .address_space:  global
        .offset:         8
        .size:           8
        .value_kind:     global_buffer
      - .offset:         16
        .size:           8
        .value_kind:     by_value
      - .offset:         24
        .size:           4
        .value_kind:     by_value
      - .offset:         32
        .size:           8
        .value_kind:     by_value
      - .actual_access:  read_only
        .address_space:  global
        .offset:         40
        .size:           8
        .value_kind:     global_buffer
      - .offset:         48
        .size:           8
        .value_kind:     by_value
      - .offset:         56
        .size:           4
        .value_kind:     by_value
      - .offset:         64
        .size:           8
        .value_kind:     by_value
      - .offset:         72
        .size:           4
        .value_kind:     by_value
      - .actual_access:  write_only
        .address_space:  global
        .offset:         80
        .size:           8
        .value_kind:     global_buffer
    .group_segment_fixed_size: 0
    .kernarg_segment_align: 8
    .kernarg_segment_size: 88
    .language:       OpenCL C
    .language_version:
      - 2
      - 0
    .max_flat_workgroup_size: 128
    .name:           _ZL28rocblas_dot_batched_4_kernelIiLi32ELi4ELb0EffPKfEviT5_lT_lS2_lS3_liPT4_
    .private_segment_fixed_size: 0
    .sgpr_count:     28
    .sgpr_spill_count: 0
    .symbol:         _ZL28rocblas_dot_batched_4_kernelIiLi32ELi4ELb0EffPKfEviT5_lT_lS2_lS3_liPT4_.kd
    .uniform_work_group_size: 1
    .uses_dynamic_stack: false
    .vgpr_count:     13
    .vgpr_spill_count: 0
    .wavefront_size: 64
  - .agpr_count:     0
    .args:
      - .offset:         0
        .size:           4
        .value_kind:     by_value
      - .actual_access:  read_only
        .address_space:  global
        .offset:         8
        .size:           8
        .value_kind:     global_buffer
      - .offset:         16
        .size:           8
        .value_kind:     by_value
      - .offset:         24
        .size:           4
        .value_kind:     by_value
      - .offset:         32
        .size:           8
        .value_kind:     by_value
      - .actual_access:  read_only
        .address_space:  global
        .offset:         40
        .size:           8
        .value_kind:     global_buffer
      - .offset:         48
        .size:           8
        .value_kind:     by_value
      - .offset:         56
        .size:           4
        .value_kind:     by_value
      - .offset:         64
        .size:           8
        .value_kind:     by_value
      - .offset:         72
        .size:           4
        .value_kind:     by_value
      - .actual_access:  write_only
        .address_space:  global
        .offset:         80
        .size:           8
        .value_kind:     global_buffer
    .group_segment_fixed_size: 0
    .kernarg_segment_align: 8
    .kernarg_segment_size: 88
    .language:       OpenCL C
    .language_version:
      - 2
      - 0
    .max_flat_workgroup_size: 256
    .name:           _ZL28rocblas_dot_batched_4_kernelIiLi64ELi4ELb0EffPKfEviT5_lT_lS2_lS3_liPT4_
    .private_segment_fixed_size: 0
    .sgpr_count:     28
    .sgpr_spill_count: 0
    .symbol:         _ZL28rocblas_dot_batched_4_kernelIiLi64ELi4ELb0EffPKfEviT5_lT_lS2_lS3_liPT4_.kd
    .uniform_work_group_size: 1
    .uses_dynamic_stack: false
    .vgpr_count:     13
    .vgpr_spill_count: 0
    .wavefront_size: 64
  - .agpr_count:     0
    .args:
      - .offset:         0
        .size:           4
        .value_kind:     by_value
      - .actual_access:  read_only
        .address_space:  global
        .offset:         8
        .size:           8
        .value_kind:     global_buffer
      - .offset:         16
        .size:           8
        .value_kind:     by_value
      - .offset:         24
        .size:           8
        .value_kind:     by_value
      - .actual_access:  read_only
        .address_space:  global
        .offset:         32
        .size:           8
        .value_kind:     global_buffer
      - .offset:         40
        .size:           8
        .value_kind:     by_value
      - .offset:         48
        .size:           8
        .value_kind:     by_value
      - .offset:         56
        .size:           4
        .value_kind:     by_value
      - .actual_access:  read_only
        .address_space:  global
        .offset:         64
        .size:           8
        .value_kind:     global_buffer
      - .actual_access:  write_only
        .address_space:  global
        .offset:         72
        .size:           8
        .value_kind:     global_buffer
    .group_segment_fixed_size: 256
    .kernarg_segment_align: 8
    .kernarg_segment_size: 80
    .language:       OpenCL C
    .language_version:
      - 2
      - 0
    .max_flat_workgroup_size: 1024
    .name:           _ZL26rocblas_dot_kernel_inc1by2ILb1ELi1024ELi32ELb0EfPKffEviT4_llS2_lliPT5_PT3_
    .private_segment_fixed_size: 0
    .sgpr_count:     32
    .sgpr_spill_count: 0
    .symbol:         _ZL26rocblas_dot_kernel_inc1by2ILb1ELi1024ELi32ELb0EfPKffEviT4_llS2_lliPT5_PT3_.kd
    .uniform_work_group_size: 1
    .uses_dynamic_stack: false
    .vgpr_count:     12
    .vgpr_spill_count: 0
    .wavefront_size: 64
  - .agpr_count:     0
    .args:
      - .offset:         0
        .size:           4
        .value_kind:     by_value
      - .actual_access:  read_only
        .address_space:  global
        .offset:         8
        .size:           8
        .value_kind:     global_buffer
      - .offset:         16
        .size:           8
        .value_kind:     by_value
      - .offset:         24
        .size:           4
        .value_kind:     by_value
      - .offset:         32
        .size:           8
        .value_kind:     by_value
      - .actual_access:  read_only
        .address_space:  global
        .offset:         40
        .size:           8
        .value_kind:     global_buffer
      - .offset:         48
        .size:           8
        .value_kind:     by_value
      - .offset:         56
        .size:           4
        .value_kind:     by_value
      - .offset:         64
        .size:           8
        .value_kind:     by_value
      - .offset:         72
        .size:           4
        .value_kind:     by_value
      - .actual_access:  read_only
        .address_space:  global
        .offset:         80
        .size:           8
        .value_kind:     global_buffer
      - .actual_access:  write_only
        .address_space:  global
        .offset:         88
        .size:           8
        .value_kind:     global_buffer
      - .offset:         96
        .size:           4
        .value_kind:     hidden_block_count_x
      - .offset:         100
        .size:           4
        .value_kind:     hidden_block_count_y
      - .offset:         104
        .size:           4
        .value_kind:     hidden_block_count_z
      - .offset:         108
        .size:           2
        .value_kind:     hidden_group_size_x
      - .offset:         110
        .size:           2
        .value_kind:     hidden_group_size_y
      - .offset:         112
        .size:           2
        .value_kind:     hidden_group_size_z
      - .offset:         114
        .size:           2
        .value_kind:     hidden_remainder_x
      - .offset:         116
        .size:           2
        .value_kind:     hidden_remainder_y
      - .offset:         118
        .size:           2
        .value_kind:     hidden_remainder_z
      - .offset:         136
        .size:           8
        .value_kind:     hidden_global_offset_x
      - .offset:         144
        .size:           8
        .value_kind:     hidden_global_offset_y
      - .offset:         152
        .size:           8
        .value_kind:     hidden_global_offset_z
      - .offset:         160
        .size:           2
        .value_kind:     hidden_grid_dims
    .group_segment_fixed_size: 256
    .kernarg_segment_align: 8
    .kernarg_segment_size: 352
    .language:       OpenCL C
    .language_version:
      - 2
      - 0
    .max_flat_workgroup_size: 1024
    .name:           _ZL18rocblas_dot_kernelIiLb1ELi1024ELi32ELb0EfPKffEviT5_lT_lS2_lS3_liPT6_PT4_
    .private_segment_fixed_size: 0
    .sgpr_count:     28
    .sgpr_spill_count: 0
    .symbol:         _ZL18rocblas_dot_kernelIiLb1ELi1024ELi32ELb0EfPKffEviT5_lT_lS2_lS3_liPT6_PT4_.kd
    .uniform_work_group_size: 1
    .uses_dynamic_stack: false
    .vgpr_count:     11
    .vgpr_spill_count: 0
    .wavefront_size: 64
  - .agpr_count:     0
    .args:
      - .offset:         0
        .size:           4
        .value_kind:     by_value
      - .actual_access:  read_only
        .address_space:  global
        .offset:         8
        .size:           8
        .value_kind:     global_buffer
      - .offset:         16
        .size:           8
        .value_kind:     by_value
      - .offset:         24
        .size:           4
        .value_kind:     by_value
      - .offset:         32
        .size:           8
        .value_kind:     by_value
      - .offset:         40
        .size:           4
        .value_kind:     by_value
      - .actual_access:  read_only
        .address_space:  global
        .offset:         48
        .size:           8
        .value_kind:     global_buffer
      - .actual_access:  write_only
        .address_space:  global
        .offset:         56
        .size:           8
        .value_kind:     global_buffer
      - .offset:         64
        .size:           4
        .value_kind:     hidden_block_count_x
      - .offset:         68
        .size:           4
        .value_kind:     hidden_block_count_y
      - .offset:         72
        .size:           4
        .value_kind:     hidden_block_count_z
      - .offset:         76
        .size:           2
        .value_kind:     hidden_group_size_x
      - .offset:         78
        .size:           2
        .value_kind:     hidden_group_size_y
      - .offset:         80
        .size:           2
        .value_kind:     hidden_group_size_z
      - .offset:         82
        .size:           2
        .value_kind:     hidden_remainder_x
      - .offset:         84
        .size:           2
        .value_kind:     hidden_remainder_y
      - .offset:         86
        .size:           2
        .value_kind:     hidden_remainder_z
      - .offset:         104
        .size:           8
        .value_kind:     hidden_global_offset_x
      - .offset:         112
        .size:           8
        .value_kind:     hidden_global_offset_y
      - .offset:         120
        .size:           8
        .value_kind:     hidden_global_offset_z
      - .offset:         128
        .size:           2
        .value_kind:     hidden_grid_dims
    .group_segment_fixed_size: 256
    .kernarg_segment_align: 8
    .kernarg_segment_size: 320
    .language:       OpenCL C
    .language_version:
      - 2
      - 0
    .max_flat_workgroup_size: 1024
    .name:           _ZL24rocblas_dot_kernel_magsqIiLb1ELi1024ELi32ELb0EfPKffEviT5_lT_liPT6_PT4_
    .private_segment_fixed_size: 0
    .sgpr_count:     24
    .sgpr_spill_count: 0
    .symbol:         _ZL24rocblas_dot_kernel_magsqIiLb1ELi1024ELi32ELb0EfPKffEviT5_lT_liPT6_PT4_.kd
    .uniform_work_group_size: 1
    .uses_dynamic_stack: false
    .vgpr_count:     10
    .vgpr_spill_count: 0
    .wavefront_size: 64
  - .agpr_count:     0
    .args:
      - .offset:         0
        .size:           4
        .value_kind:     by_value
      - .actual_access:  read_only
        .address_space:  global
        .offset:         8
        .size:           8
        .value_kind:     global_buffer
      - .offset:         16
        .size:           8
        .value_kind:     by_value
      - .offset:         24
        .size:           4
        .value_kind:     by_value
      - .offset:         32
        .size:           8
        .value_kind:     by_value
      - .actual_access:  read_only
        .address_space:  global
        .offset:         40
        .size:           8
        .value_kind:     global_buffer
      - .offset:         48
        .size:           8
        .value_kind:     by_value
      - .offset:         56
        .size:           4
        .value_kind:     by_value
      - .offset:         64
        .size:           8
        .value_kind:     by_value
      - .actual_access:  read_only
        .address_space:  global
        .offset:         72
        .size:           8
        .value_kind:     global_buffer
      - .actual_access:  read_only
        .address_space:  global
        .offset:         80
        .size:           8
        .value_kind:     global_buffer
    .group_segment_fixed_size: 0
    .kernarg_segment_align: 8
    .kernarg_segment_size: 88
    .language:       OpenCL C
    .language_version:
      - 2
      - 0
    .max_flat_workgroup_size: 1024
    .name:           _ZL38rocblas_dot_kernel_gfx942_float_doubleIiLi1024EfPKffEviT2_lT_lS2_lS3_lPT3_PT1_
    .private_segment_fixed_size: 0
    .sgpr_count:     4
    .sgpr_spill_count: 0
    .symbol:         _ZL38rocblas_dot_kernel_gfx942_float_doubleIiLi1024EfPKffEviT2_lT_lS2_lS3_lPT3_PT1_.kd
    .uniform_work_group_size: 1
    .uses_dynamic_stack: false
    .vgpr_count:     0
    .vgpr_spill_count: 0
    .wavefront_size: 64
  - .agpr_count:     0
    .args:
      - .offset:         0
        .size:           4
        .value_kind:     by_value
      - .actual_access:  read_only
        .address_space:  global
        .offset:         8
        .size:           8
        .value_kind:     global_buffer
      - .offset:         16
        .size:           8
        .value_kind:     by_value
      - .offset:         24
        .size:           8
        .value_kind:     by_value
      - .actual_access:  read_only
        .address_space:  global
        .offset:         32
        .size:           8
        .value_kind:     global_buffer
      - .offset:         40
        .size:           8
        .value_kind:     by_value
      - .offset:         48
        .size:           8
        .value_kind:     by_value
      - .offset:         56
        .size:           4
        .value_kind:     by_value
      - .actual_access:  write_only
        .address_space:  global
        .offset:         64
        .size:           8
        .value_kind:     global_buffer
      - .actual_access:  write_only
        .address_space:  global
        .offset:         72
        .size:           8
        .value_kind:     global_buffer
      - .offset:         80
        .size:           4
        .value_kind:     hidden_block_count_x
      - .offset:         84
        .size:           4
        .value_kind:     hidden_block_count_y
      - .offset:         88
        .size:           4
        .value_kind:     hidden_block_count_z
      - .offset:         92
        .size:           2
        .value_kind:     hidden_group_size_x
      - .offset:         94
        .size:           2
        .value_kind:     hidden_group_size_y
      - .offset:         96
        .size:           2
        .value_kind:     hidden_group_size_z
      - .offset:         98
        .size:           2
        .value_kind:     hidden_remainder_x
      - .offset:         100
        .size:           2
        .value_kind:     hidden_remainder_y
      - .offset:         102
        .size:           2
        .value_kind:     hidden_remainder_z
      - .offset:         120
        .size:           8
        .value_kind:     hidden_global_offset_x
      - .offset:         128
        .size:           8
        .value_kind:     hidden_global_offset_y
      - .offset:         136
        .size:           8
        .value_kind:     hidden_global_offset_z
      - .offset:         144
        .size:           2
        .value_kind:     hidden_grid_dims
    .group_segment_fixed_size: 256
    .kernarg_segment_align: 8
    .kernarg_segment_size: 336
    .language:       OpenCL C
    .language_version:
      - 2
      - 0
    .max_flat_workgroup_size: 512
    .name:           _ZL23rocblas_dot_kernel_inc1ILb0ELi512ELi4ELb0EfPKffEviT4_llS2_lliPT5_PT3_
    .private_segment_fixed_size: 0
    .sgpr_count:     32
    .sgpr_spill_count: 0
    .symbol:         _ZL23rocblas_dot_kernel_inc1ILb0ELi512ELi4ELb0EfPKffEviT4_llS2_lliPT5_PT3_.kd
    .uniform_work_group_size: 1
    .uses_dynamic_stack: false
    .vgpr_count:     14
    .vgpr_spill_count: 0
    .wavefront_size: 64
  - .agpr_count:     0
    .args:
      - .offset:         0
        .size:           4
        .value_kind:     by_value
      - .actual_access:  read_only
        .address_space:  global
        .offset:         8
        .size:           8
        .value_kind:     global_buffer
      - .offset:         16
        .size:           8
        .value_kind:     by_value
      - .offset:         24
        .size:           4
        .value_kind:     by_value
      - .offset:         32
        .size:           8
        .value_kind:     by_value
      - .actual_access:  read_only
        .address_space:  global
        .offset:         40
        .size:           8
        .value_kind:     global_buffer
      - .offset:         48
        .size:           8
        .value_kind:     by_value
      - .offset:         56
        .size:           4
        .value_kind:     by_value
      - .offset:         64
        .size:           8
        .value_kind:     by_value
      - .offset:         72
        .size:           4
        .value_kind:     by_value
      - .actual_access:  write_only
        .address_space:  global
        .offset:         80
        .size:           8
        .value_kind:     global_buffer
      - .actual_access:  write_only
        .address_space:  global
        .offset:         88
        .size:           8
        .value_kind:     global_buffer
      - .offset:         96
        .size:           4
        .value_kind:     hidden_block_count_x
      - .offset:         100
        .size:           4
        .value_kind:     hidden_block_count_y
      - .offset:         104
        .size:           4
        .value_kind:     hidden_block_count_z
      - .offset:         108
        .size:           2
        .value_kind:     hidden_group_size_x
      - .offset:         110
        .size:           2
        .value_kind:     hidden_group_size_y
      - .offset:         112
        .size:           2
        .value_kind:     hidden_group_size_z
      - .offset:         114
        .size:           2
        .value_kind:     hidden_remainder_x
      - .offset:         116
        .size:           2
        .value_kind:     hidden_remainder_y
      - .offset:         118
        .size:           2
        .value_kind:     hidden_remainder_z
      - .offset:         136
        .size:           8
        .value_kind:     hidden_global_offset_x
      - .offset:         144
        .size:           8
        .value_kind:     hidden_global_offset_y
      - .offset:         152
        .size:           8
        .value_kind:     hidden_global_offset_z
      - .offset:         160
        .size:           2
        .value_kind:     hidden_grid_dims
    .group_segment_fixed_size: 256
    .kernarg_segment_align: 8
    .kernarg_segment_size: 352
    .language:       OpenCL C
    .language_version:
      - 2
      - 0
    .max_flat_workgroup_size: 512
    .name:           _ZL18rocblas_dot_kernelIiLb0ELi512ELi4ELb0EfPKffEviT5_lT_lS2_lS3_liPT6_PT4_
    .private_segment_fixed_size: 0
    .sgpr_count:     32
    .sgpr_spill_count: 0
    .symbol:         _ZL18rocblas_dot_kernelIiLb0ELi512ELi4ELb0EfPKffEviT5_lT_lS2_lS3_liPT6_PT4_.kd
    .uniform_work_group_size: 1
    .uses_dynamic_stack: false
    .vgpr_count:     11
    .vgpr_spill_count: 0
    .wavefront_size: 64
  - .agpr_count:     0
    .args:
      - .offset:         0
        .size:           4
        .value_kind:     by_value
      - .actual_access:  read_only
        .address_space:  global
        .offset:         8
        .size:           8
        .value_kind:     global_buffer
      - .offset:         16
        .size:           8
        .value_kind:     by_value
      - .offset:         24
        .size:           4
        .value_kind:     by_value
      - .offset:         32
        .size:           8
        .value_kind:     by_value
      - .offset:         40
        .size:           4
        .value_kind:     by_value
      - .actual_access:  write_only
        .address_space:  global
        .offset:         48
        .size:           8
        .value_kind:     global_buffer
      - .actual_access:  write_only
        .address_space:  global
        .offset:         56
        .size:           8
        .value_kind:     global_buffer
      - .offset:         64
        .size:           4
        .value_kind:     hidden_block_count_x
      - .offset:         68
        .size:           4
        .value_kind:     hidden_block_count_y
      - .offset:         72
        .size:           4
        .value_kind:     hidden_block_count_z
      - .offset:         76
        .size:           2
        .value_kind:     hidden_group_size_x
      - .offset:         78
        .size:           2
        .value_kind:     hidden_group_size_y
      - .offset:         80
        .size:           2
        .value_kind:     hidden_group_size_z
      - .offset:         82
        .size:           2
        .value_kind:     hidden_remainder_x
      - .offset:         84
        .size:           2
        .value_kind:     hidden_remainder_y
      - .offset:         86
        .size:           2
        .value_kind:     hidden_remainder_z
      - .offset:         104
        .size:           8
        .value_kind:     hidden_global_offset_x
      - .offset:         112
        .size:           8
        .value_kind:     hidden_global_offset_y
      - .offset:         120
        .size:           8
        .value_kind:     hidden_global_offset_z
      - .offset:         128
        .size:           2
        .value_kind:     hidden_grid_dims
    .group_segment_fixed_size: 256
    .kernarg_segment_align: 8
    .kernarg_segment_size: 320
    .language:       OpenCL C
    .language_version:
      - 2
      - 0
    .max_flat_workgroup_size: 512
    .name:           _ZL24rocblas_dot_kernel_magsqIiLb0ELi512ELi4ELb0EfPKffEviT5_lT_liPT6_PT4_
    .private_segment_fixed_size: 0
    .sgpr_count:     28
    .sgpr_spill_count: 0
    .symbol:         _ZL24rocblas_dot_kernel_magsqIiLb0ELi512ELi4ELb0EfPKffEviT5_lT_liPT6_PT4_.kd
    .uniform_work_group_size: 1
    .uses_dynamic_stack: false
    .vgpr_count:     9
    .vgpr_spill_count: 0
    .wavefront_size: 64
  - .agpr_count:     0
    .args:
      - .offset:         0
        .size:           4
        .value_kind:     by_value
      - .actual_access:  read_only
        .address_space:  global
        .offset:         8
        .size:           8
        .value_kind:     global_buffer
      - .offset:         16
        .size:           8
        .value_kind:     by_value
      - .offset:         24
        .size:           8
        .value_kind:     by_value
      - .offset:         32
        .size:           8
        .value_kind:     by_value
      - .actual_access:  read_only
        .address_space:  global
        .offset:         40
        .size:           8
        .value_kind:     global_buffer
      - .offset:         48
        .size:           8
        .value_kind:     by_value
      - .offset:         56
        .size:           8
        .value_kind:     by_value
      - .offset:         64
        .size:           8
        .value_kind:     by_value
      - .offset:         72
        .size:           4
        .value_kind:     by_value
      - .actual_access:  write_only
        .address_space:  global
        .offset:         80
        .size:           8
        .value_kind:     global_buffer
    .group_segment_fixed_size: 0
    .kernarg_segment_align: 8
    .kernarg_segment_size: 88
    .language:       OpenCL C
    .language_version:
      - 2
      - 0
    .max_flat_workgroup_size: 128
    .name:           _ZL28rocblas_dot_batched_4_kernelIlLi32ELi4ELb0EffPKfEviT5_lT_lS2_lS3_liPT4_
    .private_segment_fixed_size: 0
    .sgpr_count:     28
    .sgpr_spill_count: 0
    .symbol:         _ZL28rocblas_dot_batched_4_kernelIlLi32ELi4ELb0EffPKfEviT5_lT_lS2_lS3_liPT4_.kd
    .uniform_work_group_size: 1
    .uses_dynamic_stack: false
    .vgpr_count:     13
    .vgpr_spill_count: 0
    .wavefront_size: 64
  - .agpr_count:     0
    .args:
      - .offset:         0
        .size:           4
        .value_kind:     by_value
      - .actual_access:  read_only
        .address_space:  global
        .offset:         8
        .size:           8
        .value_kind:     global_buffer
      - .offset:         16
        .size:           8
        .value_kind:     by_value
      - .offset:         24
        .size:           8
        .value_kind:     by_value
      - .offset:         32
        .size:           8
        .value_kind:     by_value
      - .actual_access:  read_only
        .address_space:  global
        .offset:         40
        .size:           8
        .value_kind:     global_buffer
      - .offset:         48
        .size:           8
        .value_kind:     by_value
      - .offset:         56
        .size:           8
        .value_kind:     by_value
      - .offset:         64
        .size:           8
        .value_kind:     by_value
      - .offset:         72
        .size:           4
        .value_kind:     by_value
      - .actual_access:  write_only
        .address_space:  global
        .offset:         80
        .size:           8
        .value_kind:     global_buffer
    .group_segment_fixed_size: 0
    .kernarg_segment_align: 8
    .kernarg_segment_size: 88
    .language:       OpenCL C
    .language_version:
      - 2
      - 0
    .max_flat_workgroup_size: 256
    .name:           _ZL28rocblas_dot_batched_4_kernelIlLi64ELi4ELb0EffPKfEviT5_lT_lS2_lS3_liPT4_
    .private_segment_fixed_size: 0
    .sgpr_count:     28
    .sgpr_spill_count: 0
    .symbol:         _ZL28rocblas_dot_batched_4_kernelIlLi64ELi4ELb0EffPKfEviT5_lT_lS2_lS3_liPT4_.kd
    .uniform_work_group_size: 1
    .uses_dynamic_stack: false
    .vgpr_count:     13
    .vgpr_spill_count: 0
    .wavefront_size: 64
  - .agpr_count:     0
    .args:
      - .offset:         0
        .size:           4
        .value_kind:     by_value
      - .actual_access:  read_only
        .address_space:  global
        .offset:         8
        .size:           8
        .value_kind:     global_buffer
      - .offset:         16
        .size:           8
        .value_kind:     by_value
      - .offset:         24
        .size:           8
        .value_kind:     by_value
      - .offset:         32
        .size:           8
        .value_kind:     by_value
      - .actual_access:  read_only
        .address_space:  global
        .offset:         40
        .size:           8
        .value_kind:     global_buffer
      - .offset:         48
        .size:           8
        .value_kind:     by_value
      - .offset:         56
        .size:           8
        .value_kind:     by_value
      - .offset:         64
        .size:           8
        .value_kind:     by_value
      - .offset:         72
        .size:           4
        .value_kind:     by_value
      - .actual_access:  read_only
        .address_space:  global
        .offset:         80
        .size:           8
        .value_kind:     global_buffer
      - .actual_access:  write_only
        .address_space:  global
        .offset:         88
        .size:           8
        .value_kind:     global_buffer
      - .offset:         96
        .size:           4
        .value_kind:     hidden_block_count_x
      - .offset:         100
        .size:           4
        .value_kind:     hidden_block_count_y
      - .offset:         104
        .size:           4
        .value_kind:     hidden_block_count_z
      - .offset:         108
        .size:           2
        .value_kind:     hidden_group_size_x
      - .offset:         110
        .size:           2
        .value_kind:     hidden_group_size_y
      - .offset:         112
        .size:           2
        .value_kind:     hidden_group_size_z
      - .offset:         114
        .size:           2
        .value_kind:     hidden_remainder_x
      - .offset:         116
        .size:           2
        .value_kind:     hidden_remainder_y
      - .offset:         118
        .size:           2
        .value_kind:     hidden_remainder_z
      - .offset:         136
        .size:           8
        .value_kind:     hidden_global_offset_x
      - .offset:         144
        .size:           8
        .value_kind:     hidden_global_offset_y
      - .offset:         152
        .size:           8
        .value_kind:     hidden_global_offset_z
      - .offset:         160
        .size:           2
        .value_kind:     hidden_grid_dims
    .group_segment_fixed_size: 256
    .kernarg_segment_align: 8
    .kernarg_segment_size: 352
    .language:       OpenCL C
    .language_version:
      - 2
      - 0
    .max_flat_workgroup_size: 1024
    .name:           _ZL18rocblas_dot_kernelIlLb1ELi1024ELi32ELb0EfPKffEviT5_lT_lS2_lS3_liPT6_PT4_
    .private_segment_fixed_size: 0
    .sgpr_count:     30
    .sgpr_spill_count: 0
    .symbol:         _ZL18rocblas_dot_kernelIlLb1ELi1024ELi32ELb0EfPKffEviT5_lT_lS2_lS3_liPT6_PT4_.kd
    .uniform_work_group_size: 1
    .uses_dynamic_stack: false
    .vgpr_count:     11
    .vgpr_spill_count: 0
    .wavefront_size: 64
  - .agpr_count:     0
    .args:
      - .offset:         0
        .size:           4
        .value_kind:     by_value
      - .actual_access:  read_only
        .address_space:  global
        .offset:         8
        .size:           8
        .value_kind:     global_buffer
      - .offset:         16
        .size:           8
        .value_kind:     by_value
      - .offset:         24
        .size:           8
        .value_kind:     by_value
      - .offset:         32
        .size:           8
        .value_kind:     by_value
      - .offset:         40
        .size:           4
        .value_kind:     by_value
      - .actual_access:  read_only
        .address_space:  global
        .offset:         48
        .size:           8
        .value_kind:     global_buffer
      - .actual_access:  write_only
        .address_space:  global
        .offset:         56
        .size:           8
        .value_kind:     global_buffer
      - .offset:         64
        .size:           4
        .value_kind:     hidden_block_count_x
      - .offset:         68
        .size:           4
        .value_kind:     hidden_block_count_y
      - .offset:         72
        .size:           4
        .value_kind:     hidden_block_count_z
      - .offset:         76
        .size:           2
        .value_kind:     hidden_group_size_x
      - .offset:         78
        .size:           2
        .value_kind:     hidden_group_size_y
      - .offset:         80
        .size:           2
        .value_kind:     hidden_group_size_z
      - .offset:         82
        .size:           2
        .value_kind:     hidden_remainder_x
      - .offset:         84
        .size:           2
        .value_kind:     hidden_remainder_y
      - .offset:         86
        .size:           2
        .value_kind:     hidden_remainder_z
      - .offset:         104
        .size:           8
        .value_kind:     hidden_global_offset_x
      - .offset:         112
        .size:           8
        .value_kind:     hidden_global_offset_y
      - .offset:         120
        .size:           8
        .value_kind:     hidden_global_offset_z
      - .offset:         128
        .size:           2
        .value_kind:     hidden_grid_dims
    .group_segment_fixed_size: 256
    .kernarg_segment_align: 8
    .kernarg_segment_size: 320
    .language:       OpenCL C
    .language_version:
      - 2
      - 0
    .max_flat_workgroup_size: 1024
    .name:           _ZL24rocblas_dot_kernel_magsqIlLb1ELi1024ELi32ELb0EfPKffEviT5_lT_liPT6_PT4_
    .private_segment_fixed_size: 0
    .sgpr_count:     24
    .sgpr_spill_count: 0
    .symbol:         _ZL24rocblas_dot_kernel_magsqIlLb1ELi1024ELi32ELb0EfPKffEviT5_lT_liPT6_PT4_.kd
    .uniform_work_group_size: 1
    .uses_dynamic_stack: false
    .vgpr_count:     10
    .vgpr_spill_count: 0
    .wavefront_size: 64
  - .agpr_count:     0
    .args:
      - .offset:         0
        .size:           4
        .value_kind:     by_value
      - .actual_access:  read_only
        .address_space:  global
        .offset:         8
        .size:           8
        .value_kind:     global_buffer
      - .offset:         16
        .size:           8
        .value_kind:     by_value
      - .offset:         24
        .size:           8
        .value_kind:     by_value
      - .offset:         32
        .size:           8
        .value_kind:     by_value
      - .actual_access:  read_only
        .address_space:  global
        .offset:         40
        .size:           8
        .value_kind:     global_buffer
      - .offset:         48
        .size:           8
        .value_kind:     by_value
      - .offset:         56
        .size:           8
        .value_kind:     by_value
      - .offset:         64
        .size:           8
        .value_kind:     by_value
      - .actual_access:  read_only
        .address_space:  global
        .offset:         72
        .size:           8
        .value_kind:     global_buffer
      - .actual_access:  read_only
        .address_space:  global
        .offset:         80
        .size:           8
        .value_kind:     global_buffer
    .group_segment_fixed_size: 0
    .kernarg_segment_align: 8
    .kernarg_segment_size: 88
    .language:       OpenCL C
    .language_version:
      - 2
      - 0
    .max_flat_workgroup_size: 1024
    .name:           _ZL38rocblas_dot_kernel_gfx942_float_doubleIlLi1024EfPKffEviT2_lT_lS2_lS3_lPT3_PT1_
    .private_segment_fixed_size: 0
    .sgpr_count:     4
    .sgpr_spill_count: 0
    .symbol:         _ZL38rocblas_dot_kernel_gfx942_float_doubleIlLi1024EfPKffEviT2_lT_lS2_lS3_lPT3_PT1_.kd
    .uniform_work_group_size: 1
    .uses_dynamic_stack: false
    .vgpr_count:     0
    .vgpr_spill_count: 0
    .wavefront_size: 64
  - .agpr_count:     0
    .args:
      - .offset:         0
        .size:           4
        .value_kind:     by_value
      - .actual_access:  read_only
        .address_space:  global
        .offset:         8
        .size:           8
        .value_kind:     global_buffer
      - .offset:         16
        .size:           8
        .value_kind:     by_value
      - .offset:         24
        .size:           8
        .value_kind:     by_value
      - .offset:         32
        .size:           8
        .value_kind:     by_value
      - .actual_access:  read_only
        .address_space:  global
        .offset:         40
        .size:           8
        .value_kind:     global_buffer
      - .offset:         48
        .size:           8
        .value_kind:     by_value
      - .offset:         56
        .size:           8
        .value_kind:     by_value
      - .offset:         64
        .size:           8
        .value_kind:     by_value
      - .offset:         72
        .size:           4
        .value_kind:     by_value
      - .actual_access:  write_only
        .address_space:  global
        .offset:         80
        .size:           8
        .value_kind:     global_buffer
      - .actual_access:  write_only
        .address_space:  global
        .offset:         88
        .size:           8
        .value_kind:     global_buffer
      - .offset:         96
        .size:           4
        .value_kind:     hidden_block_count_x
      - .offset:         100
        .size:           4
        .value_kind:     hidden_block_count_y
      - .offset:         104
        .size:           4
        .value_kind:     hidden_block_count_z
      - .offset:         108
        .size:           2
        .value_kind:     hidden_group_size_x
      - .offset:         110
        .size:           2
        .value_kind:     hidden_group_size_y
      - .offset:         112
        .size:           2
        .value_kind:     hidden_group_size_z
      - .offset:         114
        .size:           2
        .value_kind:     hidden_remainder_x
      - .offset:         116
        .size:           2
        .value_kind:     hidden_remainder_y
      - .offset:         118
        .size:           2
        .value_kind:     hidden_remainder_z
      - .offset:         136
        .size:           8
        .value_kind:     hidden_global_offset_x
      - .offset:         144
        .size:           8
        .value_kind:     hidden_global_offset_y
      - .offset:         152
        .size:           8
        .value_kind:     hidden_global_offset_z
      - .offset:         160
        .size:           2
        .value_kind:     hidden_grid_dims
    .group_segment_fixed_size: 256
    .kernarg_segment_align: 8
    .kernarg_segment_size: 352
    .language:       OpenCL C
    .language_version:
      - 2
      - 0
    .max_flat_workgroup_size: 512
    .name:           _ZL18rocblas_dot_kernelIlLb0ELi512ELi4ELb0EfPKffEviT5_lT_lS2_lS3_liPT6_PT4_
    .private_segment_fixed_size: 0
    .sgpr_count:     34
    .sgpr_spill_count: 0
    .symbol:         _ZL18rocblas_dot_kernelIlLb0ELi512ELi4ELb0EfPKffEviT5_lT_lS2_lS3_liPT6_PT4_.kd
    .uniform_work_group_size: 1
    .uses_dynamic_stack: false
    .vgpr_count:     11
    .vgpr_spill_count: 0
    .wavefront_size: 64
  - .agpr_count:     0
    .args:
      - .offset:         0
        .size:           4
        .value_kind:     by_value
      - .actual_access:  read_only
        .address_space:  global
        .offset:         8
        .size:           8
        .value_kind:     global_buffer
      - .offset:         16
        .size:           8
        .value_kind:     by_value
      - .offset:         24
        .size:           8
        .value_kind:     by_value
      - .offset:         32
        .size:           8
        .value_kind:     by_value
      - .offset:         40
        .size:           4
        .value_kind:     by_value
      - .actual_access:  write_only
        .address_space:  global
        .offset:         48
        .size:           8
        .value_kind:     global_buffer
      - .actual_access:  write_only
        .address_space:  global
        .offset:         56
        .size:           8
        .value_kind:     global_buffer
      - .offset:         64
        .size:           4
        .value_kind:     hidden_block_count_x
      - .offset:         68
        .size:           4
        .value_kind:     hidden_block_count_y
      - .offset:         72
        .size:           4
        .value_kind:     hidden_block_count_z
      - .offset:         76
        .size:           2
        .value_kind:     hidden_group_size_x
      - .offset:         78
        .size:           2
        .value_kind:     hidden_group_size_y
      - .offset:         80
        .size:           2
        .value_kind:     hidden_group_size_z
      - .offset:         82
        .size:           2
        .value_kind:     hidden_remainder_x
      - .offset:         84
        .size:           2
        .value_kind:     hidden_remainder_y
      - .offset:         86
        .size:           2
        .value_kind:     hidden_remainder_z
      - .offset:         104
        .size:           8
        .value_kind:     hidden_global_offset_x
      - .offset:         112
        .size:           8
        .value_kind:     hidden_global_offset_y
      - .offset:         120
        .size:           8
        .value_kind:     hidden_global_offset_z
      - .offset:         128
        .size:           2
        .value_kind:     hidden_grid_dims
    .group_segment_fixed_size: 256
    .kernarg_segment_align: 8
    .kernarg_segment_size: 320
    .language:       OpenCL C
    .language_version:
      - 2
      - 0
    .max_flat_workgroup_size: 512
    .name:           _ZL24rocblas_dot_kernel_magsqIlLb0ELi512ELi4ELb0EfPKffEviT5_lT_liPT6_PT4_
    .private_segment_fixed_size: 0
    .sgpr_count:     28
    .sgpr_spill_count: 0
    .symbol:         _ZL24rocblas_dot_kernel_magsqIlLb0ELi512ELi4ELb0EfPKffEviT5_lT_liPT6_PT4_.kd
    .uniform_work_group_size: 1
    .uses_dynamic_stack: false
    .vgpr_count:     9
    .vgpr_spill_count: 0
    .wavefront_size: 64
  - .agpr_count:     0
    .args:
      - .offset:         0
        .size:           4
        .value_kind:     by_value
      - .actual_access:  read_only
        .address_space:  global
        .offset:         8
        .size:           8
        .value_kind:     global_buffer
      - .offset:         16
        .size:           8
        .value_kind:     by_value
      - .offset:         24
        .size:           4
        .value_kind:     by_value
      - .offset:         32
        .size:           8
        .value_kind:     by_value
      - .actual_access:  read_only
        .address_space:  global
        .offset:         40
        .size:           8
        .value_kind:     global_buffer
      - .offset:         48
        .size:           8
        .value_kind:     by_value
      - .offset:         56
        .size:           4
        .value_kind:     by_value
      - .offset:         64
        .size:           8
        .value_kind:     by_value
      - .offset:         72
        .size:           4
        .value_kind:     by_value
      - .actual_access:  write_only
        .address_space:  global
        .offset:         80
        .size:           8
        .value_kind:     global_buffer
    .group_segment_fixed_size: 0
    .kernarg_segment_align: 8
    .kernarg_segment_size: 88
    .language:       OpenCL C
    .language_version:
      - 2
      - 0
    .max_flat_workgroup_size: 128
    .name:           _ZL28rocblas_dot_batched_4_kernelIiLi32ELi4ELb0EddPKdEviT5_lT_lS2_lS3_liPT4_
    .private_segment_fixed_size: 0
    .sgpr_count:     28
    .sgpr_spill_count: 0
    .symbol:         _ZL28rocblas_dot_batched_4_kernelIiLi32ELi4ELb0EddPKdEviT5_lT_lS2_lS3_liPT4_.kd
    .uniform_work_group_size: 1
    .uses_dynamic_stack: false
    .vgpr_count:     16
    .vgpr_spill_count: 0
    .wavefront_size: 64
  - .agpr_count:     0
    .args:
      - .offset:         0
        .size:           4
        .value_kind:     by_value
      - .actual_access:  read_only
        .address_space:  global
        .offset:         8
        .size:           8
        .value_kind:     global_buffer
      - .offset:         16
        .size:           8
        .value_kind:     by_value
      - .offset:         24
        .size:           4
        .value_kind:     by_value
      - .offset:         32
        .size:           8
        .value_kind:     by_value
      - .actual_access:  read_only
        .address_space:  global
        .offset:         40
        .size:           8
        .value_kind:     global_buffer
      - .offset:         48
        .size:           8
        .value_kind:     by_value
      - .offset:         56
        .size:           4
        .value_kind:     by_value
      - .offset:         64
        .size:           8
        .value_kind:     by_value
      - .offset:         72
        .size:           4
        .value_kind:     by_value
      - .actual_access:  write_only
        .address_space:  global
        .offset:         80
        .size:           8
        .value_kind:     global_buffer
    .group_segment_fixed_size: 0
    .kernarg_segment_align: 8
    .kernarg_segment_size: 88
    .language:       OpenCL C
    .language_version:
      - 2
      - 0
    .max_flat_workgroup_size: 256
    .name:           _ZL28rocblas_dot_batched_4_kernelIiLi64ELi4ELb0EddPKdEviT5_lT_lS2_lS3_liPT4_
    .private_segment_fixed_size: 0
    .sgpr_count:     28
    .sgpr_spill_count: 0
    .symbol:         _ZL28rocblas_dot_batched_4_kernelIiLi64ELi4ELb0EddPKdEviT5_lT_lS2_lS3_liPT4_.kd
    .uniform_work_group_size: 1
    .uses_dynamic_stack: false
    .vgpr_count:     16
    .vgpr_spill_count: 0
    .wavefront_size: 64
  - .agpr_count:     0
    .args:
      - .offset:         0
        .size:           4
        .value_kind:     by_value
      - .actual_access:  read_only
        .address_space:  global
        .offset:         8
        .size:           8
        .value_kind:     global_buffer
      - .offset:         16
        .size:           8
        .value_kind:     by_value
      - .offset:         24
        .size:           8
        .value_kind:     by_value
      - .actual_access:  read_only
        .address_space:  global
        .offset:         32
        .size:           8
        .value_kind:     global_buffer
      - .offset:         40
        .size:           8
        .value_kind:     by_value
      - .offset:         48
        .size:           8
        .value_kind:     by_value
      - .offset:         56
        .size:           4
        .value_kind:     by_value
      - .actual_access:  read_only
        .address_space:  global
        .offset:         64
        .size:           8
        .value_kind:     global_buffer
      - .actual_access:  write_only
        .address_space:  global
        .offset:         72
        .size:           8
        .value_kind:     global_buffer
    .group_segment_fixed_size: 512
    .kernarg_segment_align: 8
    .kernarg_segment_size: 80
    .language:       OpenCL C
    .language_version:
      - 2
      - 0
    .max_flat_workgroup_size: 1024
    .name:           _ZL26rocblas_dot_kernel_inc1by2ILb1ELi1024ELi32ELb0EdPKddEviT4_llS2_lliPT5_PT3_
    .private_segment_fixed_size: 0
    .sgpr_count:     26
    .sgpr_spill_count: 0
    .symbol:         _ZL26rocblas_dot_kernel_inc1by2ILb1ELi1024ELi32ELb0EdPKddEviT4_llS2_lliPT5_PT3_.kd
    .uniform_work_group_size: 1
    .uses_dynamic_stack: false
    .vgpr_count:     12
    .vgpr_spill_count: 0
    .wavefront_size: 64
  - .agpr_count:     0
    .args:
      - .offset:         0
        .size:           4
        .value_kind:     by_value
      - .actual_access:  read_only
        .address_space:  global
        .offset:         8
        .size:           8
        .value_kind:     global_buffer
      - .offset:         16
        .size:           8
        .value_kind:     by_value
      - .offset:         24
        .size:           4
        .value_kind:     by_value
      - .offset:         32
        .size:           8
        .value_kind:     by_value
      - .actual_access:  read_only
        .address_space:  global
        .offset:         40
        .size:           8
        .value_kind:     global_buffer
      - .offset:         48
        .size:           8
        .value_kind:     by_value
      - .offset:         56
        .size:           4
        .value_kind:     by_value
      - .offset:         64
        .size:           8
        .value_kind:     by_value
      - .offset:         72
        .size:           4
        .value_kind:     by_value
      - .actual_access:  read_only
        .address_space:  global
        .offset:         80
        .size:           8
        .value_kind:     global_buffer
      - .actual_access:  write_only
        .address_space:  global
        .offset:         88
        .size:           8
        .value_kind:     global_buffer
      - .offset:         96
        .size:           4
        .value_kind:     hidden_block_count_x
      - .offset:         100
        .size:           4
        .value_kind:     hidden_block_count_y
      - .offset:         104
        .size:           4
        .value_kind:     hidden_block_count_z
      - .offset:         108
        .size:           2
        .value_kind:     hidden_group_size_x
      - .offset:         110
        .size:           2
        .value_kind:     hidden_group_size_y
      - .offset:         112
        .size:           2
        .value_kind:     hidden_group_size_z
      - .offset:         114
        .size:           2
        .value_kind:     hidden_remainder_x
      - .offset:         116
        .size:           2
        .value_kind:     hidden_remainder_y
      - .offset:         118
        .size:           2
        .value_kind:     hidden_remainder_z
      - .offset:         136
        .size:           8
        .value_kind:     hidden_global_offset_x
      - .offset:         144
        .size:           8
        .value_kind:     hidden_global_offset_y
      - .offset:         152
        .size:           8
        .value_kind:     hidden_global_offset_z
      - .offset:         160
        .size:           2
        .value_kind:     hidden_grid_dims
    .group_segment_fixed_size: 512
    .kernarg_segment_align: 8
    .kernarg_segment_size: 352
    .language:       OpenCL C
    .language_version:
      - 2
      - 0
    .max_flat_workgroup_size: 1024
    .name:           _ZL18rocblas_dot_kernelIiLb1ELi1024ELi32ELb0EdPKddEviT5_lT_lS2_lS3_liPT6_PT4_
    .private_segment_fixed_size: 0
    .sgpr_count:     28
    .sgpr_spill_count: 0
    .symbol:         _ZL18rocblas_dot_kernelIiLb1ELi1024ELi32ELb0EdPKddEviT5_lT_lS2_lS3_liPT6_PT4_.kd
    .uniform_work_group_size: 1
    .uses_dynamic_stack: false
    .vgpr_count:     14
    .vgpr_spill_count: 0
    .wavefront_size: 64
  - .agpr_count:     0
    .args:
      - .offset:         0
        .size:           4
        .value_kind:     by_value
      - .actual_access:  read_only
        .address_space:  global
        .offset:         8
        .size:           8
        .value_kind:     global_buffer
      - .offset:         16
        .size:           8
        .value_kind:     by_value
      - .offset:         24
        .size:           4
        .value_kind:     by_value
      - .offset:         32
        .size:           8
        .value_kind:     by_value
      - .offset:         40
        .size:           4
        .value_kind:     by_value
      - .actual_access:  read_only
        .address_space:  global
        .offset:         48
        .size:           8
        .value_kind:     global_buffer
      - .actual_access:  write_only
        .address_space:  global
        .offset:         56
        .size:           8
        .value_kind:     global_buffer
      - .offset:         64
        .size:           4
        .value_kind:     hidden_block_count_x
      - .offset:         68
        .size:           4
        .value_kind:     hidden_block_count_y
      - .offset:         72
        .size:           4
        .value_kind:     hidden_block_count_z
      - .offset:         76
        .size:           2
        .value_kind:     hidden_group_size_x
      - .offset:         78
        .size:           2
        .value_kind:     hidden_group_size_y
      - .offset:         80
        .size:           2
        .value_kind:     hidden_group_size_z
      - .offset:         82
        .size:           2
        .value_kind:     hidden_remainder_x
      - .offset:         84
        .size:           2
        .value_kind:     hidden_remainder_y
      - .offset:         86
        .size:           2
        .value_kind:     hidden_remainder_z
      - .offset:         104
        .size:           8
        .value_kind:     hidden_global_offset_x
      - .offset:         112
        .size:           8
        .value_kind:     hidden_global_offset_y
      - .offset:         120
        .size:           8
        .value_kind:     hidden_global_offset_z
      - .offset:         128
        .size:           2
        .value_kind:     hidden_grid_dims
    .group_segment_fixed_size: 512
    .kernarg_segment_align: 8
    .kernarg_segment_size: 320
    .language:       OpenCL C
    .language_version:
      - 2
      - 0
    .max_flat_workgroup_size: 1024
    .name:           _ZL24rocblas_dot_kernel_magsqIiLb1ELi1024ELi32ELb0EdPKddEviT5_lT_liPT6_PT4_
    .private_segment_fixed_size: 0
    .sgpr_count:     24
    .sgpr_spill_count: 0
    .symbol:         _ZL24rocblas_dot_kernel_magsqIiLb1ELi1024ELi32ELb0EdPKddEviT5_lT_liPT6_PT4_.kd
    .uniform_work_group_size: 1
    .uses_dynamic_stack: false
    .vgpr_count:     12
    .vgpr_spill_count: 0
    .wavefront_size: 64
  - .agpr_count:     0
    .args:
      - .offset:         0
        .size:           4
        .value_kind:     by_value
      - .actual_access:  read_only
        .address_space:  global
        .offset:         8
        .size:           8
        .value_kind:     global_buffer
      - .offset:         16
        .size:           8
        .value_kind:     by_value
      - .offset:         24
        .size:           4
        .value_kind:     by_value
      - .offset:         32
        .size:           8
        .value_kind:     by_value
      - .actual_access:  read_only
        .address_space:  global
        .offset:         40
        .size:           8
        .value_kind:     global_buffer
      - .offset:         48
        .size:           8
        .value_kind:     by_value
      - .offset:         56
        .size:           4
        .value_kind:     by_value
      - .offset:         64
        .size:           8
        .value_kind:     by_value
      - .actual_access:  read_only
        .address_space:  global
        .offset:         72
        .size:           8
        .value_kind:     global_buffer
      - .actual_access:  read_only
        .address_space:  global
        .offset:         80
        .size:           8
        .value_kind:     global_buffer
    .group_segment_fixed_size: 0
    .kernarg_segment_align: 8
    .kernarg_segment_size: 88
    .language:       OpenCL C
    .language_version:
      - 2
      - 0
    .max_flat_workgroup_size: 1024
    .name:           _ZL38rocblas_dot_kernel_gfx942_float_doubleIiLi1024EdPKddEviT2_lT_lS2_lS3_lPT3_PT1_
    .private_segment_fixed_size: 0
    .sgpr_count:     4
    .sgpr_spill_count: 0
    .symbol:         _ZL38rocblas_dot_kernel_gfx942_float_doubleIiLi1024EdPKddEviT2_lT_lS2_lS3_lPT3_PT1_.kd
    .uniform_work_group_size: 1
    .uses_dynamic_stack: false
    .vgpr_count:     0
    .vgpr_spill_count: 0
    .wavefront_size: 64
  - .agpr_count:     0
    .args:
      - .offset:         0
        .size:           4
        .value_kind:     by_value
      - .actual_access:  read_only
        .address_space:  global
        .offset:         8
        .size:           8
        .value_kind:     global_buffer
      - .actual_access:  write_only
        .address_space:  global
        .offset:         16
        .size:           8
        .value_kind:     global_buffer
    .group_segment_fixed_size: 512
    .kernarg_segment_align: 8
    .kernarg_segment_size: 24
    .language:       OpenCL C
    .language_version:
      - 2
      - 0
    .max_flat_workgroup_size: 1024
    .name:           _ZL30rocblas_reduction_kernel_part2ILi1024ELi4E25rocblas_finalize_identityddEviPT2_PT3_
    .private_segment_fixed_size: 0
    .sgpr_count:     18
    .sgpr_spill_count: 0
    .symbol:         _ZL30rocblas_reduction_kernel_part2ILi1024ELi4E25rocblas_finalize_identityddEviPT2_PT3_.kd
    .uniform_work_group_size: 1
    .uses_dynamic_stack: false
    .vgpr_count:     14
    .vgpr_spill_count: 0
    .wavefront_size: 64
  - .agpr_count:     0
    .args:
      - .offset:         0
        .size:           4
        .value_kind:     by_value
      - .actual_access:  read_only
        .address_space:  global
        .offset:         8
        .size:           8
        .value_kind:     global_buffer
      - .offset:         16
        .size:           8
        .value_kind:     by_value
      - .offset:         24
        .size:           8
        .value_kind:     by_value
      - .actual_access:  read_only
        .address_space:  global
        .offset:         32
        .size:           8
        .value_kind:     global_buffer
      - .offset:         40
        .size:           8
        .value_kind:     by_value
      - .offset:         48
        .size:           8
        .value_kind:     by_value
      - .offset:         56
        .size:           4
        .value_kind:     by_value
      - .actual_access:  write_only
        .address_space:  global
        .offset:         64
        .size:           8
        .value_kind:     global_buffer
      - .actual_access:  write_only
        .address_space:  global
        .offset:         72
        .size:           8
        .value_kind:     global_buffer
      - .offset:         80
        .size:           4
        .value_kind:     hidden_block_count_x
      - .offset:         84
        .size:           4
        .value_kind:     hidden_block_count_y
      - .offset:         88
        .size:           4
        .value_kind:     hidden_block_count_z
      - .offset:         92
        .size:           2
        .value_kind:     hidden_group_size_x
      - .offset:         94
        .size:           2
        .value_kind:     hidden_group_size_y
      - .offset:         96
        .size:           2
        .value_kind:     hidden_group_size_z
      - .offset:         98
        .size:           2
        .value_kind:     hidden_remainder_x
      - .offset:         100
        .size:           2
        .value_kind:     hidden_remainder_y
      - .offset:         102
        .size:           2
        .value_kind:     hidden_remainder_z
      - .offset:         120
        .size:           8
        .value_kind:     hidden_global_offset_x
      - .offset:         128
        .size:           8
        .value_kind:     hidden_global_offset_y
      - .offset:         136
        .size:           8
        .value_kind:     hidden_global_offset_z
      - .offset:         144
        .size:           2
        .value_kind:     hidden_grid_dims
    .group_segment_fixed_size: 512
    .kernarg_segment_align: 8
    .kernarg_segment_size: 336
    .language:       OpenCL C
    .language_version:
      - 2
      - 0
    .max_flat_workgroup_size: 512
    .name:           _ZL23rocblas_dot_kernel_inc1ILb0ELi512ELi2ELb0EdPKddEviT4_llS2_lliPT5_PT3_
    .private_segment_fixed_size: 0
    .sgpr_count:     26
    .sgpr_spill_count: 0
    .symbol:         _ZL23rocblas_dot_kernel_inc1ILb0ELi512ELi2ELb0EdPKddEviT4_llS2_lliPT5_PT3_.kd
    .uniform_work_group_size: 1
    .uses_dynamic_stack: false
    .vgpr_count:     11
    .vgpr_spill_count: 0
    .wavefront_size: 64
  - .agpr_count:     0
    .args:
      - .offset:         0
        .size:           4
        .value_kind:     by_value
      - .actual_access:  read_only
        .address_space:  global
        .offset:         8
        .size:           8
        .value_kind:     global_buffer
      - .offset:         16
        .size:           8
        .value_kind:     by_value
      - .offset:         24
        .size:           4
        .value_kind:     by_value
      - .offset:         32
        .size:           8
        .value_kind:     by_value
      - .actual_access:  read_only
        .address_space:  global
        .offset:         40
        .size:           8
        .value_kind:     global_buffer
      - .offset:         48
        .size:           8
        .value_kind:     by_value
      - .offset:         56
        .size:           4
        .value_kind:     by_value
      - .offset:         64
        .size:           8
        .value_kind:     by_value
      - .offset:         72
        .size:           4
        .value_kind:     by_value
      - .actual_access:  write_only
        .address_space:  global
        .offset:         80
        .size:           8
        .value_kind:     global_buffer
      - .actual_access:  write_only
        .address_space:  global
        .offset:         88
        .size:           8
        .value_kind:     global_buffer
      - .offset:         96
        .size:           4
        .value_kind:     hidden_block_count_x
      - .offset:         100
        .size:           4
        .value_kind:     hidden_block_count_y
      - .offset:         104
        .size:           4
        .value_kind:     hidden_block_count_z
      - .offset:         108
        .size:           2
        .value_kind:     hidden_group_size_x
      - .offset:         110
        .size:           2
        .value_kind:     hidden_group_size_y
      - .offset:         112
        .size:           2
        .value_kind:     hidden_group_size_z
      - .offset:         114
        .size:           2
        .value_kind:     hidden_remainder_x
      - .offset:         116
        .size:           2
        .value_kind:     hidden_remainder_y
      - .offset:         118
        .size:           2
        .value_kind:     hidden_remainder_z
      - .offset:         136
        .size:           8
        .value_kind:     hidden_global_offset_x
      - .offset:         144
        .size:           8
        .value_kind:     hidden_global_offset_y
      - .offset:         152
        .size:           8
        .value_kind:     hidden_global_offset_z
      - .offset:         160
        .size:           2
        .value_kind:     hidden_grid_dims
    .group_segment_fixed_size: 512
    .kernarg_segment_align: 8
    .kernarg_segment_size: 352
    .language:       OpenCL C
    .language_version:
      - 2
      - 0
    .max_flat_workgroup_size: 512
    .name:           _ZL18rocblas_dot_kernelIiLb0ELi512ELi2ELb0EdPKddEviT5_lT_lS2_lS3_liPT6_PT4_
    .private_segment_fixed_size: 0
    .sgpr_count:     30
    .sgpr_spill_count: 0
    .symbol:         _ZL18rocblas_dot_kernelIiLb0ELi512ELi2ELb0EdPKddEviT5_lT_lS2_lS3_liPT6_PT4_.kd
    .uniform_work_group_size: 1
    .uses_dynamic_stack: false
    .vgpr_count:     11
    .vgpr_spill_count: 0
    .wavefront_size: 64
  - .agpr_count:     0
    .args:
      - .offset:         0
        .size:           4
        .value_kind:     by_value
      - .actual_access:  read_only
        .address_space:  global
        .offset:         8
        .size:           8
        .value_kind:     global_buffer
      - .offset:         16
        .size:           8
        .value_kind:     by_value
      - .offset:         24
        .size:           4
        .value_kind:     by_value
      - .offset:         32
        .size:           8
        .value_kind:     by_value
      - .offset:         40
        .size:           4
        .value_kind:     by_value
      - .actual_access:  write_only
        .address_space:  global
        .offset:         48
        .size:           8
        .value_kind:     global_buffer
      - .actual_access:  write_only
        .address_space:  global
        .offset:         56
        .size:           8
        .value_kind:     global_buffer
      - .offset:         64
        .size:           4
        .value_kind:     hidden_block_count_x
      - .offset:         68
        .size:           4
        .value_kind:     hidden_block_count_y
      - .offset:         72
        .size:           4
        .value_kind:     hidden_block_count_z
      - .offset:         76
        .size:           2
        .value_kind:     hidden_group_size_x
      - .offset:         78
        .size:           2
        .value_kind:     hidden_group_size_y
      - .offset:         80
        .size:           2
        .value_kind:     hidden_group_size_z
      - .offset:         82
        .size:           2
        .value_kind:     hidden_remainder_x
      - .offset:         84
        .size:           2
        .value_kind:     hidden_remainder_y
      - .offset:         86
        .size:           2
        .value_kind:     hidden_remainder_z
      - .offset:         104
        .size:           8
        .value_kind:     hidden_global_offset_x
      - .offset:         112
        .size:           8
        .value_kind:     hidden_global_offset_y
      - .offset:         120
        .size:           8
        .value_kind:     hidden_global_offset_z
      - .offset:         128
        .size:           2
        .value_kind:     hidden_grid_dims
    .group_segment_fixed_size: 512
    .kernarg_segment_align: 8
    .kernarg_segment_size: 320
    .language:       OpenCL C
    .language_version:
      - 2
      - 0
    .max_flat_workgroup_size: 512
    .name:           _ZL24rocblas_dot_kernel_magsqIiLb0ELi512ELi2ELb0EdPKddEviT5_lT_liPT6_PT4_
    .private_segment_fixed_size: 0
    .sgpr_count:     21
    .sgpr_spill_count: 0
    .symbol:         _ZL24rocblas_dot_kernel_magsqIiLb0ELi512ELi2ELb0EdPKddEviT5_lT_liPT6_PT4_.kd
    .uniform_work_group_size: 1
    .uses_dynamic_stack: false
    .vgpr_count:     11
    .vgpr_spill_count: 0
    .wavefront_size: 64
  - .agpr_count:     0
    .args:
      - .offset:         0
        .size:           4
        .value_kind:     by_value
      - .actual_access:  read_only
        .address_space:  global
        .offset:         8
        .size:           8
        .value_kind:     global_buffer
      - .offset:         16
        .size:           8
        .value_kind:     by_value
      - .offset:         24
        .size:           8
        .value_kind:     by_value
      - .offset:         32
        .size:           8
        .value_kind:     by_value
      - .actual_access:  read_only
        .address_space:  global
        .offset:         40
        .size:           8
        .value_kind:     global_buffer
      - .offset:         48
        .size:           8
        .value_kind:     by_value
      - .offset:         56
        .size:           8
        .value_kind:     by_value
      - .offset:         64
        .size:           8
        .value_kind:     by_value
      - .offset:         72
        .size:           4
        .value_kind:     by_value
      - .actual_access:  write_only
        .address_space:  global
        .offset:         80
        .size:           8
        .value_kind:     global_buffer
    .group_segment_fixed_size: 0
    .kernarg_segment_align: 8
    .kernarg_segment_size: 88
    .language:       OpenCL C
    .language_version:
      - 2
      - 0
    .max_flat_workgroup_size: 128
    .name:           _ZL28rocblas_dot_batched_4_kernelIlLi32ELi4ELb0EddPKdEviT5_lT_lS2_lS3_liPT4_
    .private_segment_fixed_size: 0
    .sgpr_count:     28
    .sgpr_spill_count: 0
    .symbol:         _ZL28rocblas_dot_batched_4_kernelIlLi32ELi4ELb0EddPKdEviT5_lT_lS2_lS3_liPT4_.kd
    .uniform_work_group_size: 1
    .uses_dynamic_stack: false
    .vgpr_count:     16
    .vgpr_spill_count: 0
    .wavefront_size: 64
  - .agpr_count:     0
    .args:
      - .offset:         0
        .size:           4
        .value_kind:     by_value
      - .actual_access:  read_only
        .address_space:  global
        .offset:         8
        .size:           8
        .value_kind:     global_buffer
      - .offset:         16
        .size:           8
        .value_kind:     by_value
      - .offset:         24
        .size:           8
        .value_kind:     by_value
      - .offset:         32
        .size:           8
        .value_kind:     by_value
      - .actual_access:  read_only
        .address_space:  global
        .offset:         40
        .size:           8
        .value_kind:     global_buffer
      - .offset:         48
        .size:           8
        .value_kind:     by_value
      - .offset:         56
        .size:           8
        .value_kind:     by_value
      - .offset:         64
        .size:           8
        .value_kind:     by_value
      - .offset:         72
        .size:           4
        .value_kind:     by_value
      - .actual_access:  write_only
        .address_space:  global
        .offset:         80
        .size:           8
        .value_kind:     global_buffer
    .group_segment_fixed_size: 0
    .kernarg_segment_align: 8
    .kernarg_segment_size: 88
    .language:       OpenCL C
    .language_version:
      - 2
      - 0
    .max_flat_workgroup_size: 256
    .name:           _ZL28rocblas_dot_batched_4_kernelIlLi64ELi4ELb0EddPKdEviT5_lT_lS2_lS3_liPT4_
    .private_segment_fixed_size: 0
    .sgpr_count:     28
    .sgpr_spill_count: 0
    .symbol:         _ZL28rocblas_dot_batched_4_kernelIlLi64ELi4ELb0EddPKdEviT5_lT_lS2_lS3_liPT4_.kd
    .uniform_work_group_size: 1
    .uses_dynamic_stack: false
    .vgpr_count:     16
    .vgpr_spill_count: 0
    .wavefront_size: 64
  - .agpr_count:     0
    .args:
      - .offset:         0
        .size:           4
        .value_kind:     by_value
      - .actual_access:  read_only
        .address_space:  global
        .offset:         8
        .size:           8
        .value_kind:     global_buffer
      - .offset:         16
        .size:           8
        .value_kind:     by_value
      - .offset:         24
        .size:           8
        .value_kind:     by_value
      - .offset:         32
        .size:           8
        .value_kind:     by_value
      - .actual_access:  read_only
        .address_space:  global
        .offset:         40
        .size:           8
        .value_kind:     global_buffer
      - .offset:         48
        .size:           8
        .value_kind:     by_value
      - .offset:         56
        .size:           8
        .value_kind:     by_value
      - .offset:         64
        .size:           8
        .value_kind:     by_value
      - .offset:         72
        .size:           4
        .value_kind:     by_value
      - .actual_access:  read_only
        .address_space:  global
        .offset:         80
        .size:           8
        .value_kind:     global_buffer
      - .actual_access:  write_only
        .address_space:  global
        .offset:         88
        .size:           8
        .value_kind:     global_buffer
      - .offset:         96
        .size:           4
        .value_kind:     hidden_block_count_x
      - .offset:         100
        .size:           4
        .value_kind:     hidden_block_count_y
      - .offset:         104
        .size:           4
        .value_kind:     hidden_block_count_z
      - .offset:         108
        .size:           2
        .value_kind:     hidden_group_size_x
      - .offset:         110
        .size:           2
        .value_kind:     hidden_group_size_y
      - .offset:         112
        .size:           2
        .value_kind:     hidden_group_size_z
      - .offset:         114
        .size:           2
        .value_kind:     hidden_remainder_x
      - .offset:         116
        .size:           2
        .value_kind:     hidden_remainder_y
      - .offset:         118
        .size:           2
        .value_kind:     hidden_remainder_z
      - .offset:         136
        .size:           8
        .value_kind:     hidden_global_offset_x
      - .offset:         144
        .size:           8
        .value_kind:     hidden_global_offset_y
      - .offset:         152
        .size:           8
        .value_kind:     hidden_global_offset_z
      - .offset:         160
        .size:           2
        .value_kind:     hidden_grid_dims
    .group_segment_fixed_size: 512
    .kernarg_segment_align: 8
    .kernarg_segment_size: 352
    .language:       OpenCL C
    .language_version:
      - 2
      - 0
    .max_flat_workgroup_size: 1024
    .name:           _ZL18rocblas_dot_kernelIlLb1ELi1024ELi32ELb0EdPKddEviT5_lT_lS2_lS3_liPT6_PT4_
    .private_segment_fixed_size: 0
    .sgpr_count:     30
    .sgpr_spill_count: 0
    .symbol:         _ZL18rocblas_dot_kernelIlLb1ELi1024ELi32ELb0EdPKddEviT5_lT_lS2_lS3_liPT6_PT4_.kd
    .uniform_work_group_size: 1
    .uses_dynamic_stack: false
    .vgpr_count:     14
    .vgpr_spill_count: 0
    .wavefront_size: 64
  - .agpr_count:     0
    .args:
      - .offset:         0
        .size:           4
        .value_kind:     by_value
      - .actual_access:  read_only
        .address_space:  global
        .offset:         8
        .size:           8
        .value_kind:     global_buffer
      - .offset:         16
        .size:           8
        .value_kind:     by_value
      - .offset:         24
        .size:           8
        .value_kind:     by_value
      - .offset:         32
        .size:           8
        .value_kind:     by_value
      - .offset:         40
        .size:           4
        .value_kind:     by_value
      - .actual_access:  read_only
        .address_space:  global
        .offset:         48
        .size:           8
        .value_kind:     global_buffer
      - .actual_access:  write_only
        .address_space:  global
        .offset:         56
        .size:           8
        .value_kind:     global_buffer
      - .offset:         64
        .size:           4
        .value_kind:     hidden_block_count_x
      - .offset:         68
        .size:           4
        .value_kind:     hidden_block_count_y
      - .offset:         72
        .size:           4
        .value_kind:     hidden_block_count_z
      - .offset:         76
        .size:           2
        .value_kind:     hidden_group_size_x
      - .offset:         78
        .size:           2
        .value_kind:     hidden_group_size_y
      - .offset:         80
        .size:           2
        .value_kind:     hidden_group_size_z
      - .offset:         82
        .size:           2
        .value_kind:     hidden_remainder_x
      - .offset:         84
        .size:           2
        .value_kind:     hidden_remainder_y
      - .offset:         86
        .size:           2
        .value_kind:     hidden_remainder_z
      - .offset:         104
        .size:           8
        .value_kind:     hidden_global_offset_x
      - .offset:         112
        .size:           8
        .value_kind:     hidden_global_offset_y
      - .offset:         120
        .size:           8
        .value_kind:     hidden_global_offset_z
      - .offset:         128
        .size:           2
        .value_kind:     hidden_grid_dims
    .group_segment_fixed_size: 512
    .kernarg_segment_align: 8
    .kernarg_segment_size: 320
    .language:       OpenCL C
    .language_version:
      - 2
      - 0
    .max_flat_workgroup_size: 1024
    .name:           _ZL24rocblas_dot_kernel_magsqIlLb1ELi1024ELi32ELb0EdPKddEviT5_lT_liPT6_PT4_
    .private_segment_fixed_size: 0
    .sgpr_count:     24
    .sgpr_spill_count: 0
    .symbol:         _ZL24rocblas_dot_kernel_magsqIlLb1ELi1024ELi32ELb0EdPKddEviT5_lT_liPT6_PT4_.kd
    .uniform_work_group_size: 1
    .uses_dynamic_stack: false
    .vgpr_count:     12
    .vgpr_spill_count: 0
    .wavefront_size: 64
  - .agpr_count:     0
    .args:
      - .offset:         0
        .size:           4
        .value_kind:     by_value
      - .actual_access:  read_only
        .address_space:  global
        .offset:         8
        .size:           8
        .value_kind:     global_buffer
      - .offset:         16
        .size:           8
        .value_kind:     by_value
      - .offset:         24
        .size:           8
        .value_kind:     by_value
      - .offset:         32
        .size:           8
        .value_kind:     by_value
      - .actual_access:  read_only
        .address_space:  global
        .offset:         40
        .size:           8
        .value_kind:     global_buffer
      - .offset:         48
        .size:           8
        .value_kind:     by_value
      - .offset:         56
        .size:           8
        .value_kind:     by_value
      - .offset:         64
        .size:           8
        .value_kind:     by_value
      - .actual_access:  read_only
        .address_space:  global
        .offset:         72
        .size:           8
        .value_kind:     global_buffer
      - .actual_access:  read_only
        .address_space:  global
        .offset:         80
        .size:           8
        .value_kind:     global_buffer
    .group_segment_fixed_size: 0
    .kernarg_segment_align: 8
    .kernarg_segment_size: 88
    .language:       OpenCL C
    .language_version:
      - 2
      - 0
    .max_flat_workgroup_size: 1024
    .name:           _ZL38rocblas_dot_kernel_gfx942_float_doubleIlLi1024EdPKddEviT2_lT_lS2_lS3_lPT3_PT1_
    .private_segment_fixed_size: 0
    .sgpr_count:     4
    .sgpr_spill_count: 0
    .symbol:         _ZL38rocblas_dot_kernel_gfx942_float_doubleIlLi1024EdPKddEviT2_lT_lS2_lS3_lPT3_PT1_.kd
    .uniform_work_group_size: 1
    .uses_dynamic_stack: false
    .vgpr_count:     0
    .vgpr_spill_count: 0
    .wavefront_size: 64
  - .agpr_count:     0
    .args:
      - .offset:         0
        .size:           4
        .value_kind:     by_value
      - .actual_access:  read_only
        .address_space:  global
        .offset:         8
        .size:           8
        .value_kind:     global_buffer
      - .offset:         16
        .size:           8
        .value_kind:     by_value
      - .offset:         24
        .size:           8
        .value_kind:     by_value
      - .offset:         32
        .size:           8
        .value_kind:     by_value
      - .actual_access:  read_only
        .address_space:  global
        .offset:         40
        .size:           8
        .value_kind:     global_buffer
      - .offset:         48
        .size:           8
        .value_kind:     by_value
      - .offset:         56
        .size:           8
        .value_kind:     by_value
      - .offset:         64
        .size:           8
        .value_kind:     by_value
      - .offset:         72
        .size:           4
        .value_kind:     by_value
      - .actual_access:  write_only
        .address_space:  global
        .offset:         80
        .size:           8
        .value_kind:     global_buffer
      - .actual_access:  write_only
        .address_space:  global
        .offset:         88
        .size:           8
        .value_kind:     global_buffer
      - .offset:         96
        .size:           4
        .value_kind:     hidden_block_count_x
      - .offset:         100
        .size:           4
        .value_kind:     hidden_block_count_y
      - .offset:         104
        .size:           4
        .value_kind:     hidden_block_count_z
      - .offset:         108
        .size:           2
        .value_kind:     hidden_group_size_x
      - .offset:         110
        .size:           2
        .value_kind:     hidden_group_size_y
      - .offset:         112
        .size:           2
        .value_kind:     hidden_group_size_z
      - .offset:         114
        .size:           2
        .value_kind:     hidden_remainder_x
      - .offset:         116
        .size:           2
        .value_kind:     hidden_remainder_y
      - .offset:         118
        .size:           2
        .value_kind:     hidden_remainder_z
      - .offset:         136
        .size:           8
        .value_kind:     hidden_global_offset_x
      - .offset:         144
        .size:           8
        .value_kind:     hidden_global_offset_y
      - .offset:         152
        .size:           8
        .value_kind:     hidden_global_offset_z
      - .offset:         160
        .size:           2
        .value_kind:     hidden_grid_dims
    .group_segment_fixed_size: 512
    .kernarg_segment_align: 8
    .kernarg_segment_size: 352
    .language:       OpenCL C
    .language_version:
      - 2
      - 0
    .max_flat_workgroup_size: 512
    .name:           _ZL18rocblas_dot_kernelIlLb0ELi512ELi2ELb0EdPKddEviT5_lT_lS2_lS3_liPT6_PT4_
    .private_segment_fixed_size: 0
    .sgpr_count:     30
    .sgpr_spill_count: 0
    .symbol:         _ZL18rocblas_dot_kernelIlLb0ELi512ELi2ELb0EdPKddEviT5_lT_lS2_lS3_liPT6_PT4_.kd
    .uniform_work_group_size: 1
    .uses_dynamic_stack: false
    .vgpr_count:     11
    .vgpr_spill_count: 0
    .wavefront_size: 64
  - .agpr_count:     0
    .args:
      - .offset:         0
        .size:           4
        .value_kind:     by_value
      - .actual_access:  read_only
        .address_space:  global
        .offset:         8
        .size:           8
        .value_kind:     global_buffer
      - .offset:         16
        .size:           8
        .value_kind:     by_value
      - .offset:         24
        .size:           8
        .value_kind:     by_value
      - .offset:         32
        .size:           8
        .value_kind:     by_value
      - .offset:         40
        .size:           4
        .value_kind:     by_value
      - .actual_access:  write_only
        .address_space:  global
        .offset:         48
        .size:           8
        .value_kind:     global_buffer
      - .actual_access:  write_only
        .address_space:  global
        .offset:         56
        .size:           8
        .value_kind:     global_buffer
      - .offset:         64
        .size:           4
        .value_kind:     hidden_block_count_x
      - .offset:         68
        .size:           4
        .value_kind:     hidden_block_count_y
      - .offset:         72
        .size:           4
        .value_kind:     hidden_block_count_z
      - .offset:         76
        .size:           2
        .value_kind:     hidden_group_size_x
      - .offset:         78
        .size:           2
        .value_kind:     hidden_group_size_y
      - .offset:         80
        .size:           2
        .value_kind:     hidden_group_size_z
      - .offset:         82
        .size:           2
        .value_kind:     hidden_remainder_x
      - .offset:         84
        .size:           2
        .value_kind:     hidden_remainder_y
      - .offset:         86
        .size:           2
        .value_kind:     hidden_remainder_z
      - .offset:         104
        .size:           8
        .value_kind:     hidden_global_offset_x
      - .offset:         112
        .size:           8
        .value_kind:     hidden_global_offset_y
      - .offset:         120
        .size:           8
        .value_kind:     hidden_global_offset_z
      - .offset:         128
        .size:           2
        .value_kind:     hidden_grid_dims
    .group_segment_fixed_size: 512
    .kernarg_segment_align: 8
    .kernarg_segment_size: 320
    .language:       OpenCL C
    .language_version:
      - 2
      - 0
    .max_flat_workgroup_size: 512
    .name:           _ZL24rocblas_dot_kernel_magsqIlLb0ELi512ELi2ELb0EdPKddEviT5_lT_liPT6_PT4_
    .private_segment_fixed_size: 0
    .sgpr_count:     22
    .sgpr_spill_count: 0
    .symbol:         _ZL24rocblas_dot_kernel_magsqIlLb0ELi512ELi2ELb0EdPKddEviT5_lT_liPT6_PT4_.kd
    .uniform_work_group_size: 1
    .uses_dynamic_stack: false
    .vgpr_count:     11
    .vgpr_spill_count: 0
    .wavefront_size: 64
  - .agpr_count:     0
    .args:
      - .offset:         0
        .size:           4
        .value_kind:     by_value
      - .actual_access:  read_only
        .address_space:  global
        .offset:         8
        .size:           8
        .value_kind:     global_buffer
      - .offset:         16
        .size:           8
        .value_kind:     by_value
      - .offset:         24
        .size:           4
        .value_kind:     by_value
      - .offset:         32
        .size:           8
        .value_kind:     by_value
      - .actual_access:  read_only
        .address_space:  global
        .offset:         40
        .size:           8
        .value_kind:     global_buffer
      - .offset:         48
        .size:           8
        .value_kind:     by_value
      - .offset:         56
        .size:           4
        .value_kind:     by_value
      - .offset:         64
        .size:           8
        .value_kind:     by_value
      - .offset:         72
        .size:           4
        .value_kind:     by_value
      - .actual_access:  write_only
        .address_space:  global
        .offset:         80
        .size:           8
        .value_kind:     global_buffer
    .group_segment_fixed_size: 0
    .kernarg_segment_align: 8
    .kernarg_segment_size: 88
    .language:       OpenCL C
    .language_version:
      - 2
      - 0
    .max_flat_workgroup_size: 128
    .name:           _ZL28rocblas_dot_batched_4_kernelIiLi32ELi4ELb0E19rocblas_complex_numIfES1_PKS1_EviT5_lT_lS4_lS5_liPT4_
    .private_segment_fixed_size: 0
    .sgpr_count:     28
    .sgpr_spill_count: 0
    .symbol:         _ZL28rocblas_dot_batched_4_kernelIiLi32ELi4ELb0E19rocblas_complex_numIfES1_PKS1_EviT5_lT_lS4_lS5_liPT4_.kd
    .uniform_work_group_size: 1
    .uses_dynamic_stack: false
    .vgpr_count:     20
    .vgpr_spill_count: 0
    .wavefront_size: 64
  - .agpr_count:     0
    .args:
      - .offset:         0
        .size:           4
        .value_kind:     by_value
      - .actual_access:  read_only
        .address_space:  global
        .offset:         8
        .size:           8
        .value_kind:     global_buffer
      - .offset:         16
        .size:           8
        .value_kind:     by_value
      - .offset:         24
        .size:           4
        .value_kind:     by_value
      - .offset:         32
        .size:           8
        .value_kind:     by_value
      - .actual_access:  read_only
        .address_space:  global
        .offset:         40
        .size:           8
        .value_kind:     global_buffer
      - .offset:         48
        .size:           8
        .value_kind:     by_value
      - .offset:         56
        .size:           4
        .value_kind:     by_value
      - .offset:         64
        .size:           8
        .value_kind:     by_value
      - .offset:         72
        .size:           4
        .value_kind:     by_value
      - .actual_access:  write_only
        .address_space:  global
        .offset:         80
        .size:           8
        .value_kind:     global_buffer
    .group_segment_fixed_size: 0
    .kernarg_segment_align: 8
    .kernarg_segment_size: 88
    .language:       OpenCL C
    .language_version:
      - 2
      - 0
    .max_flat_workgroup_size: 256
    .name:           _ZL28rocblas_dot_batched_4_kernelIiLi64ELi4ELb0E19rocblas_complex_numIfES1_PKS1_EviT5_lT_lS4_lS5_liPT4_
    .private_segment_fixed_size: 0
    .sgpr_count:     28
    .sgpr_spill_count: 0
    .symbol:         _ZL28rocblas_dot_batched_4_kernelIiLi64ELi4ELb0E19rocblas_complex_numIfES1_PKS1_EviT5_lT_lS4_lS5_liPT4_.kd
    .uniform_work_group_size: 1
    .uses_dynamic_stack: false
    .vgpr_count:     20
    .vgpr_spill_count: 0
    .wavefront_size: 64
  - .agpr_count:     0
    .args:
      - .offset:         0
        .size:           4
        .value_kind:     by_value
      - .actual_access:  read_only
        .address_space:  global
        .offset:         8
        .size:           8
        .value_kind:     global_buffer
      - .offset:         16
        .size:           8
        .value_kind:     by_value
      - .offset:         24
        .size:           8
        .value_kind:     by_value
      - .actual_access:  read_only
        .address_space:  global
        .offset:         32
        .size:           8
        .value_kind:     global_buffer
      - .offset:         40
        .size:           8
        .value_kind:     by_value
      - .offset:         48
        .size:           8
        .value_kind:     by_value
      - .offset:         56
        .size:           4
        .value_kind:     by_value
      - .actual_access:  read_only
        .address_space:  global
        .offset:         64
        .size:           8
        .value_kind:     global_buffer
      - .actual_access:  write_only
        .address_space:  global
        .offset:         72
        .size:           8
        .value_kind:     global_buffer
    .group_segment_fixed_size: 512
    .kernarg_segment_align: 8
    .kernarg_segment_size: 80
    .language:       OpenCL C
    .language_version:
      - 2
      - 0
    .max_flat_workgroup_size: 1024
    .name:           _ZL26rocblas_dot_kernel_inc1by2ILb1ELi1024ELi32ELb0E19rocblas_complex_numIfEPKS1_S1_EviT4_llS4_lliPT5_PT3_
    .private_segment_fixed_size: 0
    .sgpr_count:     26
    .sgpr_spill_count: 0
    .symbol:         _ZL26rocblas_dot_kernel_inc1by2ILb1ELi1024ELi32ELb0E19rocblas_complex_numIfEPKS1_S1_EviT4_llS4_lliPT5_PT3_.kd
    .uniform_work_group_size: 1
    .uses_dynamic_stack: false
    .vgpr_count:     16
    .vgpr_spill_count: 0
    .wavefront_size: 64
  - .agpr_count:     0
    .args:
      - .offset:         0
        .size:           4
        .value_kind:     by_value
      - .actual_access:  read_only
        .address_space:  global
        .offset:         8
        .size:           8
        .value_kind:     global_buffer
      - .offset:         16
        .size:           8
        .value_kind:     by_value
      - .offset:         24
        .size:           4
        .value_kind:     by_value
      - .offset:         32
        .size:           8
        .value_kind:     by_value
      - .actual_access:  read_only
        .address_space:  global
        .offset:         40
        .size:           8
        .value_kind:     global_buffer
      - .offset:         48
        .size:           8
        .value_kind:     by_value
      - .offset:         56
        .size:           4
        .value_kind:     by_value
      - .offset:         64
        .size:           8
        .value_kind:     by_value
      - .offset:         72
        .size:           4
        .value_kind:     by_value
      - .actual_access:  read_only
        .address_space:  global
        .offset:         80
        .size:           8
        .value_kind:     global_buffer
      - .actual_access:  write_only
        .address_space:  global
        .offset:         88
        .size:           8
        .value_kind:     global_buffer
      - .offset:         96
        .size:           4
        .value_kind:     hidden_block_count_x
      - .offset:         100
        .size:           4
        .value_kind:     hidden_block_count_y
      - .offset:         104
        .size:           4
        .value_kind:     hidden_block_count_z
      - .offset:         108
        .size:           2
        .value_kind:     hidden_group_size_x
      - .offset:         110
        .size:           2
        .value_kind:     hidden_group_size_y
      - .offset:         112
        .size:           2
        .value_kind:     hidden_group_size_z
      - .offset:         114
        .size:           2
        .value_kind:     hidden_remainder_x
      - .offset:         116
        .size:           2
        .value_kind:     hidden_remainder_y
      - .offset:         118
        .size:           2
        .value_kind:     hidden_remainder_z
      - .offset:         136
        .size:           8
        .value_kind:     hidden_global_offset_x
      - .offset:         144
        .size:           8
        .value_kind:     hidden_global_offset_y
      - .offset:         152
        .size:           8
        .value_kind:     hidden_global_offset_z
      - .offset:         160
        .size:           2
        .value_kind:     hidden_grid_dims
    .group_segment_fixed_size: 512
    .kernarg_segment_align: 8
    .kernarg_segment_size: 352
    .language:       OpenCL C
    .language_version:
      - 2
      - 0
    .max_flat_workgroup_size: 1024
    .name:           _ZL18rocblas_dot_kernelIiLb1ELi1024ELi32ELb0E19rocblas_complex_numIfEPKS1_S1_EviT5_lT_lS4_lS5_liPT6_PT4_
    .private_segment_fixed_size: 0
    .sgpr_count:     28
    .sgpr_spill_count: 0
    .symbol:         _ZL18rocblas_dot_kernelIiLb1ELi1024ELi32ELb0E19rocblas_complex_numIfEPKS1_S1_EviT5_lT_lS4_lS5_liPT6_PT4_.kd
    .uniform_work_group_size: 1
    .uses_dynamic_stack: false
    .vgpr_count:     18
    .vgpr_spill_count: 0
    .wavefront_size: 64
  - .agpr_count:     0
    .args:
      - .offset:         0
        .size:           4
        .value_kind:     by_value
      - .actual_access:  read_only
        .address_space:  global
        .offset:         8
        .size:           8
        .value_kind:     global_buffer
      - .offset:         16
        .size:           8
        .value_kind:     by_value
      - .offset:         24
        .size:           4
        .value_kind:     by_value
      - .offset:         32
        .size:           8
        .value_kind:     by_value
      - .offset:         40
        .size:           4
        .value_kind:     by_value
      - .actual_access:  read_only
        .address_space:  global
        .offset:         48
        .size:           8
        .value_kind:     global_buffer
      - .actual_access:  write_only
        .address_space:  global
        .offset:         56
        .size:           8
        .value_kind:     global_buffer
      - .offset:         64
        .size:           4
        .value_kind:     hidden_block_count_x
      - .offset:         68
        .size:           4
        .value_kind:     hidden_block_count_y
      - .offset:         72
        .size:           4
        .value_kind:     hidden_block_count_z
      - .offset:         76
        .size:           2
        .value_kind:     hidden_group_size_x
      - .offset:         78
        .size:           2
        .value_kind:     hidden_group_size_y
      - .offset:         80
        .size:           2
        .value_kind:     hidden_group_size_z
      - .offset:         82
        .size:           2
        .value_kind:     hidden_remainder_x
      - .offset:         84
        .size:           2
        .value_kind:     hidden_remainder_y
      - .offset:         86
        .size:           2
        .value_kind:     hidden_remainder_z
      - .offset:         104
        .size:           8
        .value_kind:     hidden_global_offset_x
      - .offset:         112
        .size:           8
        .value_kind:     hidden_global_offset_y
      - .offset:         120
        .size:           8
        .value_kind:     hidden_global_offset_z
      - .offset:         128
        .size:           2
        .value_kind:     hidden_grid_dims
    .group_segment_fixed_size: 512
    .kernarg_segment_align: 8
    .kernarg_segment_size: 320
    .language:       OpenCL C
    .language_version:
      - 2
      - 0
    .max_flat_workgroup_size: 1024
    .name:           _ZL24rocblas_dot_kernel_magsqIiLb1ELi1024ELi32ELb0E19rocblas_complex_numIfEPKS1_S1_EviT5_lT_liPT6_PT4_
    .private_segment_fixed_size: 0
    .sgpr_count:     24
    .sgpr_spill_count: 0
    .symbol:         _ZL24rocblas_dot_kernel_magsqIiLb1ELi1024ELi32ELb0E19rocblas_complex_numIfEPKS1_S1_EviT5_lT_liPT6_PT4_.kd
    .uniform_work_group_size: 1
    .uses_dynamic_stack: false
    .vgpr_count:     14
    .vgpr_spill_count: 0
    .wavefront_size: 64
  - .agpr_count:     0
    .args:
      - .offset:         0
        .size:           4
        .value_kind:     by_value
      - .actual_access:  read_only
        .address_space:  global
        .offset:         8
        .size:           8
        .value_kind:     global_buffer
      - .offset:         16
        .size:           8
        .value_kind:     by_value
      - .offset:         24
        .size:           4
        .value_kind:     by_value
      - .offset:         32
        .size:           8
        .value_kind:     by_value
      - .actual_access:  read_only
        .address_space:  global
        .offset:         40
        .size:           8
        .value_kind:     global_buffer
      - .offset:         48
        .size:           8
        .value_kind:     by_value
      - .offset:         56
        .size:           4
        .value_kind:     by_value
      - .offset:         64
        .size:           8
        .value_kind:     by_value
      - .actual_access:  read_only
        .address_space:  global
        .offset:         72
        .size:           8
        .value_kind:     global_buffer
      - .actual_access:  read_only
        .address_space:  global
        .offset:         80
        .size:           8
        .value_kind:     global_buffer
    .group_segment_fixed_size: 0
    .kernarg_segment_align: 8
    .kernarg_segment_size: 88
    .language:       OpenCL C
    .language_version:
      - 2
      - 0
    .max_flat_workgroup_size: 1024
    .name:           _ZL38rocblas_dot_kernel_gfx942_float_doubleIiLi1024E19rocblas_complex_numIfEPKS1_S1_EviT2_lT_lS4_lS5_lPT3_PT1_
    .private_segment_fixed_size: 0
    .sgpr_count:     4
    .sgpr_spill_count: 0
    .symbol:         _ZL38rocblas_dot_kernel_gfx942_float_doubleIiLi1024E19rocblas_complex_numIfEPKS1_S1_EviT2_lT_lS4_lS5_lPT3_PT1_.kd
    .uniform_work_group_size: 1
    .uses_dynamic_stack: false
    .vgpr_count:     0
    .vgpr_spill_count: 0
    .wavefront_size: 64
  - .agpr_count:     0
    .args:
      - .offset:         0
        .size:           4
        .value_kind:     by_value
      - .actual_access:  read_only
        .address_space:  global
        .offset:         8
        .size:           8
        .value_kind:     global_buffer
      - .actual_access:  write_only
        .address_space:  global
        .offset:         16
        .size:           8
        .value_kind:     global_buffer
    .group_segment_fixed_size: 512
    .kernarg_segment_align: 8
    .kernarg_segment_size: 24
    .language:       OpenCL C
    .language_version:
      - 2
      - 0
    .max_flat_workgroup_size: 1024
    .name:           _ZL30rocblas_reduction_kernel_part2ILi1024ELi4E25rocblas_finalize_identity19rocblas_complex_numIfES2_EviPT2_PT3_
    .private_segment_fixed_size: 0
    .sgpr_count:     18
    .sgpr_spill_count: 0
    .symbol:         _ZL30rocblas_reduction_kernel_part2ILi1024ELi4E25rocblas_finalize_identity19rocblas_complex_numIfES2_EviPT2_PT3_.kd
    .uniform_work_group_size: 1
    .uses_dynamic_stack: false
    .vgpr_count:     14
    .vgpr_spill_count: 0
    .wavefront_size: 64
  - .agpr_count:     0
    .args:
      - .offset:         0
        .size:           4
        .value_kind:     by_value
      - .actual_access:  read_only
        .address_space:  global
        .offset:         8
        .size:           8
        .value_kind:     global_buffer
      - .offset:         16
        .size:           8
        .value_kind:     by_value
      - .offset:         24
        .size:           8
        .value_kind:     by_value
      - .actual_access:  read_only
        .address_space:  global
        .offset:         32
        .size:           8
        .value_kind:     global_buffer
      - .offset:         40
        .size:           8
        .value_kind:     by_value
      - .offset:         48
        .size:           8
        .value_kind:     by_value
      - .offset:         56
        .size:           4
        .value_kind:     by_value
      - .actual_access:  write_only
        .address_space:  global
        .offset:         64
        .size:           8
        .value_kind:     global_buffer
      - .actual_access:  write_only
        .address_space:  global
        .offset:         72
        .size:           8
        .value_kind:     global_buffer
      - .offset:         80
        .size:           4
        .value_kind:     hidden_block_count_x
      - .offset:         84
        .size:           4
        .value_kind:     hidden_block_count_y
      - .offset:         88
        .size:           4
        .value_kind:     hidden_block_count_z
      - .offset:         92
        .size:           2
        .value_kind:     hidden_group_size_x
      - .offset:         94
        .size:           2
        .value_kind:     hidden_group_size_y
      - .offset:         96
        .size:           2
        .value_kind:     hidden_group_size_z
      - .offset:         98
        .size:           2
        .value_kind:     hidden_remainder_x
      - .offset:         100
        .size:           2
        .value_kind:     hidden_remainder_y
      - .offset:         102
        .size:           2
        .value_kind:     hidden_remainder_z
      - .offset:         120
        .size:           8
        .value_kind:     hidden_global_offset_x
      - .offset:         128
        .size:           8
        .value_kind:     hidden_global_offset_y
      - .offset:         136
        .size:           8
        .value_kind:     hidden_global_offset_z
      - .offset:         144
        .size:           2
        .value_kind:     hidden_grid_dims
    .group_segment_fixed_size: 512
    .kernarg_segment_align: 8
    .kernarg_segment_size: 336
    .language:       OpenCL C
    .language_version:
      - 2
      - 0
    .max_flat_workgroup_size: 512
    .name:           _ZL23rocblas_dot_kernel_inc1ILb0ELi512ELi2ELb0E19rocblas_complex_numIfEPKS1_S1_EviT4_llS4_lliPT5_PT3_
    .private_segment_fixed_size: 0
    .sgpr_count:     26
    .sgpr_spill_count: 0
    .symbol:         _ZL23rocblas_dot_kernel_inc1ILb0ELi512ELi2ELb0E19rocblas_complex_numIfEPKS1_S1_EviT4_llS4_lliPT5_PT3_.kd
    .uniform_work_group_size: 1
    .uses_dynamic_stack: false
    .vgpr_count:     12
    .vgpr_spill_count: 0
    .wavefront_size: 64
  - .agpr_count:     0
    .args:
      - .offset:         0
        .size:           4
        .value_kind:     by_value
      - .actual_access:  read_only
        .address_space:  global
        .offset:         8
        .size:           8
        .value_kind:     global_buffer
      - .offset:         16
        .size:           8
        .value_kind:     by_value
      - .offset:         24
        .size:           4
        .value_kind:     by_value
      - .offset:         32
        .size:           8
        .value_kind:     by_value
      - .actual_access:  read_only
        .address_space:  global
        .offset:         40
        .size:           8
        .value_kind:     global_buffer
      - .offset:         48
        .size:           8
        .value_kind:     by_value
      - .offset:         56
        .size:           4
        .value_kind:     by_value
      - .offset:         64
        .size:           8
        .value_kind:     by_value
      - .offset:         72
        .size:           4
        .value_kind:     by_value
      - .actual_access:  write_only
        .address_space:  global
        .offset:         80
        .size:           8
        .value_kind:     global_buffer
      - .actual_access:  write_only
        .address_space:  global
        .offset:         88
        .size:           8
        .value_kind:     global_buffer
      - .offset:         96
        .size:           4
        .value_kind:     hidden_block_count_x
      - .offset:         100
        .size:           4
        .value_kind:     hidden_block_count_y
      - .offset:         104
        .size:           4
        .value_kind:     hidden_block_count_z
      - .offset:         108
        .size:           2
        .value_kind:     hidden_group_size_x
      - .offset:         110
        .size:           2
        .value_kind:     hidden_group_size_y
      - .offset:         112
        .size:           2
        .value_kind:     hidden_group_size_z
      - .offset:         114
        .size:           2
        .value_kind:     hidden_remainder_x
      - .offset:         116
        .size:           2
        .value_kind:     hidden_remainder_y
      - .offset:         118
        .size:           2
        .value_kind:     hidden_remainder_z
      - .offset:         136
        .size:           8
        .value_kind:     hidden_global_offset_x
      - .offset:         144
        .size:           8
        .value_kind:     hidden_global_offset_y
      - .offset:         152
        .size:           8
        .value_kind:     hidden_global_offset_z
      - .offset:         160
        .size:           2
        .value_kind:     hidden_grid_dims
    .group_segment_fixed_size: 512
    .kernarg_segment_align: 8
    .kernarg_segment_size: 352
    .language:       OpenCL C
    .language_version:
      - 2
      - 0
    .max_flat_workgroup_size: 512
    .name:           _ZL18rocblas_dot_kernelIiLb0ELi512ELi2ELb0E19rocblas_complex_numIfEPKS1_S1_EviT5_lT_lS4_lS5_liPT6_PT4_
    .private_segment_fixed_size: 0
    .sgpr_count:     30
    .sgpr_spill_count: 0
    .symbol:         _ZL18rocblas_dot_kernelIiLb0ELi512ELi2ELb0E19rocblas_complex_numIfEPKS1_S1_EviT5_lT_lS4_lS5_liPT6_PT4_.kd
    .uniform_work_group_size: 1
    .uses_dynamic_stack: false
    .vgpr_count:     12
    .vgpr_spill_count: 0
    .wavefront_size: 64
  - .agpr_count:     0
    .args:
      - .offset:         0
        .size:           4
        .value_kind:     by_value
      - .actual_access:  read_only
        .address_space:  global
        .offset:         8
        .size:           8
        .value_kind:     global_buffer
      - .offset:         16
        .size:           8
        .value_kind:     by_value
      - .offset:         24
        .size:           4
        .value_kind:     by_value
      - .offset:         32
        .size:           8
        .value_kind:     by_value
      - .offset:         40
        .size:           4
        .value_kind:     by_value
      - .actual_access:  write_only
        .address_space:  global
        .offset:         48
        .size:           8
        .value_kind:     global_buffer
      - .actual_access:  write_only
        .address_space:  global
        .offset:         56
        .size:           8
        .value_kind:     global_buffer
      - .offset:         64
        .size:           4
        .value_kind:     hidden_block_count_x
      - .offset:         68
        .size:           4
        .value_kind:     hidden_block_count_y
      - .offset:         72
        .size:           4
        .value_kind:     hidden_block_count_z
      - .offset:         76
        .size:           2
        .value_kind:     hidden_group_size_x
      - .offset:         78
        .size:           2
        .value_kind:     hidden_group_size_y
      - .offset:         80
        .size:           2
        .value_kind:     hidden_group_size_z
      - .offset:         82
        .size:           2
        .value_kind:     hidden_remainder_x
      - .offset:         84
        .size:           2
        .value_kind:     hidden_remainder_y
      - .offset:         86
        .size:           2
        .value_kind:     hidden_remainder_z
      - .offset:         104
        .size:           8
        .value_kind:     hidden_global_offset_x
      - .offset:         112
        .size:           8
        .value_kind:     hidden_global_offset_y
      - .offset:         120
        .size:           8
        .value_kind:     hidden_global_offset_z
      - .offset:         128
        .size:           2
        .value_kind:     hidden_grid_dims
    .group_segment_fixed_size: 512
    .kernarg_segment_align: 8
    .kernarg_segment_size: 320
    .language:       OpenCL C
    .language_version:
      - 2
      - 0
    .max_flat_workgroup_size: 512
    .name:           _ZL24rocblas_dot_kernel_magsqIiLb0ELi512ELi2ELb0E19rocblas_complex_numIfEPKS1_S1_EviT5_lT_liPT6_PT4_
    .private_segment_fixed_size: 0
    .sgpr_count:     21
    .sgpr_spill_count: 0
    .symbol:         _ZL24rocblas_dot_kernel_magsqIiLb0ELi512ELi2ELb0E19rocblas_complex_numIfEPKS1_S1_EviT5_lT_liPT6_PT4_.kd
    .uniform_work_group_size: 1
    .uses_dynamic_stack: false
    .vgpr_count:     11
    .vgpr_spill_count: 0
    .wavefront_size: 64
  - .agpr_count:     0
    .args:
      - .offset:         0
        .size:           4
        .value_kind:     by_value
      - .actual_access:  read_only
        .address_space:  global
        .offset:         8
        .size:           8
        .value_kind:     global_buffer
      - .actual_access:  write_only
        .address_space:  global
        .offset:         16
        .size:           8
        .value_kind:     global_buffer
    .group_segment_fixed_size: 512
    .kernarg_segment_align: 8
    .kernarg_segment_size: 24
    .language:       OpenCL C
    .language_version:
      - 2
      - 0
    .max_flat_workgroup_size: 512
    .name:           _ZL30rocblas_reduction_kernel_part2ILi512ELi2E25rocblas_finalize_identity19rocblas_complex_numIfES2_EviPT2_PT3_
    .private_segment_fixed_size: 0
    .sgpr_count:     18
    .sgpr_spill_count: 0
    .symbol:         _ZL30rocblas_reduction_kernel_part2ILi512ELi2E25rocblas_finalize_identity19rocblas_complex_numIfES2_EviPT2_PT3_.kd
    .uniform_work_group_size: 1
    .uses_dynamic_stack: false
    .vgpr_count:     11
    .vgpr_spill_count: 0
    .wavefront_size: 64
  - .agpr_count:     0
    .args:
      - .offset:         0
        .size:           4
        .value_kind:     by_value
      - .actual_access:  read_only
        .address_space:  global
        .offset:         8
        .size:           8
        .value_kind:     global_buffer
      - .offset:         16
        .size:           8
        .value_kind:     by_value
      - .offset:         24
        .size:           8
        .value_kind:     by_value
      - .offset:         32
        .size:           8
        .value_kind:     by_value
      - .actual_access:  read_only
        .address_space:  global
        .offset:         40
        .size:           8
        .value_kind:     global_buffer
      - .offset:         48
        .size:           8
        .value_kind:     by_value
      - .offset:         56
        .size:           8
        .value_kind:     by_value
      - .offset:         64
        .size:           8
        .value_kind:     by_value
      - .offset:         72
        .size:           4
        .value_kind:     by_value
      - .actual_access:  write_only
        .address_space:  global
        .offset:         80
        .size:           8
        .value_kind:     global_buffer
    .group_segment_fixed_size: 0
    .kernarg_segment_align: 8
    .kernarg_segment_size: 88
    .language:       OpenCL C
    .language_version:
      - 2
      - 0
    .max_flat_workgroup_size: 128
    .name:           _ZL28rocblas_dot_batched_4_kernelIlLi32ELi4ELb0E19rocblas_complex_numIfES1_PKS1_EviT5_lT_lS4_lS5_liPT4_
    .private_segment_fixed_size: 0
    .sgpr_count:     28
    .sgpr_spill_count: 0
    .symbol:         _ZL28rocblas_dot_batched_4_kernelIlLi32ELi4ELb0E19rocblas_complex_numIfES1_PKS1_EviT5_lT_lS4_lS5_liPT4_.kd
    .uniform_work_group_size: 1
    .uses_dynamic_stack: false
    .vgpr_count:     20
    .vgpr_spill_count: 0
    .wavefront_size: 64
  - .agpr_count:     0
    .args:
      - .offset:         0
        .size:           4
        .value_kind:     by_value
      - .actual_access:  read_only
        .address_space:  global
        .offset:         8
        .size:           8
        .value_kind:     global_buffer
      - .offset:         16
        .size:           8
        .value_kind:     by_value
      - .offset:         24
        .size:           8
        .value_kind:     by_value
      - .offset:         32
        .size:           8
        .value_kind:     by_value
      - .actual_access:  read_only
        .address_space:  global
        .offset:         40
        .size:           8
        .value_kind:     global_buffer
      - .offset:         48
        .size:           8
        .value_kind:     by_value
      - .offset:         56
        .size:           8
        .value_kind:     by_value
      - .offset:         64
        .size:           8
        .value_kind:     by_value
      - .offset:         72
        .size:           4
        .value_kind:     by_value
      - .actual_access:  write_only
        .address_space:  global
        .offset:         80
        .size:           8
        .value_kind:     global_buffer
    .group_segment_fixed_size: 0
    .kernarg_segment_align: 8
    .kernarg_segment_size: 88
    .language:       OpenCL C
    .language_version:
      - 2
      - 0
    .max_flat_workgroup_size: 256
    .name:           _ZL28rocblas_dot_batched_4_kernelIlLi64ELi4ELb0E19rocblas_complex_numIfES1_PKS1_EviT5_lT_lS4_lS5_liPT4_
    .private_segment_fixed_size: 0
    .sgpr_count:     28
    .sgpr_spill_count: 0
    .symbol:         _ZL28rocblas_dot_batched_4_kernelIlLi64ELi4ELb0E19rocblas_complex_numIfES1_PKS1_EviT5_lT_lS4_lS5_liPT4_.kd
    .uniform_work_group_size: 1
    .uses_dynamic_stack: false
    .vgpr_count:     20
    .vgpr_spill_count: 0
    .wavefront_size: 64
  - .agpr_count:     0
    .args:
      - .offset:         0
        .size:           4
        .value_kind:     by_value
      - .actual_access:  read_only
        .address_space:  global
        .offset:         8
        .size:           8
        .value_kind:     global_buffer
      - .offset:         16
        .size:           8
        .value_kind:     by_value
      - .offset:         24
        .size:           8
        .value_kind:     by_value
      - .offset:         32
        .size:           8
        .value_kind:     by_value
      - .actual_access:  read_only
        .address_space:  global
        .offset:         40
        .size:           8
        .value_kind:     global_buffer
      - .offset:         48
        .size:           8
        .value_kind:     by_value
      - .offset:         56
        .size:           8
        .value_kind:     by_value
      - .offset:         64
        .size:           8
        .value_kind:     by_value
      - .offset:         72
        .size:           4
        .value_kind:     by_value
      - .actual_access:  read_only
        .address_space:  global
        .offset:         80
        .size:           8
        .value_kind:     global_buffer
      - .actual_access:  write_only
        .address_space:  global
        .offset:         88
        .size:           8
        .value_kind:     global_buffer
      - .offset:         96
        .size:           4
        .value_kind:     hidden_block_count_x
      - .offset:         100
        .size:           4
        .value_kind:     hidden_block_count_y
      - .offset:         104
        .size:           4
        .value_kind:     hidden_block_count_z
      - .offset:         108
        .size:           2
        .value_kind:     hidden_group_size_x
      - .offset:         110
        .size:           2
        .value_kind:     hidden_group_size_y
      - .offset:         112
        .size:           2
        .value_kind:     hidden_group_size_z
      - .offset:         114
        .size:           2
        .value_kind:     hidden_remainder_x
      - .offset:         116
        .size:           2
        .value_kind:     hidden_remainder_y
      - .offset:         118
        .size:           2
        .value_kind:     hidden_remainder_z
      - .offset:         136
        .size:           8
        .value_kind:     hidden_global_offset_x
      - .offset:         144
        .size:           8
        .value_kind:     hidden_global_offset_y
      - .offset:         152
        .size:           8
        .value_kind:     hidden_global_offset_z
      - .offset:         160
        .size:           2
        .value_kind:     hidden_grid_dims
    .group_segment_fixed_size: 512
    .kernarg_segment_align: 8
    .kernarg_segment_size: 352
    .language:       OpenCL C
    .language_version:
      - 2
      - 0
    .max_flat_workgroup_size: 1024
    .name:           _ZL18rocblas_dot_kernelIlLb1ELi1024ELi32ELb0E19rocblas_complex_numIfEPKS1_S1_EviT5_lT_lS4_lS5_liPT6_PT4_
    .private_segment_fixed_size: 0
    .sgpr_count:     30
    .sgpr_spill_count: 0
    .symbol:         _ZL18rocblas_dot_kernelIlLb1ELi1024ELi32ELb0E19rocblas_complex_numIfEPKS1_S1_EviT5_lT_lS4_lS5_liPT6_PT4_.kd
    .uniform_work_group_size: 1
    .uses_dynamic_stack: false
    .vgpr_count:     18
    .vgpr_spill_count: 0
    .wavefront_size: 64
  - .agpr_count:     0
    .args:
      - .offset:         0
        .size:           4
        .value_kind:     by_value
      - .actual_access:  read_only
        .address_space:  global
        .offset:         8
        .size:           8
        .value_kind:     global_buffer
      - .offset:         16
        .size:           8
        .value_kind:     by_value
      - .offset:         24
        .size:           8
        .value_kind:     by_value
      - .offset:         32
        .size:           8
        .value_kind:     by_value
      - .offset:         40
        .size:           4
        .value_kind:     by_value
      - .actual_access:  read_only
        .address_space:  global
        .offset:         48
        .size:           8
        .value_kind:     global_buffer
      - .actual_access:  write_only
        .address_space:  global
        .offset:         56
        .size:           8
        .value_kind:     global_buffer
      - .offset:         64
        .size:           4
        .value_kind:     hidden_block_count_x
      - .offset:         68
        .size:           4
        .value_kind:     hidden_block_count_y
      - .offset:         72
        .size:           4
        .value_kind:     hidden_block_count_z
      - .offset:         76
        .size:           2
        .value_kind:     hidden_group_size_x
      - .offset:         78
        .size:           2
        .value_kind:     hidden_group_size_y
      - .offset:         80
        .size:           2
        .value_kind:     hidden_group_size_z
      - .offset:         82
        .size:           2
        .value_kind:     hidden_remainder_x
      - .offset:         84
        .size:           2
        .value_kind:     hidden_remainder_y
      - .offset:         86
        .size:           2
        .value_kind:     hidden_remainder_z
      - .offset:         104
        .size:           8
        .value_kind:     hidden_global_offset_x
      - .offset:         112
        .size:           8
        .value_kind:     hidden_global_offset_y
      - .offset:         120
        .size:           8
        .value_kind:     hidden_global_offset_z
      - .offset:         128
        .size:           2
        .value_kind:     hidden_grid_dims
    .group_segment_fixed_size: 512
    .kernarg_segment_align: 8
    .kernarg_segment_size: 320
    .language:       OpenCL C
    .language_version:
      - 2
      - 0
    .max_flat_workgroup_size: 1024
    .name:           _ZL24rocblas_dot_kernel_magsqIlLb1ELi1024ELi32ELb0E19rocblas_complex_numIfEPKS1_S1_EviT5_lT_liPT6_PT4_
    .private_segment_fixed_size: 0
    .sgpr_count:     24
    .sgpr_spill_count: 0
    .symbol:         _ZL24rocblas_dot_kernel_magsqIlLb1ELi1024ELi32ELb0E19rocblas_complex_numIfEPKS1_S1_EviT5_lT_liPT6_PT4_.kd
    .uniform_work_group_size: 1
    .uses_dynamic_stack: false
    .vgpr_count:     14
    .vgpr_spill_count: 0
    .wavefront_size: 64
  - .agpr_count:     0
    .args:
      - .offset:         0
        .size:           4
        .value_kind:     by_value
      - .actual_access:  read_only
        .address_space:  global
        .offset:         8
        .size:           8
        .value_kind:     global_buffer
      - .offset:         16
        .size:           8
        .value_kind:     by_value
      - .offset:         24
        .size:           8
        .value_kind:     by_value
      - .offset:         32
        .size:           8
        .value_kind:     by_value
      - .actual_access:  read_only
        .address_space:  global
        .offset:         40
        .size:           8
        .value_kind:     global_buffer
      - .offset:         48
        .size:           8
        .value_kind:     by_value
      - .offset:         56
        .size:           8
        .value_kind:     by_value
      - .offset:         64
        .size:           8
        .value_kind:     by_value
      - .actual_access:  read_only
        .address_space:  global
        .offset:         72
        .size:           8
        .value_kind:     global_buffer
      - .actual_access:  read_only
        .address_space:  global
        .offset:         80
        .size:           8
        .value_kind:     global_buffer
    .group_segment_fixed_size: 0
    .kernarg_segment_align: 8
    .kernarg_segment_size: 88
    .language:       OpenCL C
    .language_version:
      - 2
      - 0
    .max_flat_workgroup_size: 1024
    .name:           _ZL38rocblas_dot_kernel_gfx942_float_doubleIlLi1024E19rocblas_complex_numIfEPKS1_S1_EviT2_lT_lS4_lS5_lPT3_PT1_
    .private_segment_fixed_size: 0
    .sgpr_count:     4
    .sgpr_spill_count: 0
    .symbol:         _ZL38rocblas_dot_kernel_gfx942_float_doubleIlLi1024E19rocblas_complex_numIfEPKS1_S1_EviT2_lT_lS4_lS5_lPT3_PT1_.kd
    .uniform_work_group_size: 1
    .uses_dynamic_stack: false
    .vgpr_count:     0
    .vgpr_spill_count: 0
    .wavefront_size: 64
  - .agpr_count:     0
    .args:
      - .offset:         0
        .size:           4
        .value_kind:     by_value
      - .actual_access:  read_only
        .address_space:  global
        .offset:         8
        .size:           8
        .value_kind:     global_buffer
      - .offset:         16
        .size:           8
        .value_kind:     by_value
      - .offset:         24
        .size:           8
        .value_kind:     by_value
      - .offset:         32
        .size:           8
        .value_kind:     by_value
      - .actual_access:  read_only
        .address_space:  global
        .offset:         40
        .size:           8
        .value_kind:     global_buffer
      - .offset:         48
        .size:           8
        .value_kind:     by_value
      - .offset:         56
        .size:           8
        .value_kind:     by_value
      - .offset:         64
        .size:           8
        .value_kind:     by_value
      - .offset:         72
        .size:           4
        .value_kind:     by_value
      - .actual_access:  write_only
        .address_space:  global
        .offset:         80
        .size:           8
        .value_kind:     global_buffer
      - .actual_access:  write_only
        .address_space:  global
        .offset:         88
        .size:           8
        .value_kind:     global_buffer
      - .offset:         96
        .size:           4
        .value_kind:     hidden_block_count_x
      - .offset:         100
        .size:           4
        .value_kind:     hidden_block_count_y
      - .offset:         104
        .size:           4
        .value_kind:     hidden_block_count_z
      - .offset:         108
        .size:           2
        .value_kind:     hidden_group_size_x
      - .offset:         110
        .size:           2
        .value_kind:     hidden_group_size_y
      - .offset:         112
        .size:           2
        .value_kind:     hidden_group_size_z
      - .offset:         114
        .size:           2
        .value_kind:     hidden_remainder_x
      - .offset:         116
        .size:           2
        .value_kind:     hidden_remainder_y
      - .offset:         118
        .size:           2
        .value_kind:     hidden_remainder_z
      - .offset:         136
        .size:           8
        .value_kind:     hidden_global_offset_x
      - .offset:         144
        .size:           8
        .value_kind:     hidden_global_offset_y
      - .offset:         152
        .size:           8
        .value_kind:     hidden_global_offset_z
      - .offset:         160
        .size:           2
        .value_kind:     hidden_grid_dims
    .group_segment_fixed_size: 512
    .kernarg_segment_align: 8
    .kernarg_segment_size: 352
    .language:       OpenCL C
    .language_version:
      - 2
      - 0
    .max_flat_workgroup_size: 512
    .name:           _ZL18rocblas_dot_kernelIlLb0ELi512ELi2ELb0E19rocblas_complex_numIfEPKS1_S1_EviT5_lT_lS4_lS5_liPT6_PT4_
    .private_segment_fixed_size: 0
    .sgpr_count:     30
    .sgpr_spill_count: 0
    .symbol:         _ZL18rocblas_dot_kernelIlLb0ELi512ELi2ELb0E19rocblas_complex_numIfEPKS1_S1_EviT5_lT_lS4_lS5_liPT6_PT4_.kd
    .uniform_work_group_size: 1
    .uses_dynamic_stack: false
    .vgpr_count:     12
    .vgpr_spill_count: 0
    .wavefront_size: 64
  - .agpr_count:     0
    .args:
      - .offset:         0
        .size:           4
        .value_kind:     by_value
      - .actual_access:  read_only
        .address_space:  global
        .offset:         8
        .size:           8
        .value_kind:     global_buffer
      - .offset:         16
        .size:           8
        .value_kind:     by_value
      - .offset:         24
        .size:           8
        .value_kind:     by_value
      - .offset:         32
        .size:           8
        .value_kind:     by_value
      - .offset:         40
        .size:           4
        .value_kind:     by_value
      - .actual_access:  write_only
        .address_space:  global
        .offset:         48
        .size:           8
        .value_kind:     global_buffer
      - .actual_access:  write_only
        .address_space:  global
        .offset:         56
        .size:           8
        .value_kind:     global_buffer
      - .offset:         64
        .size:           4
        .value_kind:     hidden_block_count_x
      - .offset:         68
        .size:           4
        .value_kind:     hidden_block_count_y
      - .offset:         72
        .size:           4
        .value_kind:     hidden_block_count_z
      - .offset:         76
        .size:           2
        .value_kind:     hidden_group_size_x
      - .offset:         78
        .size:           2
        .value_kind:     hidden_group_size_y
      - .offset:         80
        .size:           2
        .value_kind:     hidden_group_size_z
      - .offset:         82
        .size:           2
        .value_kind:     hidden_remainder_x
      - .offset:         84
        .size:           2
        .value_kind:     hidden_remainder_y
      - .offset:         86
        .size:           2
        .value_kind:     hidden_remainder_z
      - .offset:         104
        .size:           8
        .value_kind:     hidden_global_offset_x
      - .offset:         112
        .size:           8
        .value_kind:     hidden_global_offset_y
      - .offset:         120
        .size:           8
        .value_kind:     hidden_global_offset_z
      - .offset:         128
        .size:           2
        .value_kind:     hidden_grid_dims
    .group_segment_fixed_size: 512
    .kernarg_segment_align: 8
    .kernarg_segment_size: 320
    .language:       OpenCL C
    .language_version:
      - 2
      - 0
    .max_flat_workgroup_size: 512
    .name:           _ZL24rocblas_dot_kernel_magsqIlLb0ELi512ELi2ELb0E19rocblas_complex_numIfEPKS1_S1_EviT5_lT_liPT6_PT4_
    .private_segment_fixed_size: 0
    .sgpr_count:     22
    .sgpr_spill_count: 0
    .symbol:         _ZL24rocblas_dot_kernel_magsqIlLb0ELi512ELi2ELb0E19rocblas_complex_numIfEPKS1_S1_EviT5_lT_liPT6_PT4_.kd
    .uniform_work_group_size: 1
    .uses_dynamic_stack: false
    .vgpr_count:     11
    .vgpr_spill_count: 0
    .wavefront_size: 64
  - .agpr_count:     0
    .args:
      - .offset:         0
        .size:           4
        .value_kind:     by_value
      - .actual_access:  read_only
        .address_space:  global
        .offset:         8
        .size:           8
        .value_kind:     global_buffer
      - .offset:         16
        .size:           8
        .value_kind:     by_value
      - .offset:         24
        .size:           4
        .value_kind:     by_value
      - .offset:         32
        .size:           8
        .value_kind:     by_value
      - .actual_access:  read_only
        .address_space:  global
        .offset:         40
        .size:           8
        .value_kind:     global_buffer
      - .offset:         48
        .size:           8
        .value_kind:     by_value
      - .offset:         56
        .size:           4
        .value_kind:     by_value
      - .offset:         64
        .size:           8
        .value_kind:     by_value
      - .offset:         72
        .size:           4
        .value_kind:     by_value
      - .actual_access:  write_only
        .address_space:  global
        .offset:         80
        .size:           8
        .value_kind:     global_buffer
    .group_segment_fixed_size: 0
    .kernarg_segment_align: 8
    .kernarg_segment_size: 88
    .language:       OpenCL C
    .language_version:
      - 2
      - 0
    .max_flat_workgroup_size: 128
    .name:           _ZL28rocblas_dot_batched_4_kernelIiLi32ELi4ELb0E19rocblas_complex_numIdES1_PKS1_EviT5_lT_lS4_lS5_liPT4_
    .private_segment_fixed_size: 0
    .sgpr_count:     28
    .sgpr_spill_count: 0
    .symbol:         _ZL28rocblas_dot_batched_4_kernelIiLi32ELi4ELb0E19rocblas_complex_numIdES1_PKS1_EviT5_lT_lS4_lS5_liPT4_.kd
    .uniform_work_group_size: 1
    .uses_dynamic_stack: false
    .vgpr_count:     24
    .vgpr_spill_count: 0
    .wavefront_size: 64
  - .agpr_count:     0
    .args:
      - .offset:         0
        .size:           4
        .value_kind:     by_value
      - .actual_access:  read_only
        .address_space:  global
        .offset:         8
        .size:           8
        .value_kind:     global_buffer
      - .offset:         16
        .size:           8
        .value_kind:     by_value
      - .offset:         24
        .size:           4
        .value_kind:     by_value
      - .offset:         32
        .size:           8
        .value_kind:     by_value
      - .actual_access:  read_only
        .address_space:  global
        .offset:         40
        .size:           8
        .value_kind:     global_buffer
      - .offset:         48
        .size:           8
        .value_kind:     by_value
      - .offset:         56
        .size:           4
        .value_kind:     by_value
      - .offset:         64
        .size:           8
        .value_kind:     by_value
      - .offset:         72
        .size:           4
        .value_kind:     by_value
      - .actual_access:  write_only
        .address_space:  global
        .offset:         80
        .size:           8
        .value_kind:     global_buffer
    .group_segment_fixed_size: 0
    .kernarg_segment_align: 8
    .kernarg_segment_size: 88
    .language:       OpenCL C
    .language_version:
      - 2
      - 0
    .max_flat_workgroup_size: 256
    .name:           _ZL28rocblas_dot_batched_4_kernelIiLi64ELi4ELb0E19rocblas_complex_numIdES1_PKS1_EviT5_lT_lS4_lS5_liPT4_
    .private_segment_fixed_size: 0
    .sgpr_count:     28
    .sgpr_spill_count: 0
    .symbol:         _ZL28rocblas_dot_batched_4_kernelIiLi64ELi4ELb0E19rocblas_complex_numIdES1_PKS1_EviT5_lT_lS4_lS5_liPT4_.kd
    .uniform_work_group_size: 1
    .uses_dynamic_stack: false
    .vgpr_count:     24
    .vgpr_spill_count: 0
    .wavefront_size: 64
  - .agpr_count:     0
    .args:
      - .offset:         0
        .size:           4
        .value_kind:     by_value
      - .actual_access:  read_only
        .address_space:  global
        .offset:         8
        .size:           8
        .value_kind:     global_buffer
      - .offset:         16
        .size:           8
        .value_kind:     by_value
      - .offset:         24
        .size:           8
        .value_kind:     by_value
      - .actual_access:  read_only
        .address_space:  global
        .offset:         32
        .size:           8
        .value_kind:     global_buffer
      - .offset:         40
        .size:           8
        .value_kind:     by_value
      - .offset:         48
        .size:           8
        .value_kind:     by_value
      - .offset:         56
        .size:           4
        .value_kind:     by_value
      - .actual_access:  read_only
        .address_space:  global
        .offset:         64
        .size:           8
        .value_kind:     global_buffer
      - .actual_access:  write_only
        .address_space:  global
        .offset:         72
        .size:           8
        .value_kind:     global_buffer
    .group_segment_fixed_size: 1024
    .kernarg_segment_align: 8
    .kernarg_segment_size: 80
    .language:       OpenCL C
    .language_version:
      - 2
      - 0
    .max_flat_workgroup_size: 1024
    .name:           _ZL26rocblas_dot_kernel_inc1by2ILb1ELi1024ELi32ELb0E19rocblas_complex_numIdEPKS1_S1_EviT4_llS4_lliPT5_PT3_
    .private_segment_fixed_size: 0
    .sgpr_count:     26
    .sgpr_spill_count: 0
    .symbol:         _ZL26rocblas_dot_kernel_inc1by2ILb1ELi1024ELi32ELb0E19rocblas_complex_numIdEPKS1_S1_EviT4_llS4_lliPT5_PT3_.kd
    .uniform_work_group_size: 1
    .uses_dynamic_stack: false
    .vgpr_count:     20
    .vgpr_spill_count: 0
    .wavefront_size: 64
  - .agpr_count:     0
    .args:
      - .offset:         0
        .size:           4
        .value_kind:     by_value
      - .actual_access:  read_only
        .address_space:  global
        .offset:         8
        .size:           8
        .value_kind:     global_buffer
      - .offset:         16
        .size:           8
        .value_kind:     by_value
      - .offset:         24
        .size:           4
        .value_kind:     by_value
      - .offset:         32
        .size:           8
        .value_kind:     by_value
      - .actual_access:  read_only
        .address_space:  global
        .offset:         40
        .size:           8
        .value_kind:     global_buffer
      - .offset:         48
        .size:           8
        .value_kind:     by_value
      - .offset:         56
        .size:           4
        .value_kind:     by_value
      - .offset:         64
        .size:           8
        .value_kind:     by_value
      - .offset:         72
        .size:           4
        .value_kind:     by_value
      - .actual_access:  read_only
        .address_space:  global
        .offset:         80
        .size:           8
        .value_kind:     global_buffer
      - .actual_access:  write_only
        .address_space:  global
        .offset:         88
        .size:           8
        .value_kind:     global_buffer
      - .offset:         96
        .size:           4
        .value_kind:     hidden_block_count_x
      - .offset:         100
        .size:           4
        .value_kind:     hidden_block_count_y
      - .offset:         104
        .size:           4
        .value_kind:     hidden_block_count_z
      - .offset:         108
        .size:           2
        .value_kind:     hidden_group_size_x
      - .offset:         110
        .size:           2
        .value_kind:     hidden_group_size_y
      - .offset:         112
        .size:           2
        .value_kind:     hidden_group_size_z
      - .offset:         114
        .size:           2
        .value_kind:     hidden_remainder_x
      - .offset:         116
        .size:           2
        .value_kind:     hidden_remainder_y
      - .offset:         118
        .size:           2
        .value_kind:     hidden_remainder_z
      - .offset:         136
        .size:           8
        .value_kind:     hidden_global_offset_x
      - .offset:         144
        .size:           8
        .value_kind:     hidden_global_offset_y
      - .offset:         152
        .size:           8
        .value_kind:     hidden_global_offset_z
      - .offset:         160
        .size:           2
        .value_kind:     hidden_grid_dims
    .group_segment_fixed_size: 1024
    .kernarg_segment_align: 8
    .kernarg_segment_size: 352
    .language:       OpenCL C
    .language_version:
      - 2
      - 0
    .max_flat_workgroup_size: 1024
    .name:           _ZL18rocblas_dot_kernelIiLb1ELi1024ELi32ELb0E19rocblas_complex_numIdEPKS1_S1_EviT5_lT_lS4_lS5_liPT6_PT4_
    .private_segment_fixed_size: 0
    .sgpr_count:     28
    .sgpr_spill_count: 0
    .symbol:         _ZL18rocblas_dot_kernelIiLb1ELi1024ELi32ELb0E19rocblas_complex_numIdEPKS1_S1_EviT5_lT_lS4_lS5_liPT6_PT4_.kd
    .uniform_work_group_size: 1
    .uses_dynamic_stack: false
    .vgpr_count:     22
    .vgpr_spill_count: 0
    .wavefront_size: 64
  - .agpr_count:     0
    .args:
      - .offset:         0
        .size:           4
        .value_kind:     by_value
      - .actual_access:  read_only
        .address_space:  global
        .offset:         8
        .size:           8
        .value_kind:     global_buffer
      - .offset:         16
        .size:           8
        .value_kind:     by_value
      - .offset:         24
        .size:           4
        .value_kind:     by_value
      - .offset:         32
        .size:           8
        .value_kind:     by_value
      - .offset:         40
        .size:           4
        .value_kind:     by_value
      - .actual_access:  read_only
        .address_space:  global
        .offset:         48
        .size:           8
        .value_kind:     global_buffer
      - .actual_access:  write_only
        .address_space:  global
        .offset:         56
        .size:           8
        .value_kind:     global_buffer
      - .offset:         64
        .size:           4
        .value_kind:     hidden_block_count_x
      - .offset:         68
        .size:           4
        .value_kind:     hidden_block_count_y
      - .offset:         72
        .size:           4
        .value_kind:     hidden_block_count_z
      - .offset:         76
        .size:           2
        .value_kind:     hidden_group_size_x
      - .offset:         78
        .size:           2
        .value_kind:     hidden_group_size_y
      - .offset:         80
        .size:           2
        .value_kind:     hidden_group_size_z
      - .offset:         82
        .size:           2
        .value_kind:     hidden_remainder_x
      - .offset:         84
        .size:           2
        .value_kind:     hidden_remainder_y
      - .offset:         86
        .size:           2
        .value_kind:     hidden_remainder_z
      - .offset:         104
        .size:           8
        .value_kind:     hidden_global_offset_x
      - .offset:         112
        .size:           8
        .value_kind:     hidden_global_offset_y
      - .offset:         120
        .size:           8
        .value_kind:     hidden_global_offset_z
      - .offset:         128
        .size:           2
        .value_kind:     hidden_grid_dims
    .group_segment_fixed_size: 1024
    .kernarg_segment_align: 8
    .kernarg_segment_size: 320
    .language:       OpenCL C
    .language_version:
      - 2
      - 0
    .max_flat_workgroup_size: 1024
    .name:           _ZL24rocblas_dot_kernel_magsqIiLb1ELi1024ELi32ELb0E19rocblas_complex_numIdEPKS1_S1_EviT5_lT_liPT6_PT4_
    .private_segment_fixed_size: 0
    .sgpr_count:     24
    .sgpr_spill_count: 0
    .symbol:         _ZL24rocblas_dot_kernel_magsqIiLb1ELi1024ELi32ELb0E19rocblas_complex_numIdEPKS1_S1_EviT5_lT_liPT6_PT4_.kd
    .uniform_work_group_size: 1
    .uses_dynamic_stack: false
    .vgpr_count:     16
    .vgpr_spill_count: 0
    .wavefront_size: 64
  - .agpr_count:     0
    .args:
      - .offset:         0
        .size:           4
        .value_kind:     by_value
      - .actual_access:  read_only
        .address_space:  global
        .offset:         8
        .size:           8
        .value_kind:     global_buffer
      - .offset:         16
        .size:           8
        .value_kind:     by_value
      - .offset:         24
        .size:           4
        .value_kind:     by_value
      - .offset:         32
        .size:           8
        .value_kind:     by_value
      - .actual_access:  read_only
        .address_space:  global
        .offset:         40
        .size:           8
        .value_kind:     global_buffer
      - .offset:         48
        .size:           8
        .value_kind:     by_value
      - .offset:         56
        .size:           4
        .value_kind:     by_value
      - .offset:         64
        .size:           8
        .value_kind:     by_value
      - .actual_access:  read_only
        .address_space:  global
        .offset:         72
        .size:           8
        .value_kind:     global_buffer
      - .actual_access:  read_only
        .address_space:  global
        .offset:         80
        .size:           8
        .value_kind:     global_buffer
    .group_segment_fixed_size: 0
    .kernarg_segment_align: 8
    .kernarg_segment_size: 88
    .language:       OpenCL C
    .language_version:
      - 2
      - 0
    .max_flat_workgroup_size: 1024
    .name:           _ZL38rocblas_dot_kernel_gfx942_float_doubleIiLi1024E19rocblas_complex_numIdEPKS1_S1_EviT2_lT_lS4_lS5_lPT3_PT1_
    .private_segment_fixed_size: 0
    .sgpr_count:     4
    .sgpr_spill_count: 0
    .symbol:         _ZL38rocblas_dot_kernel_gfx942_float_doubleIiLi1024E19rocblas_complex_numIdEPKS1_S1_EviT2_lT_lS4_lS5_lPT3_PT1_.kd
    .uniform_work_group_size: 1
    .uses_dynamic_stack: false
    .vgpr_count:     0
    .vgpr_spill_count: 0
    .wavefront_size: 64
  - .agpr_count:     0
    .args:
      - .offset:         0
        .size:           4
        .value_kind:     by_value
      - .actual_access:  read_only
        .address_space:  global
        .offset:         8
        .size:           8
        .value_kind:     global_buffer
      - .actual_access:  write_only
        .address_space:  global
        .offset:         16
        .size:           8
        .value_kind:     global_buffer
    .group_segment_fixed_size: 1024
    .kernarg_segment_align: 8
    .kernarg_segment_size: 24
    .language:       OpenCL C
    .language_version:
      - 2
      - 0
    .max_flat_workgroup_size: 1024
    .name:           _ZL30rocblas_reduction_kernel_part2ILi1024ELi4E25rocblas_finalize_identity19rocblas_complex_numIdES2_EviPT2_PT3_
    .private_segment_fixed_size: 0
    .sgpr_count:     18
    .sgpr_spill_count: 0
    .symbol:         _ZL30rocblas_reduction_kernel_part2ILi1024ELi4E25rocblas_finalize_identity19rocblas_complex_numIdES2_EviPT2_PT3_.kd
    .uniform_work_group_size: 1
    .uses_dynamic_stack: false
    .vgpr_count:     24
    .vgpr_spill_count: 0
    .wavefront_size: 64
  - .agpr_count:     0
    .args:
      - .offset:         0
        .size:           4
        .value_kind:     by_value
      - .actual_access:  read_only
        .address_space:  global
        .offset:         8
        .size:           8
        .value_kind:     global_buffer
      - .offset:         16
        .size:           8
        .value_kind:     by_value
      - .offset:         24
        .size:           8
        .value_kind:     by_value
      - .actual_access:  read_only
        .address_space:  global
        .offset:         32
        .size:           8
        .value_kind:     global_buffer
      - .offset:         40
        .size:           8
        .value_kind:     by_value
      - .offset:         48
        .size:           8
        .value_kind:     by_value
      - .offset:         56
        .size:           4
        .value_kind:     by_value
      - .actual_access:  write_only
        .address_space:  global
        .offset:         64
        .size:           8
        .value_kind:     global_buffer
      - .actual_access:  write_only
        .address_space:  global
        .offset:         72
        .size:           8
        .value_kind:     global_buffer
      - .offset:         80
        .size:           4
        .value_kind:     hidden_block_count_x
      - .offset:         84
        .size:           4
        .value_kind:     hidden_block_count_y
      - .offset:         88
        .size:           4
        .value_kind:     hidden_block_count_z
      - .offset:         92
        .size:           2
        .value_kind:     hidden_group_size_x
      - .offset:         94
        .size:           2
        .value_kind:     hidden_group_size_y
      - .offset:         96
        .size:           2
        .value_kind:     hidden_group_size_z
      - .offset:         98
        .size:           2
        .value_kind:     hidden_remainder_x
      - .offset:         100
        .size:           2
        .value_kind:     hidden_remainder_y
      - .offset:         102
        .size:           2
        .value_kind:     hidden_remainder_z
      - .offset:         120
        .size:           8
        .value_kind:     hidden_global_offset_x
      - .offset:         128
        .size:           8
        .value_kind:     hidden_global_offset_y
      - .offset:         136
        .size:           8
        .value_kind:     hidden_global_offset_z
      - .offset:         144
        .size:           2
        .value_kind:     hidden_grid_dims
    .group_segment_fixed_size: 1024
    .kernarg_segment_align: 8
    .kernarg_segment_size: 336
    .language:       OpenCL C
    .language_version:
      - 2
      - 0
    .max_flat_workgroup_size: 512
    .name:           _ZL23rocblas_dot_kernel_inc1ILb0ELi512ELi2ELb0E19rocblas_complex_numIdEPKS1_S1_EviT4_llS4_lliPT5_PT3_
    .private_segment_fixed_size: 0
    .sgpr_count:     26
    .sgpr_spill_count: 0
    .symbol:         _ZL23rocblas_dot_kernel_inc1ILb0ELi512ELi2ELb0E19rocblas_complex_numIdEPKS1_S1_EviT4_llS4_lliPT5_PT3_.kd
    .uniform_work_group_size: 1
    .uses_dynamic_stack: false
    .vgpr_count:     16
    .vgpr_spill_count: 0
    .wavefront_size: 64
  - .agpr_count:     0
    .args:
      - .offset:         0
        .size:           4
        .value_kind:     by_value
      - .actual_access:  read_only
        .address_space:  global
        .offset:         8
        .size:           8
        .value_kind:     global_buffer
      - .offset:         16
        .size:           8
        .value_kind:     by_value
      - .offset:         24
        .size:           4
        .value_kind:     by_value
      - .offset:         32
        .size:           8
        .value_kind:     by_value
      - .actual_access:  read_only
        .address_space:  global
        .offset:         40
        .size:           8
        .value_kind:     global_buffer
      - .offset:         48
        .size:           8
        .value_kind:     by_value
      - .offset:         56
        .size:           4
        .value_kind:     by_value
      - .offset:         64
        .size:           8
        .value_kind:     by_value
      - .offset:         72
        .size:           4
        .value_kind:     by_value
      - .actual_access:  write_only
        .address_space:  global
        .offset:         80
        .size:           8
        .value_kind:     global_buffer
      - .actual_access:  write_only
        .address_space:  global
        .offset:         88
        .size:           8
        .value_kind:     global_buffer
      - .offset:         96
        .size:           4
        .value_kind:     hidden_block_count_x
      - .offset:         100
        .size:           4
        .value_kind:     hidden_block_count_y
      - .offset:         104
        .size:           4
        .value_kind:     hidden_block_count_z
      - .offset:         108
        .size:           2
        .value_kind:     hidden_group_size_x
      - .offset:         110
        .size:           2
        .value_kind:     hidden_group_size_y
      - .offset:         112
        .size:           2
        .value_kind:     hidden_group_size_z
      - .offset:         114
        .size:           2
        .value_kind:     hidden_remainder_x
      - .offset:         116
        .size:           2
        .value_kind:     hidden_remainder_y
      - .offset:         118
        .size:           2
        .value_kind:     hidden_remainder_z
      - .offset:         136
        .size:           8
        .value_kind:     hidden_global_offset_x
      - .offset:         144
        .size:           8
        .value_kind:     hidden_global_offset_y
      - .offset:         152
        .size:           8
        .value_kind:     hidden_global_offset_z
      - .offset:         160
        .size:           2
        .value_kind:     hidden_grid_dims
    .group_segment_fixed_size: 1024
    .kernarg_segment_align: 8
    .kernarg_segment_size: 352
    .language:       OpenCL C
    .language_version:
      - 2
      - 0
    .max_flat_workgroup_size: 512
    .name:           _ZL18rocblas_dot_kernelIiLb0ELi512ELi2ELb0E19rocblas_complex_numIdEPKS1_S1_EviT5_lT_lS4_lS5_liPT6_PT4_
    .private_segment_fixed_size: 0
    .sgpr_count:     30
    .sgpr_spill_count: 0
    .symbol:         _ZL18rocblas_dot_kernelIiLb0ELi512ELi2ELb0E19rocblas_complex_numIdEPKS1_S1_EviT5_lT_lS4_lS5_liPT6_PT4_.kd
    .uniform_work_group_size: 1
    .uses_dynamic_stack: false
    .vgpr_count:     16
    .vgpr_spill_count: 0
    .wavefront_size: 64
  - .agpr_count:     0
    .args:
      - .offset:         0
        .size:           4
        .value_kind:     by_value
      - .actual_access:  read_only
        .address_space:  global
        .offset:         8
        .size:           8
        .value_kind:     global_buffer
      - .offset:         16
        .size:           8
        .value_kind:     by_value
      - .offset:         24
        .size:           4
        .value_kind:     by_value
      - .offset:         32
        .size:           8
        .value_kind:     by_value
      - .offset:         40
        .size:           4
        .value_kind:     by_value
      - .actual_access:  write_only
        .address_space:  global
        .offset:         48
        .size:           8
        .value_kind:     global_buffer
      - .actual_access:  write_only
        .address_space:  global
        .offset:         56
        .size:           8
        .value_kind:     global_buffer
      - .offset:         64
        .size:           4
        .value_kind:     hidden_block_count_x
      - .offset:         68
        .size:           4
        .value_kind:     hidden_block_count_y
      - .offset:         72
        .size:           4
        .value_kind:     hidden_block_count_z
      - .offset:         76
        .size:           2
        .value_kind:     hidden_group_size_x
      - .offset:         78
        .size:           2
        .value_kind:     hidden_group_size_y
      - .offset:         80
        .size:           2
        .value_kind:     hidden_group_size_z
      - .offset:         82
        .size:           2
        .value_kind:     hidden_remainder_x
      - .offset:         84
        .size:           2
        .value_kind:     hidden_remainder_y
      - .offset:         86
        .size:           2
        .value_kind:     hidden_remainder_z
      - .offset:         104
        .size:           8
        .value_kind:     hidden_global_offset_x
      - .offset:         112
        .size:           8
        .value_kind:     hidden_global_offset_y
      - .offset:         120
        .size:           8
        .value_kind:     hidden_global_offset_z
      - .offset:         128
        .size:           2
        .value_kind:     hidden_grid_dims
    .group_segment_fixed_size: 1024
    .kernarg_segment_align: 8
    .kernarg_segment_size: 320
    .language:       OpenCL C
    .language_version:
      - 2
      - 0
    .max_flat_workgroup_size: 512
    .name:           _ZL24rocblas_dot_kernel_magsqIiLb0ELi512ELi2ELb0E19rocblas_complex_numIdEPKS1_S1_EviT5_lT_liPT6_PT4_
    .private_segment_fixed_size: 0
    .sgpr_count:     21
    .sgpr_spill_count: 0
    .symbol:         _ZL24rocblas_dot_kernel_magsqIiLb0ELi512ELi2ELb0E19rocblas_complex_numIdEPKS1_S1_EviT5_lT_liPT6_PT4_.kd
    .uniform_work_group_size: 1
    .uses_dynamic_stack: false
    .vgpr_count:     15
    .vgpr_spill_count: 0
    .wavefront_size: 64
  - .agpr_count:     0
    .args:
      - .offset:         0
        .size:           4
        .value_kind:     by_value
      - .actual_access:  read_only
        .address_space:  global
        .offset:         8
        .size:           8
        .value_kind:     global_buffer
      - .actual_access:  write_only
        .address_space:  global
        .offset:         16
        .size:           8
        .value_kind:     global_buffer
    .group_segment_fixed_size: 1024
    .kernarg_segment_align: 8
    .kernarg_segment_size: 24
    .language:       OpenCL C
    .language_version:
      - 2
      - 0
    .max_flat_workgroup_size: 512
    .name:           _ZL30rocblas_reduction_kernel_part2ILi512ELi2E25rocblas_finalize_identity19rocblas_complex_numIdES2_EviPT2_PT3_
    .private_segment_fixed_size: 0
    .sgpr_count:     18
    .sgpr_spill_count: 0
    .symbol:         _ZL30rocblas_reduction_kernel_part2ILi512ELi2E25rocblas_finalize_identity19rocblas_complex_numIdES2_EviPT2_PT3_.kd
    .uniform_work_group_size: 1
    .uses_dynamic_stack: false
    .vgpr_count:     16
    .vgpr_spill_count: 0
    .wavefront_size: 64
  - .agpr_count:     0
    .args:
      - .offset:         0
        .size:           4
        .value_kind:     by_value
      - .actual_access:  read_only
        .address_space:  global
        .offset:         8
        .size:           8
        .value_kind:     global_buffer
      - .offset:         16
        .size:           8
        .value_kind:     by_value
      - .offset:         24
        .size:           8
        .value_kind:     by_value
      - .offset:         32
        .size:           8
        .value_kind:     by_value
      - .actual_access:  read_only
        .address_space:  global
        .offset:         40
        .size:           8
        .value_kind:     global_buffer
      - .offset:         48
        .size:           8
        .value_kind:     by_value
      - .offset:         56
        .size:           8
        .value_kind:     by_value
      - .offset:         64
        .size:           8
        .value_kind:     by_value
      - .offset:         72
        .size:           4
        .value_kind:     by_value
      - .actual_access:  write_only
        .address_space:  global
        .offset:         80
        .size:           8
        .value_kind:     global_buffer
    .group_segment_fixed_size: 0
    .kernarg_segment_align: 8
    .kernarg_segment_size: 88
    .language:       OpenCL C
    .language_version:
      - 2
      - 0
    .max_flat_workgroup_size: 128
    .name:           _ZL28rocblas_dot_batched_4_kernelIlLi32ELi4ELb0E19rocblas_complex_numIdES1_PKS1_EviT5_lT_lS4_lS5_liPT4_
    .private_segment_fixed_size: 0
    .sgpr_count:     28
    .sgpr_spill_count: 0
    .symbol:         _ZL28rocblas_dot_batched_4_kernelIlLi32ELi4ELb0E19rocblas_complex_numIdES1_PKS1_EviT5_lT_lS4_lS5_liPT4_.kd
    .uniform_work_group_size: 1
    .uses_dynamic_stack: false
    .vgpr_count:     24
    .vgpr_spill_count: 0
    .wavefront_size: 64
  - .agpr_count:     0
    .args:
      - .offset:         0
        .size:           4
        .value_kind:     by_value
      - .actual_access:  read_only
        .address_space:  global
        .offset:         8
        .size:           8
        .value_kind:     global_buffer
      - .offset:         16
        .size:           8
        .value_kind:     by_value
      - .offset:         24
        .size:           8
        .value_kind:     by_value
      - .offset:         32
        .size:           8
        .value_kind:     by_value
      - .actual_access:  read_only
        .address_space:  global
        .offset:         40
        .size:           8
        .value_kind:     global_buffer
      - .offset:         48
        .size:           8
        .value_kind:     by_value
      - .offset:         56
        .size:           8
        .value_kind:     by_value
      - .offset:         64
        .size:           8
        .value_kind:     by_value
      - .offset:         72
        .size:           4
        .value_kind:     by_value
      - .actual_access:  write_only
        .address_space:  global
        .offset:         80
        .size:           8
        .value_kind:     global_buffer
    .group_segment_fixed_size: 0
    .kernarg_segment_align: 8
    .kernarg_segment_size: 88
    .language:       OpenCL C
    .language_version:
      - 2
      - 0
    .max_flat_workgroup_size: 256
    .name:           _ZL28rocblas_dot_batched_4_kernelIlLi64ELi4ELb0E19rocblas_complex_numIdES1_PKS1_EviT5_lT_lS4_lS5_liPT4_
    .private_segment_fixed_size: 0
    .sgpr_count:     28
    .sgpr_spill_count: 0
    .symbol:         _ZL28rocblas_dot_batched_4_kernelIlLi64ELi4ELb0E19rocblas_complex_numIdES1_PKS1_EviT5_lT_lS4_lS5_liPT4_.kd
    .uniform_work_group_size: 1
    .uses_dynamic_stack: false
    .vgpr_count:     24
    .vgpr_spill_count: 0
    .wavefront_size: 64
  - .agpr_count:     0
    .args:
      - .offset:         0
        .size:           4
        .value_kind:     by_value
      - .actual_access:  read_only
        .address_space:  global
        .offset:         8
        .size:           8
        .value_kind:     global_buffer
      - .offset:         16
        .size:           8
        .value_kind:     by_value
      - .offset:         24
        .size:           8
        .value_kind:     by_value
      - .offset:         32
        .size:           8
        .value_kind:     by_value
      - .actual_access:  read_only
        .address_space:  global
        .offset:         40
        .size:           8
        .value_kind:     global_buffer
      - .offset:         48
        .size:           8
        .value_kind:     by_value
      - .offset:         56
        .size:           8
        .value_kind:     by_value
      - .offset:         64
        .size:           8
        .value_kind:     by_value
      - .offset:         72
        .size:           4
        .value_kind:     by_value
      - .actual_access:  read_only
        .address_space:  global
        .offset:         80
        .size:           8
        .value_kind:     global_buffer
      - .actual_access:  write_only
        .address_space:  global
        .offset:         88
        .size:           8
        .value_kind:     global_buffer
      - .offset:         96
        .size:           4
        .value_kind:     hidden_block_count_x
      - .offset:         100
        .size:           4
        .value_kind:     hidden_block_count_y
      - .offset:         104
        .size:           4
        .value_kind:     hidden_block_count_z
      - .offset:         108
        .size:           2
        .value_kind:     hidden_group_size_x
      - .offset:         110
        .size:           2
        .value_kind:     hidden_group_size_y
      - .offset:         112
        .size:           2
        .value_kind:     hidden_group_size_z
      - .offset:         114
        .size:           2
        .value_kind:     hidden_remainder_x
      - .offset:         116
        .size:           2
        .value_kind:     hidden_remainder_y
      - .offset:         118
        .size:           2
        .value_kind:     hidden_remainder_z
      - .offset:         136
        .size:           8
        .value_kind:     hidden_global_offset_x
      - .offset:         144
        .size:           8
        .value_kind:     hidden_global_offset_y
      - .offset:         152
        .size:           8
        .value_kind:     hidden_global_offset_z
      - .offset:         160
        .size:           2
        .value_kind:     hidden_grid_dims
    .group_segment_fixed_size: 1024
    .kernarg_segment_align: 8
    .kernarg_segment_size: 352
    .language:       OpenCL C
    .language_version:
      - 2
      - 0
    .max_flat_workgroup_size: 1024
    .name:           _ZL18rocblas_dot_kernelIlLb1ELi1024ELi32ELb0E19rocblas_complex_numIdEPKS1_S1_EviT5_lT_lS4_lS5_liPT6_PT4_
    .private_segment_fixed_size: 0
    .sgpr_count:     30
    .sgpr_spill_count: 0
    .symbol:         _ZL18rocblas_dot_kernelIlLb1ELi1024ELi32ELb0E19rocblas_complex_numIdEPKS1_S1_EviT5_lT_lS4_lS5_liPT6_PT4_.kd
    .uniform_work_group_size: 1
    .uses_dynamic_stack: false
    .vgpr_count:     22
    .vgpr_spill_count: 0
    .wavefront_size: 64
  - .agpr_count:     0
    .args:
      - .offset:         0
        .size:           4
        .value_kind:     by_value
      - .actual_access:  read_only
        .address_space:  global
        .offset:         8
        .size:           8
        .value_kind:     global_buffer
      - .offset:         16
        .size:           8
        .value_kind:     by_value
      - .offset:         24
        .size:           8
        .value_kind:     by_value
      - .offset:         32
        .size:           8
        .value_kind:     by_value
      - .offset:         40
        .size:           4
        .value_kind:     by_value
      - .actual_access:  read_only
        .address_space:  global
        .offset:         48
        .size:           8
        .value_kind:     global_buffer
      - .actual_access:  write_only
        .address_space:  global
        .offset:         56
        .size:           8
        .value_kind:     global_buffer
      - .offset:         64
        .size:           4
        .value_kind:     hidden_block_count_x
      - .offset:         68
        .size:           4
        .value_kind:     hidden_block_count_y
      - .offset:         72
        .size:           4
        .value_kind:     hidden_block_count_z
      - .offset:         76
        .size:           2
        .value_kind:     hidden_group_size_x
      - .offset:         78
        .size:           2
        .value_kind:     hidden_group_size_y
      - .offset:         80
        .size:           2
        .value_kind:     hidden_group_size_z
      - .offset:         82
        .size:           2
        .value_kind:     hidden_remainder_x
      - .offset:         84
        .size:           2
        .value_kind:     hidden_remainder_y
      - .offset:         86
        .size:           2
        .value_kind:     hidden_remainder_z
      - .offset:         104
        .size:           8
        .value_kind:     hidden_global_offset_x
      - .offset:         112
        .size:           8
        .value_kind:     hidden_global_offset_y
      - .offset:         120
        .size:           8
        .value_kind:     hidden_global_offset_z
      - .offset:         128
        .size:           2
        .value_kind:     hidden_grid_dims
    .group_segment_fixed_size: 1024
    .kernarg_segment_align: 8
    .kernarg_segment_size: 320
    .language:       OpenCL C
    .language_version:
      - 2
      - 0
    .max_flat_workgroup_size: 1024
    .name:           _ZL24rocblas_dot_kernel_magsqIlLb1ELi1024ELi32ELb0E19rocblas_complex_numIdEPKS1_S1_EviT5_lT_liPT6_PT4_
    .private_segment_fixed_size: 0
    .sgpr_count:     24
    .sgpr_spill_count: 0
    .symbol:         _ZL24rocblas_dot_kernel_magsqIlLb1ELi1024ELi32ELb0E19rocblas_complex_numIdEPKS1_S1_EviT5_lT_liPT6_PT4_.kd
    .uniform_work_group_size: 1
    .uses_dynamic_stack: false
    .vgpr_count:     16
    .vgpr_spill_count: 0
    .wavefront_size: 64
  - .agpr_count:     0
    .args:
      - .offset:         0
        .size:           4
        .value_kind:     by_value
      - .actual_access:  read_only
        .address_space:  global
        .offset:         8
        .size:           8
        .value_kind:     global_buffer
      - .offset:         16
        .size:           8
        .value_kind:     by_value
      - .offset:         24
        .size:           8
        .value_kind:     by_value
      - .offset:         32
        .size:           8
        .value_kind:     by_value
      - .actual_access:  read_only
        .address_space:  global
        .offset:         40
        .size:           8
        .value_kind:     global_buffer
      - .offset:         48
        .size:           8
        .value_kind:     by_value
      - .offset:         56
        .size:           8
        .value_kind:     by_value
      - .offset:         64
        .size:           8
        .value_kind:     by_value
      - .actual_access:  read_only
        .address_space:  global
        .offset:         72
        .size:           8
        .value_kind:     global_buffer
      - .actual_access:  read_only
        .address_space:  global
        .offset:         80
        .size:           8
        .value_kind:     global_buffer
    .group_segment_fixed_size: 0
    .kernarg_segment_align: 8
    .kernarg_segment_size: 88
    .language:       OpenCL C
    .language_version:
      - 2
      - 0
    .max_flat_workgroup_size: 1024
    .name:           _ZL38rocblas_dot_kernel_gfx942_float_doubleIlLi1024E19rocblas_complex_numIdEPKS1_S1_EviT2_lT_lS4_lS5_lPT3_PT1_
    .private_segment_fixed_size: 0
    .sgpr_count:     4
    .sgpr_spill_count: 0
    .symbol:         _ZL38rocblas_dot_kernel_gfx942_float_doubleIlLi1024E19rocblas_complex_numIdEPKS1_S1_EviT2_lT_lS4_lS5_lPT3_PT1_.kd
    .uniform_work_group_size: 1
    .uses_dynamic_stack: false
    .vgpr_count:     0
    .vgpr_spill_count: 0
    .wavefront_size: 64
  - .agpr_count:     0
    .args:
      - .offset:         0
        .size:           4
        .value_kind:     by_value
      - .actual_access:  read_only
        .address_space:  global
        .offset:         8
        .size:           8
        .value_kind:     global_buffer
      - .offset:         16
        .size:           8
        .value_kind:     by_value
      - .offset:         24
        .size:           8
        .value_kind:     by_value
      - .offset:         32
        .size:           8
        .value_kind:     by_value
      - .actual_access:  read_only
        .address_space:  global
        .offset:         40
        .size:           8
        .value_kind:     global_buffer
      - .offset:         48
        .size:           8
        .value_kind:     by_value
      - .offset:         56
        .size:           8
        .value_kind:     by_value
      - .offset:         64
        .size:           8
        .value_kind:     by_value
      - .offset:         72
        .size:           4
        .value_kind:     by_value
      - .actual_access:  write_only
        .address_space:  global
        .offset:         80
        .size:           8
        .value_kind:     global_buffer
      - .actual_access:  write_only
        .address_space:  global
        .offset:         88
        .size:           8
        .value_kind:     global_buffer
      - .offset:         96
        .size:           4
        .value_kind:     hidden_block_count_x
      - .offset:         100
        .size:           4
        .value_kind:     hidden_block_count_y
      - .offset:         104
        .size:           4
        .value_kind:     hidden_block_count_z
      - .offset:         108
        .size:           2
        .value_kind:     hidden_group_size_x
      - .offset:         110
        .size:           2
        .value_kind:     hidden_group_size_y
      - .offset:         112
        .size:           2
        .value_kind:     hidden_group_size_z
      - .offset:         114
        .size:           2
        .value_kind:     hidden_remainder_x
      - .offset:         116
        .size:           2
        .value_kind:     hidden_remainder_y
      - .offset:         118
        .size:           2
        .value_kind:     hidden_remainder_z
      - .offset:         136
        .size:           8
        .value_kind:     hidden_global_offset_x
      - .offset:         144
        .size:           8
        .value_kind:     hidden_global_offset_y
      - .offset:         152
        .size:           8
        .value_kind:     hidden_global_offset_z
      - .offset:         160
        .size:           2
        .value_kind:     hidden_grid_dims
    .group_segment_fixed_size: 1024
    .kernarg_segment_align: 8
    .kernarg_segment_size: 352
    .language:       OpenCL C
    .language_version:
      - 2
      - 0
    .max_flat_workgroup_size: 512
    .name:           _ZL18rocblas_dot_kernelIlLb0ELi512ELi2ELb0E19rocblas_complex_numIdEPKS1_S1_EviT5_lT_lS4_lS5_liPT6_PT4_
    .private_segment_fixed_size: 0
    .sgpr_count:     30
    .sgpr_spill_count: 0
    .symbol:         _ZL18rocblas_dot_kernelIlLb0ELi512ELi2ELb0E19rocblas_complex_numIdEPKS1_S1_EviT5_lT_lS4_lS5_liPT6_PT4_.kd
    .uniform_work_group_size: 1
    .uses_dynamic_stack: false
    .vgpr_count:     16
    .vgpr_spill_count: 0
    .wavefront_size: 64
  - .agpr_count:     0
    .args:
      - .offset:         0
        .size:           4
        .value_kind:     by_value
      - .actual_access:  read_only
        .address_space:  global
        .offset:         8
        .size:           8
        .value_kind:     global_buffer
      - .offset:         16
        .size:           8
        .value_kind:     by_value
      - .offset:         24
        .size:           8
        .value_kind:     by_value
      - .offset:         32
        .size:           8
        .value_kind:     by_value
      - .offset:         40
        .size:           4
        .value_kind:     by_value
      - .actual_access:  write_only
        .address_space:  global
        .offset:         48
        .size:           8
        .value_kind:     global_buffer
      - .actual_access:  write_only
        .address_space:  global
        .offset:         56
        .size:           8
        .value_kind:     global_buffer
      - .offset:         64
        .size:           4
        .value_kind:     hidden_block_count_x
      - .offset:         68
        .size:           4
        .value_kind:     hidden_block_count_y
      - .offset:         72
        .size:           4
        .value_kind:     hidden_block_count_z
      - .offset:         76
        .size:           2
        .value_kind:     hidden_group_size_x
      - .offset:         78
        .size:           2
        .value_kind:     hidden_group_size_y
      - .offset:         80
        .size:           2
        .value_kind:     hidden_group_size_z
      - .offset:         82
        .size:           2
        .value_kind:     hidden_remainder_x
      - .offset:         84
        .size:           2
        .value_kind:     hidden_remainder_y
      - .offset:         86
        .size:           2
        .value_kind:     hidden_remainder_z
      - .offset:         104
        .size:           8
        .value_kind:     hidden_global_offset_x
      - .offset:         112
        .size:           8
        .value_kind:     hidden_global_offset_y
      - .offset:         120
        .size:           8
        .value_kind:     hidden_global_offset_z
      - .offset:         128
        .size:           2
        .value_kind:     hidden_grid_dims
    .group_segment_fixed_size: 1024
    .kernarg_segment_align: 8
    .kernarg_segment_size: 320
    .language:       OpenCL C
    .language_version:
      - 2
      - 0
    .max_flat_workgroup_size: 512
    .name:           _ZL24rocblas_dot_kernel_magsqIlLb0ELi512ELi2ELb0E19rocblas_complex_numIdEPKS1_S1_EviT5_lT_liPT6_PT4_
    .private_segment_fixed_size: 0
    .sgpr_count:     22
    .sgpr_spill_count: 0
    .symbol:         _ZL24rocblas_dot_kernel_magsqIlLb0ELi512ELi2ELb0E19rocblas_complex_numIdEPKS1_S1_EviT5_lT_liPT6_PT4_.kd
    .uniform_work_group_size: 1
    .uses_dynamic_stack: false
    .vgpr_count:     15
    .vgpr_spill_count: 0
    .wavefront_size: 64
  - .agpr_count:     0
    .args:
      - .offset:         0
        .size:           4
        .value_kind:     by_value
      - .actual_access:  read_only
        .address_space:  global
        .offset:         8
        .size:           8
        .value_kind:     global_buffer
      - .offset:         16
        .size:           8
        .value_kind:     by_value
      - .offset:         24
        .size:           4
        .value_kind:     by_value
      - .offset:         32
        .size:           8
        .value_kind:     by_value
      - .actual_access:  read_only
        .address_space:  global
        .offset:         40
        .size:           8
        .value_kind:     global_buffer
      - .offset:         48
        .size:           8
        .value_kind:     by_value
      - .offset:         56
        .size:           4
        .value_kind:     by_value
      - .offset:         64
        .size:           8
        .value_kind:     by_value
      - .offset:         72
        .size:           4
        .value_kind:     by_value
      - .actual_access:  write_only
        .address_space:  global
        .offset:         80
        .size:           8
        .value_kind:     global_buffer
    .group_segment_fixed_size: 0
    .kernarg_segment_align: 8
    .kernarg_segment_size: 88
    .language:       OpenCL C
    .language_version:
      - 2
      - 0
    .max_flat_workgroup_size: 128
    .name:           _ZL28rocblas_dot_batched_4_kernelIiLi32ELi4ELb1E19rocblas_complex_numIfES1_PKS1_EviT5_lT_lS4_lS5_liPT4_
    .private_segment_fixed_size: 0
    .sgpr_count:     28
    .sgpr_spill_count: 0
    .symbol:         _ZL28rocblas_dot_batched_4_kernelIiLi32ELi4ELb1E19rocblas_complex_numIfES1_PKS1_EviT5_lT_lS4_lS5_liPT4_.kd
    .uniform_work_group_size: 1
    .uses_dynamic_stack: false
    .vgpr_count:     20
    .vgpr_spill_count: 0
    .wavefront_size: 64
  - .agpr_count:     0
    .args:
      - .offset:         0
        .size:           4
        .value_kind:     by_value
      - .actual_access:  read_only
        .address_space:  global
        .offset:         8
        .size:           8
        .value_kind:     global_buffer
      - .offset:         16
        .size:           8
        .value_kind:     by_value
      - .offset:         24
        .size:           4
        .value_kind:     by_value
      - .offset:         32
        .size:           8
        .value_kind:     by_value
      - .actual_access:  read_only
        .address_space:  global
        .offset:         40
        .size:           8
        .value_kind:     global_buffer
      - .offset:         48
        .size:           8
        .value_kind:     by_value
      - .offset:         56
        .size:           4
        .value_kind:     by_value
      - .offset:         64
        .size:           8
        .value_kind:     by_value
      - .offset:         72
        .size:           4
        .value_kind:     by_value
      - .actual_access:  write_only
        .address_space:  global
        .offset:         80
        .size:           8
        .value_kind:     global_buffer
    .group_segment_fixed_size: 0
    .kernarg_segment_align: 8
    .kernarg_segment_size: 88
    .language:       OpenCL C
    .language_version:
      - 2
      - 0
    .max_flat_workgroup_size: 256
    .name:           _ZL28rocblas_dot_batched_4_kernelIiLi64ELi4ELb1E19rocblas_complex_numIfES1_PKS1_EviT5_lT_lS4_lS5_liPT4_
    .private_segment_fixed_size: 0
    .sgpr_count:     28
    .sgpr_spill_count: 0
    .symbol:         _ZL28rocblas_dot_batched_4_kernelIiLi64ELi4ELb1E19rocblas_complex_numIfES1_PKS1_EviT5_lT_lS4_lS5_liPT4_.kd
    .uniform_work_group_size: 1
    .uses_dynamic_stack: false
    .vgpr_count:     20
    .vgpr_spill_count: 0
    .wavefront_size: 64
  - .agpr_count:     0
    .args:
      - .offset:         0
        .size:           4
        .value_kind:     by_value
      - .actual_access:  read_only
        .address_space:  global
        .offset:         8
        .size:           8
        .value_kind:     global_buffer
      - .offset:         16
        .size:           8
        .value_kind:     by_value
      - .offset:         24
        .size:           8
        .value_kind:     by_value
      - .actual_access:  read_only
        .address_space:  global
        .offset:         32
        .size:           8
        .value_kind:     global_buffer
      - .offset:         40
        .size:           8
        .value_kind:     by_value
      - .offset:         48
        .size:           8
        .value_kind:     by_value
      - .offset:         56
        .size:           4
        .value_kind:     by_value
      - .actual_access:  read_only
        .address_space:  global
        .offset:         64
        .size:           8
        .value_kind:     global_buffer
      - .actual_access:  write_only
        .address_space:  global
        .offset:         72
        .size:           8
        .value_kind:     global_buffer
    .group_segment_fixed_size: 512
    .kernarg_segment_align: 8
    .kernarg_segment_size: 80
    .language:       OpenCL C
    .language_version:
      - 2
      - 0
    .max_flat_workgroup_size: 1024
    .name:           _ZL26rocblas_dot_kernel_inc1by2ILb1ELi1024ELi32ELb1E19rocblas_complex_numIfEPKS1_S1_EviT4_llS4_lliPT5_PT3_
    .private_segment_fixed_size: 0
    .sgpr_count:     26
    .sgpr_spill_count: 0
    .symbol:         _ZL26rocblas_dot_kernel_inc1by2ILb1ELi1024ELi32ELb1E19rocblas_complex_numIfEPKS1_S1_EviT4_llS4_lliPT5_PT3_.kd
    .uniform_work_group_size: 1
    .uses_dynamic_stack: false
    .vgpr_count:     16
    .vgpr_spill_count: 0
    .wavefront_size: 64
  - .agpr_count:     0
    .args:
      - .offset:         0
        .size:           4
        .value_kind:     by_value
      - .actual_access:  read_only
        .address_space:  global
        .offset:         8
        .size:           8
        .value_kind:     global_buffer
      - .offset:         16
        .size:           8
        .value_kind:     by_value
      - .offset:         24
        .size:           4
        .value_kind:     by_value
      - .offset:         32
        .size:           8
        .value_kind:     by_value
      - .actual_access:  read_only
        .address_space:  global
        .offset:         40
        .size:           8
        .value_kind:     global_buffer
      - .offset:         48
        .size:           8
        .value_kind:     by_value
      - .offset:         56
        .size:           4
        .value_kind:     by_value
      - .offset:         64
        .size:           8
        .value_kind:     by_value
      - .offset:         72
        .size:           4
        .value_kind:     by_value
      - .actual_access:  read_only
        .address_space:  global
        .offset:         80
        .size:           8
        .value_kind:     global_buffer
      - .actual_access:  write_only
        .address_space:  global
        .offset:         88
        .size:           8
        .value_kind:     global_buffer
      - .offset:         96
        .size:           4
        .value_kind:     hidden_block_count_x
      - .offset:         100
        .size:           4
        .value_kind:     hidden_block_count_y
      - .offset:         104
        .size:           4
        .value_kind:     hidden_block_count_z
      - .offset:         108
        .size:           2
        .value_kind:     hidden_group_size_x
      - .offset:         110
        .size:           2
        .value_kind:     hidden_group_size_y
      - .offset:         112
        .size:           2
        .value_kind:     hidden_group_size_z
      - .offset:         114
        .size:           2
        .value_kind:     hidden_remainder_x
      - .offset:         116
        .size:           2
        .value_kind:     hidden_remainder_y
      - .offset:         118
        .size:           2
        .value_kind:     hidden_remainder_z
      - .offset:         136
        .size:           8
        .value_kind:     hidden_global_offset_x
      - .offset:         144
        .size:           8
        .value_kind:     hidden_global_offset_y
      - .offset:         152
        .size:           8
        .value_kind:     hidden_global_offset_z
      - .offset:         160
        .size:           2
        .value_kind:     hidden_grid_dims
    .group_segment_fixed_size: 512
    .kernarg_segment_align: 8
    .kernarg_segment_size: 352
    .language:       OpenCL C
    .language_version:
      - 2
      - 0
    .max_flat_workgroup_size: 1024
    .name:           _ZL18rocblas_dot_kernelIiLb1ELi1024ELi32ELb1E19rocblas_complex_numIfEPKS1_S1_EviT5_lT_lS4_lS5_liPT6_PT4_
    .private_segment_fixed_size: 0
    .sgpr_count:     28
    .sgpr_spill_count: 0
    .symbol:         _ZL18rocblas_dot_kernelIiLb1ELi1024ELi32ELb1E19rocblas_complex_numIfEPKS1_S1_EviT5_lT_lS4_lS5_liPT6_PT4_.kd
    .uniform_work_group_size: 1
    .uses_dynamic_stack: false
    .vgpr_count:     18
    .vgpr_spill_count: 0
    .wavefront_size: 64
  - .agpr_count:     0
    .args:
      - .offset:         0
        .size:           4
        .value_kind:     by_value
      - .actual_access:  read_only
        .address_space:  global
        .offset:         8
        .size:           8
        .value_kind:     global_buffer
      - .offset:         16
        .size:           8
        .value_kind:     by_value
      - .offset:         24
        .size:           4
        .value_kind:     by_value
      - .offset:         32
        .size:           8
        .value_kind:     by_value
      - .offset:         40
        .size:           4
        .value_kind:     by_value
      - .actual_access:  read_only
        .address_space:  global
        .offset:         48
        .size:           8
        .value_kind:     global_buffer
      - .actual_access:  write_only
        .address_space:  global
        .offset:         56
        .size:           8
        .value_kind:     global_buffer
      - .offset:         64
        .size:           4
        .value_kind:     hidden_block_count_x
      - .offset:         68
        .size:           4
        .value_kind:     hidden_block_count_y
      - .offset:         72
        .size:           4
        .value_kind:     hidden_block_count_z
      - .offset:         76
        .size:           2
        .value_kind:     hidden_group_size_x
      - .offset:         78
        .size:           2
        .value_kind:     hidden_group_size_y
      - .offset:         80
        .size:           2
        .value_kind:     hidden_group_size_z
      - .offset:         82
        .size:           2
        .value_kind:     hidden_remainder_x
      - .offset:         84
        .size:           2
        .value_kind:     hidden_remainder_y
      - .offset:         86
        .size:           2
        .value_kind:     hidden_remainder_z
      - .offset:         104
        .size:           8
        .value_kind:     hidden_global_offset_x
      - .offset:         112
        .size:           8
        .value_kind:     hidden_global_offset_y
      - .offset:         120
        .size:           8
        .value_kind:     hidden_global_offset_z
      - .offset:         128
        .size:           2
        .value_kind:     hidden_grid_dims
    .group_segment_fixed_size: 512
    .kernarg_segment_align: 8
    .kernarg_segment_size: 320
    .language:       OpenCL C
    .language_version:
      - 2
      - 0
    .max_flat_workgroup_size: 1024
    .name:           _ZL24rocblas_dot_kernel_magsqIiLb1ELi1024ELi32ELb1E19rocblas_complex_numIfEPKS1_S1_EviT5_lT_liPT6_PT4_
    .private_segment_fixed_size: 0
    .sgpr_count:     24
    .sgpr_spill_count: 0
    .symbol:         _ZL24rocblas_dot_kernel_magsqIiLb1ELi1024ELi32ELb1E19rocblas_complex_numIfEPKS1_S1_EviT5_lT_liPT6_PT4_.kd
    .uniform_work_group_size: 1
    .uses_dynamic_stack: false
    .vgpr_count:     14
    .vgpr_spill_count: 0
    .wavefront_size: 64
  - .agpr_count:     0
    .args:
      - .offset:         0
        .size:           4
        .value_kind:     by_value
      - .actual_access:  read_only
        .address_space:  global
        .offset:         8
        .size:           8
        .value_kind:     global_buffer
      - .offset:         16
        .size:           8
        .value_kind:     by_value
      - .offset:         24
        .size:           8
        .value_kind:     by_value
      - .actual_access:  read_only
        .address_space:  global
        .offset:         32
        .size:           8
        .value_kind:     global_buffer
      - .offset:         40
        .size:           8
        .value_kind:     by_value
      - .offset:         48
        .size:           8
        .value_kind:     by_value
      - .offset:         56
        .size:           4
        .value_kind:     by_value
      - .actual_access:  write_only
        .address_space:  global
        .offset:         64
        .size:           8
        .value_kind:     global_buffer
      - .actual_access:  write_only
        .address_space:  global
        .offset:         72
        .size:           8
        .value_kind:     global_buffer
      - .offset:         80
        .size:           4
        .value_kind:     hidden_block_count_x
      - .offset:         84
        .size:           4
        .value_kind:     hidden_block_count_y
      - .offset:         88
        .size:           4
        .value_kind:     hidden_block_count_z
      - .offset:         92
        .size:           2
        .value_kind:     hidden_group_size_x
      - .offset:         94
        .size:           2
        .value_kind:     hidden_group_size_y
      - .offset:         96
        .size:           2
        .value_kind:     hidden_group_size_z
      - .offset:         98
        .size:           2
        .value_kind:     hidden_remainder_x
      - .offset:         100
        .size:           2
        .value_kind:     hidden_remainder_y
      - .offset:         102
        .size:           2
        .value_kind:     hidden_remainder_z
      - .offset:         120
        .size:           8
        .value_kind:     hidden_global_offset_x
      - .offset:         128
        .size:           8
        .value_kind:     hidden_global_offset_y
      - .offset:         136
        .size:           8
        .value_kind:     hidden_global_offset_z
      - .offset:         144
        .size:           2
        .value_kind:     hidden_grid_dims
    .group_segment_fixed_size: 512
    .kernarg_segment_align: 8
    .kernarg_segment_size: 336
    .language:       OpenCL C
    .language_version:
      - 2
      - 0
    .max_flat_workgroup_size: 512
    .name:           _ZL23rocblas_dot_kernel_inc1ILb0ELi512ELi2ELb1E19rocblas_complex_numIfEPKS1_S1_EviT4_llS4_lliPT5_PT3_
    .private_segment_fixed_size: 0
    .sgpr_count:     26
    .sgpr_spill_count: 0
    .symbol:         _ZL23rocblas_dot_kernel_inc1ILb0ELi512ELi2ELb1E19rocblas_complex_numIfEPKS1_S1_EviT4_llS4_lliPT5_PT3_.kd
    .uniform_work_group_size: 1
    .uses_dynamic_stack: false
    .vgpr_count:     12
    .vgpr_spill_count: 0
    .wavefront_size: 64
  - .agpr_count:     0
    .args:
      - .offset:         0
        .size:           4
        .value_kind:     by_value
      - .actual_access:  read_only
        .address_space:  global
        .offset:         8
        .size:           8
        .value_kind:     global_buffer
      - .offset:         16
        .size:           8
        .value_kind:     by_value
      - .offset:         24
        .size:           4
        .value_kind:     by_value
      - .offset:         32
        .size:           8
        .value_kind:     by_value
      - .actual_access:  read_only
        .address_space:  global
        .offset:         40
        .size:           8
        .value_kind:     global_buffer
      - .offset:         48
        .size:           8
        .value_kind:     by_value
      - .offset:         56
        .size:           4
        .value_kind:     by_value
      - .offset:         64
        .size:           8
        .value_kind:     by_value
      - .offset:         72
        .size:           4
        .value_kind:     by_value
      - .actual_access:  write_only
        .address_space:  global
        .offset:         80
        .size:           8
        .value_kind:     global_buffer
      - .actual_access:  write_only
        .address_space:  global
        .offset:         88
        .size:           8
        .value_kind:     global_buffer
      - .offset:         96
        .size:           4
        .value_kind:     hidden_block_count_x
      - .offset:         100
        .size:           4
        .value_kind:     hidden_block_count_y
      - .offset:         104
        .size:           4
        .value_kind:     hidden_block_count_z
      - .offset:         108
        .size:           2
        .value_kind:     hidden_group_size_x
      - .offset:         110
        .size:           2
        .value_kind:     hidden_group_size_y
      - .offset:         112
        .size:           2
        .value_kind:     hidden_group_size_z
      - .offset:         114
        .size:           2
        .value_kind:     hidden_remainder_x
      - .offset:         116
        .size:           2
        .value_kind:     hidden_remainder_y
      - .offset:         118
        .size:           2
        .value_kind:     hidden_remainder_z
      - .offset:         136
        .size:           8
        .value_kind:     hidden_global_offset_x
      - .offset:         144
        .size:           8
        .value_kind:     hidden_global_offset_y
      - .offset:         152
        .size:           8
        .value_kind:     hidden_global_offset_z
      - .offset:         160
        .size:           2
        .value_kind:     hidden_grid_dims
    .group_segment_fixed_size: 512
    .kernarg_segment_align: 8
    .kernarg_segment_size: 352
    .language:       OpenCL C
    .language_version:
      - 2
      - 0
    .max_flat_workgroup_size: 512
    .name:           _ZL18rocblas_dot_kernelIiLb0ELi512ELi2ELb1E19rocblas_complex_numIfEPKS1_S1_EviT5_lT_lS4_lS5_liPT6_PT4_
    .private_segment_fixed_size: 0
    .sgpr_count:     30
    .sgpr_spill_count: 0
    .symbol:         _ZL18rocblas_dot_kernelIiLb0ELi512ELi2ELb1E19rocblas_complex_numIfEPKS1_S1_EviT5_lT_lS4_lS5_liPT6_PT4_.kd
    .uniform_work_group_size: 1
    .uses_dynamic_stack: false
    .vgpr_count:     12
    .vgpr_spill_count: 0
    .wavefront_size: 64
  - .agpr_count:     0
    .args:
      - .offset:         0
        .size:           4
        .value_kind:     by_value
      - .actual_access:  read_only
        .address_space:  global
        .offset:         8
        .size:           8
        .value_kind:     global_buffer
      - .offset:         16
        .size:           8
        .value_kind:     by_value
      - .offset:         24
        .size:           4
        .value_kind:     by_value
      - .offset:         32
        .size:           8
        .value_kind:     by_value
      - .offset:         40
        .size:           4
        .value_kind:     by_value
      - .actual_access:  write_only
        .address_space:  global
        .offset:         48
        .size:           8
        .value_kind:     global_buffer
      - .actual_access:  write_only
        .address_space:  global
        .offset:         56
        .size:           8
        .value_kind:     global_buffer
      - .offset:         64
        .size:           4
        .value_kind:     hidden_block_count_x
      - .offset:         68
        .size:           4
        .value_kind:     hidden_block_count_y
      - .offset:         72
        .size:           4
        .value_kind:     hidden_block_count_z
      - .offset:         76
        .size:           2
        .value_kind:     hidden_group_size_x
      - .offset:         78
        .size:           2
        .value_kind:     hidden_group_size_y
      - .offset:         80
        .size:           2
        .value_kind:     hidden_group_size_z
      - .offset:         82
        .size:           2
        .value_kind:     hidden_remainder_x
      - .offset:         84
        .size:           2
        .value_kind:     hidden_remainder_y
      - .offset:         86
        .size:           2
        .value_kind:     hidden_remainder_z
      - .offset:         104
        .size:           8
        .value_kind:     hidden_global_offset_x
      - .offset:         112
        .size:           8
        .value_kind:     hidden_global_offset_y
      - .offset:         120
        .size:           8
        .value_kind:     hidden_global_offset_z
      - .offset:         128
        .size:           2
        .value_kind:     hidden_grid_dims
    .group_segment_fixed_size: 512
    .kernarg_segment_align: 8
    .kernarg_segment_size: 320
    .language:       OpenCL C
    .language_version:
      - 2
      - 0
    .max_flat_workgroup_size: 512
    .name:           _ZL24rocblas_dot_kernel_magsqIiLb0ELi512ELi2ELb1E19rocblas_complex_numIfEPKS1_S1_EviT5_lT_liPT6_PT4_
    .private_segment_fixed_size: 0
    .sgpr_count:     21
    .sgpr_spill_count: 0
    .symbol:         _ZL24rocblas_dot_kernel_magsqIiLb0ELi512ELi2ELb1E19rocblas_complex_numIfEPKS1_S1_EviT5_lT_liPT6_PT4_.kd
    .uniform_work_group_size: 1
    .uses_dynamic_stack: false
    .vgpr_count:     11
    .vgpr_spill_count: 0
    .wavefront_size: 64
  - .agpr_count:     0
    .args:
      - .offset:         0
        .size:           4
        .value_kind:     by_value
      - .actual_access:  read_only
        .address_space:  global
        .offset:         8
        .size:           8
        .value_kind:     global_buffer
      - .offset:         16
        .size:           8
        .value_kind:     by_value
      - .offset:         24
        .size:           8
        .value_kind:     by_value
      - .offset:         32
        .size:           8
        .value_kind:     by_value
      - .actual_access:  read_only
        .address_space:  global
        .offset:         40
        .size:           8
        .value_kind:     global_buffer
      - .offset:         48
        .size:           8
        .value_kind:     by_value
      - .offset:         56
        .size:           8
        .value_kind:     by_value
      - .offset:         64
        .size:           8
        .value_kind:     by_value
      - .offset:         72
        .size:           4
        .value_kind:     by_value
      - .actual_access:  write_only
        .address_space:  global
        .offset:         80
        .size:           8
        .value_kind:     global_buffer
    .group_segment_fixed_size: 0
    .kernarg_segment_align: 8
    .kernarg_segment_size: 88
    .language:       OpenCL C
    .language_version:
      - 2
      - 0
    .max_flat_workgroup_size: 128
    .name:           _ZL28rocblas_dot_batched_4_kernelIlLi32ELi4ELb1E19rocblas_complex_numIfES1_PKS1_EviT5_lT_lS4_lS5_liPT4_
    .private_segment_fixed_size: 0
    .sgpr_count:     28
    .sgpr_spill_count: 0
    .symbol:         _ZL28rocblas_dot_batched_4_kernelIlLi32ELi4ELb1E19rocblas_complex_numIfES1_PKS1_EviT5_lT_lS4_lS5_liPT4_.kd
    .uniform_work_group_size: 1
    .uses_dynamic_stack: false
    .vgpr_count:     20
    .vgpr_spill_count: 0
    .wavefront_size: 64
  - .agpr_count:     0
    .args:
      - .offset:         0
        .size:           4
        .value_kind:     by_value
      - .actual_access:  read_only
        .address_space:  global
        .offset:         8
        .size:           8
        .value_kind:     global_buffer
      - .offset:         16
        .size:           8
        .value_kind:     by_value
      - .offset:         24
        .size:           8
        .value_kind:     by_value
      - .offset:         32
        .size:           8
        .value_kind:     by_value
      - .actual_access:  read_only
        .address_space:  global
        .offset:         40
        .size:           8
        .value_kind:     global_buffer
      - .offset:         48
        .size:           8
        .value_kind:     by_value
      - .offset:         56
        .size:           8
        .value_kind:     by_value
      - .offset:         64
        .size:           8
        .value_kind:     by_value
      - .offset:         72
        .size:           4
        .value_kind:     by_value
      - .actual_access:  write_only
        .address_space:  global
        .offset:         80
        .size:           8
        .value_kind:     global_buffer
    .group_segment_fixed_size: 0
    .kernarg_segment_align: 8
    .kernarg_segment_size: 88
    .language:       OpenCL C
    .language_version:
      - 2
      - 0
    .max_flat_workgroup_size: 256
    .name:           _ZL28rocblas_dot_batched_4_kernelIlLi64ELi4ELb1E19rocblas_complex_numIfES1_PKS1_EviT5_lT_lS4_lS5_liPT4_
    .private_segment_fixed_size: 0
    .sgpr_count:     28
    .sgpr_spill_count: 0
    .symbol:         _ZL28rocblas_dot_batched_4_kernelIlLi64ELi4ELb1E19rocblas_complex_numIfES1_PKS1_EviT5_lT_lS4_lS5_liPT4_.kd
    .uniform_work_group_size: 1
    .uses_dynamic_stack: false
    .vgpr_count:     20
    .vgpr_spill_count: 0
    .wavefront_size: 64
  - .agpr_count:     0
    .args:
      - .offset:         0
        .size:           4
        .value_kind:     by_value
      - .actual_access:  read_only
        .address_space:  global
        .offset:         8
        .size:           8
        .value_kind:     global_buffer
      - .offset:         16
        .size:           8
        .value_kind:     by_value
      - .offset:         24
        .size:           8
        .value_kind:     by_value
      - .offset:         32
        .size:           8
        .value_kind:     by_value
      - .actual_access:  read_only
        .address_space:  global
        .offset:         40
        .size:           8
        .value_kind:     global_buffer
      - .offset:         48
        .size:           8
        .value_kind:     by_value
      - .offset:         56
        .size:           8
        .value_kind:     by_value
      - .offset:         64
        .size:           8
        .value_kind:     by_value
      - .offset:         72
        .size:           4
        .value_kind:     by_value
      - .actual_access:  read_only
        .address_space:  global
        .offset:         80
        .size:           8
        .value_kind:     global_buffer
      - .actual_access:  write_only
        .address_space:  global
        .offset:         88
        .size:           8
        .value_kind:     global_buffer
      - .offset:         96
        .size:           4
        .value_kind:     hidden_block_count_x
      - .offset:         100
        .size:           4
        .value_kind:     hidden_block_count_y
      - .offset:         104
        .size:           4
        .value_kind:     hidden_block_count_z
      - .offset:         108
        .size:           2
        .value_kind:     hidden_group_size_x
      - .offset:         110
        .size:           2
        .value_kind:     hidden_group_size_y
      - .offset:         112
        .size:           2
        .value_kind:     hidden_group_size_z
      - .offset:         114
        .size:           2
        .value_kind:     hidden_remainder_x
      - .offset:         116
        .size:           2
        .value_kind:     hidden_remainder_y
      - .offset:         118
        .size:           2
        .value_kind:     hidden_remainder_z
      - .offset:         136
        .size:           8
        .value_kind:     hidden_global_offset_x
      - .offset:         144
        .size:           8
        .value_kind:     hidden_global_offset_y
      - .offset:         152
        .size:           8
        .value_kind:     hidden_global_offset_z
      - .offset:         160
        .size:           2
        .value_kind:     hidden_grid_dims
    .group_segment_fixed_size: 512
    .kernarg_segment_align: 8
    .kernarg_segment_size: 352
    .language:       OpenCL C
    .language_version:
      - 2
      - 0
    .max_flat_workgroup_size: 1024
    .name:           _ZL18rocblas_dot_kernelIlLb1ELi1024ELi32ELb1E19rocblas_complex_numIfEPKS1_S1_EviT5_lT_lS4_lS5_liPT6_PT4_
    .private_segment_fixed_size: 0
    .sgpr_count:     30
    .sgpr_spill_count: 0
    .symbol:         _ZL18rocblas_dot_kernelIlLb1ELi1024ELi32ELb1E19rocblas_complex_numIfEPKS1_S1_EviT5_lT_lS4_lS5_liPT6_PT4_.kd
    .uniform_work_group_size: 1
    .uses_dynamic_stack: false
    .vgpr_count:     18
    .vgpr_spill_count: 0
    .wavefront_size: 64
  - .agpr_count:     0
    .args:
      - .offset:         0
        .size:           4
        .value_kind:     by_value
      - .actual_access:  read_only
        .address_space:  global
        .offset:         8
        .size:           8
        .value_kind:     global_buffer
      - .offset:         16
        .size:           8
        .value_kind:     by_value
      - .offset:         24
        .size:           8
        .value_kind:     by_value
      - .offset:         32
        .size:           8
        .value_kind:     by_value
      - .offset:         40
        .size:           4
        .value_kind:     by_value
      - .actual_access:  read_only
        .address_space:  global
        .offset:         48
        .size:           8
        .value_kind:     global_buffer
      - .actual_access:  write_only
        .address_space:  global
        .offset:         56
        .size:           8
        .value_kind:     global_buffer
      - .offset:         64
        .size:           4
        .value_kind:     hidden_block_count_x
      - .offset:         68
        .size:           4
        .value_kind:     hidden_block_count_y
      - .offset:         72
        .size:           4
        .value_kind:     hidden_block_count_z
      - .offset:         76
        .size:           2
        .value_kind:     hidden_group_size_x
      - .offset:         78
        .size:           2
        .value_kind:     hidden_group_size_y
      - .offset:         80
        .size:           2
        .value_kind:     hidden_group_size_z
      - .offset:         82
        .size:           2
        .value_kind:     hidden_remainder_x
      - .offset:         84
        .size:           2
        .value_kind:     hidden_remainder_y
      - .offset:         86
        .size:           2
        .value_kind:     hidden_remainder_z
      - .offset:         104
        .size:           8
        .value_kind:     hidden_global_offset_x
      - .offset:         112
        .size:           8
        .value_kind:     hidden_global_offset_y
      - .offset:         120
        .size:           8
        .value_kind:     hidden_global_offset_z
      - .offset:         128
        .size:           2
        .value_kind:     hidden_grid_dims
    .group_segment_fixed_size: 512
    .kernarg_segment_align: 8
    .kernarg_segment_size: 320
    .language:       OpenCL C
    .language_version:
      - 2
      - 0
    .max_flat_workgroup_size: 1024
    .name:           _ZL24rocblas_dot_kernel_magsqIlLb1ELi1024ELi32ELb1E19rocblas_complex_numIfEPKS1_S1_EviT5_lT_liPT6_PT4_
    .private_segment_fixed_size: 0
    .sgpr_count:     24
    .sgpr_spill_count: 0
    .symbol:         _ZL24rocblas_dot_kernel_magsqIlLb1ELi1024ELi32ELb1E19rocblas_complex_numIfEPKS1_S1_EviT5_lT_liPT6_PT4_.kd
    .uniform_work_group_size: 1
    .uses_dynamic_stack: false
    .vgpr_count:     14
    .vgpr_spill_count: 0
    .wavefront_size: 64
  - .agpr_count:     0
    .args:
      - .offset:         0
        .size:           4
        .value_kind:     by_value
      - .actual_access:  read_only
        .address_space:  global
        .offset:         8
        .size:           8
        .value_kind:     global_buffer
      - .offset:         16
        .size:           8
        .value_kind:     by_value
      - .offset:         24
        .size:           8
        .value_kind:     by_value
      - .offset:         32
        .size:           8
        .value_kind:     by_value
      - .actual_access:  read_only
        .address_space:  global
        .offset:         40
        .size:           8
        .value_kind:     global_buffer
      - .offset:         48
        .size:           8
        .value_kind:     by_value
      - .offset:         56
        .size:           8
        .value_kind:     by_value
      - .offset:         64
        .size:           8
        .value_kind:     by_value
      - .offset:         72
        .size:           4
        .value_kind:     by_value
      - .actual_access:  write_only
        .address_space:  global
        .offset:         80
        .size:           8
        .value_kind:     global_buffer
      - .actual_access:  write_only
        .address_space:  global
        .offset:         88
        .size:           8
        .value_kind:     global_buffer
      - .offset:         96
        .size:           4
        .value_kind:     hidden_block_count_x
      - .offset:         100
        .size:           4
        .value_kind:     hidden_block_count_y
      - .offset:         104
        .size:           4
        .value_kind:     hidden_block_count_z
      - .offset:         108
        .size:           2
        .value_kind:     hidden_group_size_x
      - .offset:         110
        .size:           2
        .value_kind:     hidden_group_size_y
      - .offset:         112
        .size:           2
        .value_kind:     hidden_group_size_z
      - .offset:         114
        .size:           2
        .value_kind:     hidden_remainder_x
      - .offset:         116
        .size:           2
        .value_kind:     hidden_remainder_y
      - .offset:         118
        .size:           2
        .value_kind:     hidden_remainder_z
      - .offset:         136
        .size:           8
        .value_kind:     hidden_global_offset_x
      - .offset:         144
        .size:           8
        .value_kind:     hidden_global_offset_y
      - .offset:         152
        .size:           8
        .value_kind:     hidden_global_offset_z
      - .offset:         160
        .size:           2
        .value_kind:     hidden_grid_dims
    .group_segment_fixed_size: 512
    .kernarg_segment_align: 8
    .kernarg_segment_size: 352
    .language:       OpenCL C
    .language_version:
      - 2
      - 0
    .max_flat_workgroup_size: 512
    .name:           _ZL18rocblas_dot_kernelIlLb0ELi512ELi2ELb1E19rocblas_complex_numIfEPKS1_S1_EviT5_lT_lS4_lS5_liPT6_PT4_
    .private_segment_fixed_size: 0
    .sgpr_count:     30
    .sgpr_spill_count: 0
    .symbol:         _ZL18rocblas_dot_kernelIlLb0ELi512ELi2ELb1E19rocblas_complex_numIfEPKS1_S1_EviT5_lT_lS4_lS5_liPT6_PT4_.kd
    .uniform_work_group_size: 1
    .uses_dynamic_stack: false
    .vgpr_count:     12
    .vgpr_spill_count: 0
    .wavefront_size: 64
  - .agpr_count:     0
    .args:
      - .offset:         0
        .size:           4
        .value_kind:     by_value
      - .actual_access:  read_only
        .address_space:  global
        .offset:         8
        .size:           8
        .value_kind:     global_buffer
      - .offset:         16
        .size:           8
        .value_kind:     by_value
      - .offset:         24
        .size:           8
        .value_kind:     by_value
      - .offset:         32
        .size:           8
        .value_kind:     by_value
      - .offset:         40
        .size:           4
        .value_kind:     by_value
      - .actual_access:  write_only
        .address_space:  global
        .offset:         48
        .size:           8
        .value_kind:     global_buffer
      - .actual_access:  write_only
        .address_space:  global
        .offset:         56
        .size:           8
        .value_kind:     global_buffer
      - .offset:         64
        .size:           4
        .value_kind:     hidden_block_count_x
      - .offset:         68
        .size:           4
        .value_kind:     hidden_block_count_y
      - .offset:         72
        .size:           4
        .value_kind:     hidden_block_count_z
      - .offset:         76
        .size:           2
        .value_kind:     hidden_group_size_x
      - .offset:         78
        .size:           2
        .value_kind:     hidden_group_size_y
      - .offset:         80
        .size:           2
        .value_kind:     hidden_group_size_z
      - .offset:         82
        .size:           2
        .value_kind:     hidden_remainder_x
      - .offset:         84
        .size:           2
        .value_kind:     hidden_remainder_y
      - .offset:         86
        .size:           2
        .value_kind:     hidden_remainder_z
      - .offset:         104
        .size:           8
        .value_kind:     hidden_global_offset_x
      - .offset:         112
        .size:           8
        .value_kind:     hidden_global_offset_y
      - .offset:         120
        .size:           8
        .value_kind:     hidden_global_offset_z
      - .offset:         128
        .size:           2
        .value_kind:     hidden_grid_dims
    .group_segment_fixed_size: 512
    .kernarg_segment_align: 8
    .kernarg_segment_size: 320
    .language:       OpenCL C
    .language_version:
      - 2
      - 0
    .max_flat_workgroup_size: 512
    .name:           _ZL24rocblas_dot_kernel_magsqIlLb0ELi512ELi2ELb1E19rocblas_complex_numIfEPKS1_S1_EviT5_lT_liPT6_PT4_
    .private_segment_fixed_size: 0
    .sgpr_count:     22
    .sgpr_spill_count: 0
    .symbol:         _ZL24rocblas_dot_kernel_magsqIlLb0ELi512ELi2ELb1E19rocblas_complex_numIfEPKS1_S1_EviT5_lT_liPT6_PT4_.kd
    .uniform_work_group_size: 1
    .uses_dynamic_stack: false
    .vgpr_count:     11
    .vgpr_spill_count: 0
    .wavefront_size: 64
  - .agpr_count:     0
    .args:
      - .offset:         0
        .size:           4
        .value_kind:     by_value
      - .actual_access:  read_only
        .address_space:  global
        .offset:         8
        .size:           8
        .value_kind:     global_buffer
      - .offset:         16
        .size:           8
        .value_kind:     by_value
      - .offset:         24
        .size:           4
        .value_kind:     by_value
      - .offset:         32
        .size:           8
        .value_kind:     by_value
      - .actual_access:  read_only
        .address_space:  global
        .offset:         40
        .size:           8
        .value_kind:     global_buffer
      - .offset:         48
        .size:           8
        .value_kind:     by_value
      - .offset:         56
        .size:           4
        .value_kind:     by_value
      - .offset:         64
        .size:           8
        .value_kind:     by_value
      - .offset:         72
        .size:           4
        .value_kind:     by_value
      - .actual_access:  write_only
        .address_space:  global
        .offset:         80
        .size:           8
        .value_kind:     global_buffer
    .group_segment_fixed_size: 0
    .kernarg_segment_align: 8
    .kernarg_segment_size: 88
    .language:       OpenCL C
    .language_version:
      - 2
      - 0
    .max_flat_workgroup_size: 128
    .name:           _ZL28rocblas_dot_batched_4_kernelIiLi32ELi4ELb1E19rocblas_complex_numIdES1_PKS1_EviT5_lT_lS4_lS5_liPT4_
    .private_segment_fixed_size: 0
    .sgpr_count:     28
    .sgpr_spill_count: 0
    .symbol:         _ZL28rocblas_dot_batched_4_kernelIiLi32ELi4ELb1E19rocblas_complex_numIdES1_PKS1_EviT5_lT_lS4_lS5_liPT4_.kd
    .uniform_work_group_size: 1
    .uses_dynamic_stack: false
    .vgpr_count:     24
    .vgpr_spill_count: 0
    .wavefront_size: 64
  - .agpr_count:     0
    .args:
      - .offset:         0
        .size:           4
        .value_kind:     by_value
      - .actual_access:  read_only
        .address_space:  global
        .offset:         8
        .size:           8
        .value_kind:     global_buffer
      - .offset:         16
        .size:           8
        .value_kind:     by_value
      - .offset:         24
        .size:           4
        .value_kind:     by_value
      - .offset:         32
        .size:           8
        .value_kind:     by_value
      - .actual_access:  read_only
        .address_space:  global
        .offset:         40
        .size:           8
        .value_kind:     global_buffer
      - .offset:         48
        .size:           8
        .value_kind:     by_value
      - .offset:         56
        .size:           4
        .value_kind:     by_value
      - .offset:         64
        .size:           8
        .value_kind:     by_value
      - .offset:         72
        .size:           4
        .value_kind:     by_value
      - .actual_access:  write_only
        .address_space:  global
        .offset:         80
        .size:           8
        .value_kind:     global_buffer
    .group_segment_fixed_size: 0
    .kernarg_segment_align: 8
    .kernarg_segment_size: 88
    .language:       OpenCL C
    .language_version:
      - 2
      - 0
    .max_flat_workgroup_size: 256
    .name:           _ZL28rocblas_dot_batched_4_kernelIiLi64ELi4ELb1E19rocblas_complex_numIdES1_PKS1_EviT5_lT_lS4_lS5_liPT4_
    .private_segment_fixed_size: 0
    .sgpr_count:     28
    .sgpr_spill_count: 0
    .symbol:         _ZL28rocblas_dot_batched_4_kernelIiLi64ELi4ELb1E19rocblas_complex_numIdES1_PKS1_EviT5_lT_lS4_lS5_liPT4_.kd
    .uniform_work_group_size: 1
    .uses_dynamic_stack: false
    .vgpr_count:     24
    .vgpr_spill_count: 0
    .wavefront_size: 64
  - .agpr_count:     0
    .args:
      - .offset:         0
        .size:           4
        .value_kind:     by_value
      - .actual_access:  read_only
        .address_space:  global
        .offset:         8
        .size:           8
        .value_kind:     global_buffer
      - .offset:         16
        .size:           8
        .value_kind:     by_value
      - .offset:         24
        .size:           8
        .value_kind:     by_value
      - .actual_access:  read_only
        .address_space:  global
        .offset:         32
        .size:           8
        .value_kind:     global_buffer
      - .offset:         40
        .size:           8
        .value_kind:     by_value
      - .offset:         48
        .size:           8
        .value_kind:     by_value
      - .offset:         56
        .size:           4
        .value_kind:     by_value
      - .actual_access:  read_only
        .address_space:  global
        .offset:         64
        .size:           8
        .value_kind:     global_buffer
      - .actual_access:  write_only
        .address_space:  global
        .offset:         72
        .size:           8
        .value_kind:     global_buffer
    .group_segment_fixed_size: 1024
    .kernarg_segment_align: 8
    .kernarg_segment_size: 80
    .language:       OpenCL C
    .language_version:
      - 2
      - 0
    .max_flat_workgroup_size: 1024
    .name:           _ZL26rocblas_dot_kernel_inc1by2ILb1ELi1024ELi32ELb1E19rocblas_complex_numIdEPKS1_S1_EviT4_llS4_lliPT5_PT3_
    .private_segment_fixed_size: 0
    .sgpr_count:     26
    .sgpr_spill_count: 0
    .symbol:         _ZL26rocblas_dot_kernel_inc1by2ILb1ELi1024ELi32ELb1E19rocblas_complex_numIdEPKS1_S1_EviT4_llS4_lliPT5_PT3_.kd
    .uniform_work_group_size: 1
    .uses_dynamic_stack: false
    .vgpr_count:     20
    .vgpr_spill_count: 0
    .wavefront_size: 64
  - .agpr_count:     0
    .args:
      - .offset:         0
        .size:           4
        .value_kind:     by_value
      - .actual_access:  read_only
        .address_space:  global
        .offset:         8
        .size:           8
        .value_kind:     global_buffer
      - .offset:         16
        .size:           8
        .value_kind:     by_value
      - .offset:         24
        .size:           4
        .value_kind:     by_value
      - .offset:         32
        .size:           8
        .value_kind:     by_value
      - .actual_access:  read_only
        .address_space:  global
        .offset:         40
        .size:           8
        .value_kind:     global_buffer
      - .offset:         48
        .size:           8
        .value_kind:     by_value
      - .offset:         56
        .size:           4
        .value_kind:     by_value
      - .offset:         64
        .size:           8
        .value_kind:     by_value
      - .offset:         72
        .size:           4
        .value_kind:     by_value
      - .actual_access:  read_only
        .address_space:  global
        .offset:         80
        .size:           8
        .value_kind:     global_buffer
      - .actual_access:  write_only
        .address_space:  global
        .offset:         88
        .size:           8
        .value_kind:     global_buffer
      - .offset:         96
        .size:           4
        .value_kind:     hidden_block_count_x
      - .offset:         100
        .size:           4
        .value_kind:     hidden_block_count_y
      - .offset:         104
        .size:           4
        .value_kind:     hidden_block_count_z
      - .offset:         108
        .size:           2
        .value_kind:     hidden_group_size_x
      - .offset:         110
        .size:           2
        .value_kind:     hidden_group_size_y
      - .offset:         112
        .size:           2
        .value_kind:     hidden_group_size_z
      - .offset:         114
        .size:           2
        .value_kind:     hidden_remainder_x
      - .offset:         116
        .size:           2
        .value_kind:     hidden_remainder_y
      - .offset:         118
        .size:           2
        .value_kind:     hidden_remainder_z
      - .offset:         136
        .size:           8
        .value_kind:     hidden_global_offset_x
      - .offset:         144
        .size:           8
        .value_kind:     hidden_global_offset_y
      - .offset:         152
        .size:           8
        .value_kind:     hidden_global_offset_z
      - .offset:         160
        .size:           2
        .value_kind:     hidden_grid_dims
    .group_segment_fixed_size: 1024
    .kernarg_segment_align: 8
    .kernarg_segment_size: 352
    .language:       OpenCL C
    .language_version:
      - 2
      - 0
    .max_flat_workgroup_size: 1024
    .name:           _ZL18rocblas_dot_kernelIiLb1ELi1024ELi32ELb1E19rocblas_complex_numIdEPKS1_S1_EviT5_lT_lS4_lS5_liPT6_PT4_
    .private_segment_fixed_size: 0
    .sgpr_count:     28
    .sgpr_spill_count: 0
    .symbol:         _ZL18rocblas_dot_kernelIiLb1ELi1024ELi32ELb1E19rocblas_complex_numIdEPKS1_S1_EviT5_lT_lS4_lS5_liPT6_PT4_.kd
    .uniform_work_group_size: 1
    .uses_dynamic_stack: false
    .vgpr_count:     22
    .vgpr_spill_count: 0
    .wavefront_size: 64
  - .agpr_count:     0
    .args:
      - .offset:         0
        .size:           4
        .value_kind:     by_value
      - .actual_access:  read_only
        .address_space:  global
        .offset:         8
        .size:           8
        .value_kind:     global_buffer
      - .offset:         16
        .size:           8
        .value_kind:     by_value
      - .offset:         24
        .size:           4
        .value_kind:     by_value
      - .offset:         32
        .size:           8
        .value_kind:     by_value
      - .offset:         40
        .size:           4
        .value_kind:     by_value
      - .actual_access:  read_only
        .address_space:  global
        .offset:         48
        .size:           8
        .value_kind:     global_buffer
      - .actual_access:  write_only
        .address_space:  global
        .offset:         56
        .size:           8
        .value_kind:     global_buffer
      - .offset:         64
        .size:           4
        .value_kind:     hidden_block_count_x
      - .offset:         68
        .size:           4
        .value_kind:     hidden_block_count_y
      - .offset:         72
        .size:           4
        .value_kind:     hidden_block_count_z
      - .offset:         76
        .size:           2
        .value_kind:     hidden_group_size_x
      - .offset:         78
        .size:           2
        .value_kind:     hidden_group_size_y
      - .offset:         80
        .size:           2
        .value_kind:     hidden_group_size_z
      - .offset:         82
        .size:           2
        .value_kind:     hidden_remainder_x
      - .offset:         84
        .size:           2
        .value_kind:     hidden_remainder_y
      - .offset:         86
        .size:           2
        .value_kind:     hidden_remainder_z
      - .offset:         104
        .size:           8
        .value_kind:     hidden_global_offset_x
      - .offset:         112
        .size:           8
        .value_kind:     hidden_global_offset_y
      - .offset:         120
        .size:           8
        .value_kind:     hidden_global_offset_z
      - .offset:         128
        .size:           2
        .value_kind:     hidden_grid_dims
    .group_segment_fixed_size: 1024
    .kernarg_segment_align: 8
    .kernarg_segment_size: 320
    .language:       OpenCL C
    .language_version:
      - 2
      - 0
    .max_flat_workgroup_size: 1024
    .name:           _ZL24rocblas_dot_kernel_magsqIiLb1ELi1024ELi32ELb1E19rocblas_complex_numIdEPKS1_S1_EviT5_lT_liPT6_PT4_
    .private_segment_fixed_size: 0
    .sgpr_count:     24
    .sgpr_spill_count: 0
    .symbol:         _ZL24rocblas_dot_kernel_magsqIiLb1ELi1024ELi32ELb1E19rocblas_complex_numIdEPKS1_S1_EviT5_lT_liPT6_PT4_.kd
    .uniform_work_group_size: 1
    .uses_dynamic_stack: false
    .vgpr_count:     18
    .vgpr_spill_count: 0
    .wavefront_size: 64
  - .agpr_count:     0
    .args:
      - .offset:         0
        .size:           4
        .value_kind:     by_value
      - .actual_access:  read_only
        .address_space:  global
        .offset:         8
        .size:           8
        .value_kind:     global_buffer
      - .offset:         16
        .size:           8
        .value_kind:     by_value
      - .offset:         24
        .size:           8
        .value_kind:     by_value
      - .actual_access:  read_only
        .address_space:  global
        .offset:         32
        .size:           8
        .value_kind:     global_buffer
      - .offset:         40
        .size:           8
        .value_kind:     by_value
      - .offset:         48
        .size:           8
        .value_kind:     by_value
      - .offset:         56
        .size:           4
        .value_kind:     by_value
      - .actual_access:  write_only
        .address_space:  global
        .offset:         64
        .size:           8
        .value_kind:     global_buffer
      - .actual_access:  write_only
        .address_space:  global
        .offset:         72
        .size:           8
        .value_kind:     global_buffer
      - .offset:         80
        .size:           4
        .value_kind:     hidden_block_count_x
      - .offset:         84
        .size:           4
        .value_kind:     hidden_block_count_y
      - .offset:         88
        .size:           4
        .value_kind:     hidden_block_count_z
      - .offset:         92
        .size:           2
        .value_kind:     hidden_group_size_x
      - .offset:         94
        .size:           2
        .value_kind:     hidden_group_size_y
      - .offset:         96
        .size:           2
        .value_kind:     hidden_group_size_z
      - .offset:         98
        .size:           2
        .value_kind:     hidden_remainder_x
      - .offset:         100
        .size:           2
        .value_kind:     hidden_remainder_y
      - .offset:         102
        .size:           2
        .value_kind:     hidden_remainder_z
      - .offset:         120
        .size:           8
        .value_kind:     hidden_global_offset_x
      - .offset:         128
        .size:           8
        .value_kind:     hidden_global_offset_y
      - .offset:         136
        .size:           8
        .value_kind:     hidden_global_offset_z
      - .offset:         144
        .size:           2
        .value_kind:     hidden_grid_dims
    .group_segment_fixed_size: 1024
    .kernarg_segment_align: 8
    .kernarg_segment_size: 336
    .language:       OpenCL C
    .language_version:
      - 2
      - 0
    .max_flat_workgroup_size: 512
    .name:           _ZL23rocblas_dot_kernel_inc1ILb0ELi512ELi2ELb1E19rocblas_complex_numIdEPKS1_S1_EviT4_llS4_lliPT5_PT3_
    .private_segment_fixed_size: 0
    .sgpr_count:     26
    .sgpr_spill_count: 0
    .symbol:         _ZL23rocblas_dot_kernel_inc1ILb0ELi512ELi2ELb1E19rocblas_complex_numIdEPKS1_S1_EviT4_llS4_lliPT5_PT3_.kd
    .uniform_work_group_size: 1
    .uses_dynamic_stack: false
    .vgpr_count:     16
    .vgpr_spill_count: 0
    .wavefront_size: 64
  - .agpr_count:     0
    .args:
      - .offset:         0
        .size:           4
        .value_kind:     by_value
      - .actual_access:  read_only
        .address_space:  global
        .offset:         8
        .size:           8
        .value_kind:     global_buffer
      - .offset:         16
        .size:           8
        .value_kind:     by_value
      - .offset:         24
        .size:           4
        .value_kind:     by_value
      - .offset:         32
        .size:           8
        .value_kind:     by_value
      - .actual_access:  read_only
        .address_space:  global
        .offset:         40
        .size:           8
        .value_kind:     global_buffer
      - .offset:         48
        .size:           8
        .value_kind:     by_value
      - .offset:         56
        .size:           4
        .value_kind:     by_value
      - .offset:         64
        .size:           8
        .value_kind:     by_value
      - .offset:         72
        .size:           4
        .value_kind:     by_value
      - .actual_access:  write_only
        .address_space:  global
        .offset:         80
        .size:           8
        .value_kind:     global_buffer
      - .actual_access:  write_only
        .address_space:  global
        .offset:         88
        .size:           8
        .value_kind:     global_buffer
      - .offset:         96
        .size:           4
        .value_kind:     hidden_block_count_x
      - .offset:         100
        .size:           4
        .value_kind:     hidden_block_count_y
      - .offset:         104
        .size:           4
        .value_kind:     hidden_block_count_z
      - .offset:         108
        .size:           2
        .value_kind:     hidden_group_size_x
      - .offset:         110
        .size:           2
        .value_kind:     hidden_group_size_y
      - .offset:         112
        .size:           2
        .value_kind:     hidden_group_size_z
      - .offset:         114
        .size:           2
        .value_kind:     hidden_remainder_x
      - .offset:         116
        .size:           2
        .value_kind:     hidden_remainder_y
      - .offset:         118
        .size:           2
        .value_kind:     hidden_remainder_z
      - .offset:         136
        .size:           8
        .value_kind:     hidden_global_offset_x
      - .offset:         144
        .size:           8
        .value_kind:     hidden_global_offset_y
      - .offset:         152
        .size:           8
        .value_kind:     hidden_global_offset_z
      - .offset:         160
        .size:           2
        .value_kind:     hidden_grid_dims
    .group_segment_fixed_size: 1024
    .kernarg_segment_align: 8
    .kernarg_segment_size: 352
    .language:       OpenCL C
    .language_version:
      - 2
      - 0
    .max_flat_workgroup_size: 512
    .name:           _ZL18rocblas_dot_kernelIiLb0ELi512ELi2ELb1E19rocblas_complex_numIdEPKS1_S1_EviT5_lT_lS4_lS5_liPT6_PT4_
    .private_segment_fixed_size: 0
    .sgpr_count:     30
    .sgpr_spill_count: 0
    .symbol:         _ZL18rocblas_dot_kernelIiLb0ELi512ELi2ELb1E19rocblas_complex_numIdEPKS1_S1_EviT5_lT_lS4_lS5_liPT6_PT4_.kd
    .uniform_work_group_size: 1
    .uses_dynamic_stack: false
    .vgpr_count:     16
    .vgpr_spill_count: 0
    .wavefront_size: 64
  - .agpr_count:     0
    .args:
      - .offset:         0
        .size:           4
        .value_kind:     by_value
      - .actual_access:  read_only
        .address_space:  global
        .offset:         8
        .size:           8
        .value_kind:     global_buffer
      - .offset:         16
        .size:           8
        .value_kind:     by_value
      - .offset:         24
        .size:           4
        .value_kind:     by_value
      - .offset:         32
        .size:           8
        .value_kind:     by_value
      - .offset:         40
        .size:           4
        .value_kind:     by_value
      - .actual_access:  write_only
        .address_space:  global
        .offset:         48
        .size:           8
        .value_kind:     global_buffer
      - .actual_access:  write_only
        .address_space:  global
        .offset:         56
        .size:           8
        .value_kind:     global_buffer
      - .offset:         64
        .size:           4
        .value_kind:     hidden_block_count_x
      - .offset:         68
        .size:           4
        .value_kind:     hidden_block_count_y
      - .offset:         72
        .size:           4
        .value_kind:     hidden_block_count_z
      - .offset:         76
        .size:           2
        .value_kind:     hidden_group_size_x
      - .offset:         78
        .size:           2
        .value_kind:     hidden_group_size_y
      - .offset:         80
        .size:           2
        .value_kind:     hidden_group_size_z
      - .offset:         82
        .size:           2
        .value_kind:     hidden_remainder_x
      - .offset:         84
        .size:           2
        .value_kind:     hidden_remainder_y
      - .offset:         86
        .size:           2
        .value_kind:     hidden_remainder_z
      - .offset:         104
        .size:           8
        .value_kind:     hidden_global_offset_x
      - .offset:         112
        .size:           8
        .value_kind:     hidden_global_offset_y
      - .offset:         120
        .size:           8
        .value_kind:     hidden_global_offset_z
      - .offset:         128
        .size:           2
        .value_kind:     hidden_grid_dims
    .group_segment_fixed_size: 1024
    .kernarg_segment_align: 8
    .kernarg_segment_size: 320
    .language:       OpenCL C
    .language_version:
      - 2
      - 0
    .max_flat_workgroup_size: 512
    .name:           _ZL24rocblas_dot_kernel_magsqIiLb0ELi512ELi2ELb1E19rocblas_complex_numIdEPKS1_S1_EviT5_lT_liPT6_PT4_
    .private_segment_fixed_size: 0
    .sgpr_count:     21
    .sgpr_spill_count: 0
    .symbol:         _ZL24rocblas_dot_kernel_magsqIiLb0ELi512ELi2ELb1E19rocblas_complex_numIdEPKS1_S1_EviT5_lT_liPT6_PT4_.kd
    .uniform_work_group_size: 1
    .uses_dynamic_stack: false
    .vgpr_count:     15
    .vgpr_spill_count: 0
    .wavefront_size: 64
  - .agpr_count:     0
    .args:
      - .offset:         0
        .size:           4
        .value_kind:     by_value
      - .actual_access:  read_only
        .address_space:  global
        .offset:         8
        .size:           8
        .value_kind:     global_buffer
      - .offset:         16
        .size:           8
        .value_kind:     by_value
      - .offset:         24
        .size:           8
        .value_kind:     by_value
      - .offset:         32
        .size:           8
        .value_kind:     by_value
      - .actual_access:  read_only
        .address_space:  global
        .offset:         40
        .size:           8
        .value_kind:     global_buffer
      - .offset:         48
        .size:           8
        .value_kind:     by_value
      - .offset:         56
        .size:           8
        .value_kind:     by_value
      - .offset:         64
        .size:           8
        .value_kind:     by_value
      - .offset:         72
        .size:           4
        .value_kind:     by_value
      - .actual_access:  write_only
        .address_space:  global
        .offset:         80
        .size:           8
        .value_kind:     global_buffer
    .group_segment_fixed_size: 0
    .kernarg_segment_align: 8
    .kernarg_segment_size: 88
    .language:       OpenCL C
    .language_version:
      - 2
      - 0
    .max_flat_workgroup_size: 128
    .name:           _ZL28rocblas_dot_batched_4_kernelIlLi32ELi4ELb1E19rocblas_complex_numIdES1_PKS1_EviT5_lT_lS4_lS5_liPT4_
    .private_segment_fixed_size: 0
    .sgpr_count:     28
    .sgpr_spill_count: 0
    .symbol:         _ZL28rocblas_dot_batched_4_kernelIlLi32ELi4ELb1E19rocblas_complex_numIdES1_PKS1_EviT5_lT_lS4_lS5_liPT4_.kd
    .uniform_work_group_size: 1
    .uses_dynamic_stack: false
    .vgpr_count:     24
    .vgpr_spill_count: 0
    .wavefront_size: 64
  - .agpr_count:     0
    .args:
      - .offset:         0
        .size:           4
        .value_kind:     by_value
      - .actual_access:  read_only
        .address_space:  global
        .offset:         8
        .size:           8
        .value_kind:     global_buffer
      - .offset:         16
        .size:           8
        .value_kind:     by_value
      - .offset:         24
        .size:           8
        .value_kind:     by_value
      - .offset:         32
        .size:           8
        .value_kind:     by_value
      - .actual_access:  read_only
        .address_space:  global
        .offset:         40
        .size:           8
        .value_kind:     global_buffer
      - .offset:         48
        .size:           8
        .value_kind:     by_value
      - .offset:         56
        .size:           8
        .value_kind:     by_value
      - .offset:         64
        .size:           8
        .value_kind:     by_value
      - .offset:         72
        .size:           4
        .value_kind:     by_value
      - .actual_access:  write_only
        .address_space:  global
        .offset:         80
        .size:           8
        .value_kind:     global_buffer
    .group_segment_fixed_size: 0
    .kernarg_segment_align: 8
    .kernarg_segment_size: 88
    .language:       OpenCL C
    .language_version:
      - 2
      - 0
    .max_flat_workgroup_size: 256
    .name:           _ZL28rocblas_dot_batched_4_kernelIlLi64ELi4ELb1E19rocblas_complex_numIdES1_PKS1_EviT5_lT_lS4_lS5_liPT4_
    .private_segment_fixed_size: 0
    .sgpr_count:     28
    .sgpr_spill_count: 0
    .symbol:         _ZL28rocblas_dot_batched_4_kernelIlLi64ELi4ELb1E19rocblas_complex_numIdES1_PKS1_EviT5_lT_lS4_lS5_liPT4_.kd
    .uniform_work_group_size: 1
    .uses_dynamic_stack: false
    .vgpr_count:     24
    .vgpr_spill_count: 0
    .wavefront_size: 64
  - .agpr_count:     0
    .args:
      - .offset:         0
        .size:           4
        .value_kind:     by_value
      - .actual_access:  read_only
        .address_space:  global
        .offset:         8
        .size:           8
        .value_kind:     global_buffer
      - .offset:         16
        .size:           8
        .value_kind:     by_value
      - .offset:         24
        .size:           8
        .value_kind:     by_value
      - .offset:         32
        .size:           8
        .value_kind:     by_value
      - .actual_access:  read_only
        .address_space:  global
        .offset:         40
        .size:           8
        .value_kind:     global_buffer
      - .offset:         48
        .size:           8
        .value_kind:     by_value
      - .offset:         56
        .size:           8
        .value_kind:     by_value
      - .offset:         64
        .size:           8
        .value_kind:     by_value
      - .offset:         72
        .size:           4
        .value_kind:     by_value
      - .actual_access:  read_only
        .address_space:  global
        .offset:         80
        .size:           8
        .value_kind:     global_buffer
      - .actual_access:  write_only
        .address_space:  global
        .offset:         88
        .size:           8
        .value_kind:     global_buffer
      - .offset:         96
        .size:           4
        .value_kind:     hidden_block_count_x
      - .offset:         100
        .size:           4
        .value_kind:     hidden_block_count_y
      - .offset:         104
        .size:           4
        .value_kind:     hidden_block_count_z
      - .offset:         108
        .size:           2
        .value_kind:     hidden_group_size_x
      - .offset:         110
        .size:           2
        .value_kind:     hidden_group_size_y
      - .offset:         112
        .size:           2
        .value_kind:     hidden_group_size_z
      - .offset:         114
        .size:           2
        .value_kind:     hidden_remainder_x
      - .offset:         116
        .size:           2
        .value_kind:     hidden_remainder_y
      - .offset:         118
        .size:           2
        .value_kind:     hidden_remainder_z
      - .offset:         136
        .size:           8
        .value_kind:     hidden_global_offset_x
      - .offset:         144
        .size:           8
        .value_kind:     hidden_global_offset_y
      - .offset:         152
        .size:           8
        .value_kind:     hidden_global_offset_z
      - .offset:         160
        .size:           2
        .value_kind:     hidden_grid_dims
    .group_segment_fixed_size: 1024
    .kernarg_segment_align: 8
    .kernarg_segment_size: 352
    .language:       OpenCL C
    .language_version:
      - 2
      - 0
    .max_flat_workgroup_size: 1024
    .name:           _ZL18rocblas_dot_kernelIlLb1ELi1024ELi32ELb1E19rocblas_complex_numIdEPKS1_S1_EviT5_lT_lS4_lS5_liPT6_PT4_
    .private_segment_fixed_size: 0
    .sgpr_count:     30
    .sgpr_spill_count: 0
    .symbol:         _ZL18rocblas_dot_kernelIlLb1ELi1024ELi32ELb1E19rocblas_complex_numIdEPKS1_S1_EviT5_lT_lS4_lS5_liPT6_PT4_.kd
    .uniform_work_group_size: 1
    .uses_dynamic_stack: false
    .vgpr_count:     22
    .vgpr_spill_count: 0
    .wavefront_size: 64
  - .agpr_count:     0
    .args:
      - .offset:         0
        .size:           4
        .value_kind:     by_value
      - .actual_access:  read_only
        .address_space:  global
        .offset:         8
        .size:           8
        .value_kind:     global_buffer
      - .offset:         16
        .size:           8
        .value_kind:     by_value
      - .offset:         24
        .size:           8
        .value_kind:     by_value
      - .offset:         32
        .size:           8
        .value_kind:     by_value
      - .offset:         40
        .size:           4
        .value_kind:     by_value
      - .actual_access:  read_only
        .address_space:  global
        .offset:         48
        .size:           8
        .value_kind:     global_buffer
      - .actual_access:  write_only
        .address_space:  global
        .offset:         56
        .size:           8
        .value_kind:     global_buffer
      - .offset:         64
        .size:           4
        .value_kind:     hidden_block_count_x
      - .offset:         68
        .size:           4
        .value_kind:     hidden_block_count_y
      - .offset:         72
        .size:           4
        .value_kind:     hidden_block_count_z
      - .offset:         76
        .size:           2
        .value_kind:     hidden_group_size_x
      - .offset:         78
        .size:           2
        .value_kind:     hidden_group_size_y
      - .offset:         80
        .size:           2
        .value_kind:     hidden_group_size_z
      - .offset:         82
        .size:           2
        .value_kind:     hidden_remainder_x
      - .offset:         84
        .size:           2
        .value_kind:     hidden_remainder_y
      - .offset:         86
        .size:           2
        .value_kind:     hidden_remainder_z
      - .offset:         104
        .size:           8
        .value_kind:     hidden_global_offset_x
      - .offset:         112
        .size:           8
        .value_kind:     hidden_global_offset_y
      - .offset:         120
        .size:           8
        .value_kind:     hidden_global_offset_z
      - .offset:         128
        .size:           2
        .value_kind:     hidden_grid_dims
    .group_segment_fixed_size: 1024
    .kernarg_segment_align: 8
    .kernarg_segment_size: 320
    .language:       OpenCL C
    .language_version:
      - 2
      - 0
    .max_flat_workgroup_size: 1024
    .name:           _ZL24rocblas_dot_kernel_magsqIlLb1ELi1024ELi32ELb1E19rocblas_complex_numIdEPKS1_S1_EviT5_lT_liPT6_PT4_
    .private_segment_fixed_size: 0
    .sgpr_count:     24
    .sgpr_spill_count: 0
    .symbol:         _ZL24rocblas_dot_kernel_magsqIlLb1ELi1024ELi32ELb1E19rocblas_complex_numIdEPKS1_S1_EviT5_lT_liPT6_PT4_.kd
    .uniform_work_group_size: 1
    .uses_dynamic_stack: false
    .vgpr_count:     18
    .vgpr_spill_count: 0
    .wavefront_size: 64
  - .agpr_count:     0
    .args:
      - .offset:         0
        .size:           4
        .value_kind:     by_value
      - .actual_access:  read_only
        .address_space:  global
        .offset:         8
        .size:           8
        .value_kind:     global_buffer
      - .offset:         16
        .size:           8
        .value_kind:     by_value
      - .offset:         24
        .size:           8
        .value_kind:     by_value
      - .offset:         32
        .size:           8
        .value_kind:     by_value
      - .actual_access:  read_only
        .address_space:  global
        .offset:         40
        .size:           8
        .value_kind:     global_buffer
      - .offset:         48
        .size:           8
        .value_kind:     by_value
      - .offset:         56
        .size:           8
        .value_kind:     by_value
      - .offset:         64
        .size:           8
        .value_kind:     by_value
      - .offset:         72
        .size:           4
        .value_kind:     by_value
      - .actual_access:  write_only
        .address_space:  global
        .offset:         80
        .size:           8
        .value_kind:     global_buffer
      - .actual_access:  write_only
        .address_space:  global
        .offset:         88
        .size:           8
        .value_kind:     global_buffer
      - .offset:         96
        .size:           4
        .value_kind:     hidden_block_count_x
      - .offset:         100
        .size:           4
        .value_kind:     hidden_block_count_y
      - .offset:         104
        .size:           4
        .value_kind:     hidden_block_count_z
      - .offset:         108
        .size:           2
        .value_kind:     hidden_group_size_x
      - .offset:         110
        .size:           2
        .value_kind:     hidden_group_size_y
      - .offset:         112
        .size:           2
        .value_kind:     hidden_group_size_z
      - .offset:         114
        .size:           2
        .value_kind:     hidden_remainder_x
      - .offset:         116
        .size:           2
        .value_kind:     hidden_remainder_y
      - .offset:         118
        .size:           2
        .value_kind:     hidden_remainder_z
      - .offset:         136
        .size:           8
        .value_kind:     hidden_global_offset_x
      - .offset:         144
        .size:           8
        .value_kind:     hidden_global_offset_y
      - .offset:         152
        .size:           8
        .value_kind:     hidden_global_offset_z
      - .offset:         160
        .size:           2
        .value_kind:     hidden_grid_dims
    .group_segment_fixed_size: 1024
    .kernarg_segment_align: 8
    .kernarg_segment_size: 352
    .language:       OpenCL C
    .language_version:
      - 2
      - 0
    .max_flat_workgroup_size: 512
    .name:           _ZL18rocblas_dot_kernelIlLb0ELi512ELi2ELb1E19rocblas_complex_numIdEPKS1_S1_EviT5_lT_lS4_lS5_liPT6_PT4_
    .private_segment_fixed_size: 0
    .sgpr_count:     30
    .sgpr_spill_count: 0
    .symbol:         _ZL18rocblas_dot_kernelIlLb0ELi512ELi2ELb1E19rocblas_complex_numIdEPKS1_S1_EviT5_lT_lS4_lS5_liPT6_PT4_.kd
    .uniform_work_group_size: 1
    .uses_dynamic_stack: false
    .vgpr_count:     16
    .vgpr_spill_count: 0
    .wavefront_size: 64
  - .agpr_count:     0
    .args:
      - .offset:         0
        .size:           4
        .value_kind:     by_value
      - .actual_access:  read_only
        .address_space:  global
        .offset:         8
        .size:           8
        .value_kind:     global_buffer
      - .offset:         16
        .size:           8
        .value_kind:     by_value
      - .offset:         24
        .size:           8
        .value_kind:     by_value
      - .offset:         32
        .size:           8
        .value_kind:     by_value
      - .offset:         40
        .size:           4
        .value_kind:     by_value
      - .actual_access:  write_only
        .address_space:  global
        .offset:         48
        .size:           8
        .value_kind:     global_buffer
      - .actual_access:  write_only
        .address_space:  global
        .offset:         56
        .size:           8
        .value_kind:     global_buffer
      - .offset:         64
        .size:           4
        .value_kind:     hidden_block_count_x
      - .offset:         68
        .size:           4
        .value_kind:     hidden_block_count_y
      - .offset:         72
        .size:           4
        .value_kind:     hidden_block_count_z
      - .offset:         76
        .size:           2
        .value_kind:     hidden_group_size_x
      - .offset:         78
        .size:           2
        .value_kind:     hidden_group_size_y
      - .offset:         80
        .size:           2
        .value_kind:     hidden_group_size_z
      - .offset:         82
        .size:           2
        .value_kind:     hidden_remainder_x
      - .offset:         84
        .size:           2
        .value_kind:     hidden_remainder_y
      - .offset:         86
        .size:           2
        .value_kind:     hidden_remainder_z
      - .offset:         104
        .size:           8
        .value_kind:     hidden_global_offset_x
      - .offset:         112
        .size:           8
        .value_kind:     hidden_global_offset_y
      - .offset:         120
        .size:           8
        .value_kind:     hidden_global_offset_z
      - .offset:         128
        .size:           2
        .value_kind:     hidden_grid_dims
    .group_segment_fixed_size: 1024
    .kernarg_segment_align: 8
    .kernarg_segment_size: 320
    .language:       OpenCL C
    .language_version:
      - 2
      - 0
    .max_flat_workgroup_size: 512
    .name:           _ZL24rocblas_dot_kernel_magsqIlLb0ELi512ELi2ELb1E19rocblas_complex_numIdEPKS1_S1_EviT5_lT_liPT6_PT4_
    .private_segment_fixed_size: 0
    .sgpr_count:     22
    .sgpr_spill_count: 0
    .symbol:         _ZL24rocblas_dot_kernel_magsqIlLb0ELi512ELi2ELb1E19rocblas_complex_numIdEPKS1_S1_EviT5_lT_liPT6_PT4_.kd
    .uniform_work_group_size: 1
    .uses_dynamic_stack: false
    .vgpr_count:     15
    .vgpr_spill_count: 0
    .wavefront_size: 64
  - .agpr_count:     0
    .args:
      - .offset:         0
        .size:           4
        .value_kind:     by_value
      - .actual_access:  read_only
        .address_space:  global
        .offset:         8
        .size:           8
        .value_kind:     global_buffer
      - .offset:         16
        .size:           8
        .value_kind:     by_value
      - .offset:         24
        .size:           4
        .value_kind:     by_value
      - .offset:         32
        .size:           8
        .value_kind:     by_value
      - .actual_access:  read_only
        .address_space:  global
        .offset:         40
        .size:           8
        .value_kind:     global_buffer
      - .offset:         48
        .size:           8
        .value_kind:     by_value
      - .offset:         56
        .size:           4
        .value_kind:     by_value
      - .offset:         64
        .size:           8
        .value_kind:     by_value
      - .offset:         72
        .size:           4
        .value_kind:     by_value
      - .actual_access:  write_only
        .address_space:  global
        .offset:         80
        .size:           8
        .value_kind:     global_buffer
    .group_segment_fixed_size: 0
    .kernarg_segment_align: 8
    .kernarg_segment_size: 88
    .language:       OpenCL C
    .language_version:
      - 2
      - 0
    .max_flat_workgroup_size: 128
    .name:           _ZL28rocblas_dot_batched_4_kernelIiLi32ELi4ELb0EDF16_DF16_PKPKDF16_EviT5_lT_lS4_lS5_liPT4_
    .private_segment_fixed_size: 0
    .sgpr_count:     22
    .sgpr_spill_count: 0
    .symbol:         _ZL28rocblas_dot_batched_4_kernelIiLi32ELi4ELb0EDF16_DF16_PKPKDF16_EviT5_lT_lS4_lS5_liPT4_.kd
    .uniform_work_group_size: 1
    .uses_dynamic_stack: false
    .vgpr_count:     14
    .vgpr_spill_count: 0
    .wavefront_size: 64
  - .agpr_count:     0
    .args:
      - .offset:         0
        .size:           4
        .value_kind:     by_value
      - .actual_access:  read_only
        .address_space:  global
        .offset:         8
        .size:           8
        .value_kind:     global_buffer
      - .offset:         16
        .size:           8
        .value_kind:     by_value
      - .offset:         24
        .size:           4
        .value_kind:     by_value
      - .offset:         32
        .size:           8
        .value_kind:     by_value
      - .actual_access:  read_only
        .address_space:  global
        .offset:         40
        .size:           8
        .value_kind:     global_buffer
      - .offset:         48
        .size:           8
        .value_kind:     by_value
      - .offset:         56
        .size:           4
        .value_kind:     by_value
      - .offset:         64
        .size:           8
        .value_kind:     by_value
      - .offset:         72
        .size:           4
        .value_kind:     by_value
      - .actual_access:  write_only
        .address_space:  global
        .offset:         80
        .size:           8
        .value_kind:     global_buffer
    .group_segment_fixed_size: 0
    .kernarg_segment_align: 8
    .kernarg_segment_size: 88
    .language:       OpenCL C
    .language_version:
      - 2
      - 0
    .max_flat_workgroup_size: 256
    .name:           _ZL28rocblas_dot_batched_4_kernelIiLi64ELi4ELb0EDF16_DF16_PKPKDF16_EviT5_lT_lS4_lS5_liPT4_
    .private_segment_fixed_size: 0
    .sgpr_count:     22
    .sgpr_spill_count: 0
    .symbol:         _ZL28rocblas_dot_batched_4_kernelIiLi64ELi4ELb0EDF16_DF16_PKPKDF16_EviT5_lT_lS4_lS5_liPT4_.kd
    .uniform_work_group_size: 1
    .uses_dynamic_stack: false
    .vgpr_count:     14
    .vgpr_spill_count: 0
    .wavefront_size: 64
  - .agpr_count:     0
    .args:
      - .offset:         0
        .size:           4
        .value_kind:     by_value
      - .actual_access:  read_only
        .address_space:  global
        .offset:         8
        .size:           8
        .value_kind:     global_buffer
      - .offset:         16
        .size:           8
        .value_kind:     by_value
      - .offset:         24
        .size:           8
        .value_kind:     by_value
      - .actual_access:  read_only
        .address_space:  global
        .offset:         32
        .size:           8
        .value_kind:     global_buffer
      - .offset:         40
        .size:           8
        .value_kind:     by_value
      - .offset:         48
        .size:           8
        .value_kind:     by_value
      - .offset:         56
        .size:           4
        .value_kind:     by_value
      - .actual_access:  read_only
        .address_space:  global
        .offset:         64
        .size:           8
        .value_kind:     global_buffer
      - .actual_access:  write_only
        .address_space:  global
        .offset:         72
        .size:           8
        .value_kind:     global_buffer
    .group_segment_fixed_size: 128
    .kernarg_segment_align: 8
    .kernarg_segment_size: 80
    .language:       OpenCL C
    .language_version:
      - 2
      - 0
    .max_flat_workgroup_size: 1024
    .name:           _ZL26rocblas_dot_kernel_inc1by2ILb1ELi1024ELi32ELb0EDF16_PKPKDF16_DF16_EviT4_llS4_lliPT5_PT3_
    .private_segment_fixed_size: 0
    .sgpr_count:     28
    .sgpr_spill_count: 0
    .symbol:         _ZL26rocblas_dot_kernel_inc1by2ILb1ELi1024ELi32ELb0EDF16_PKPKDF16_DF16_EviT4_llS4_lliPT5_PT3_.kd
    .uniform_work_group_size: 1
    .uses_dynamic_stack: false
    .vgpr_count:     11
    .vgpr_spill_count: 0
    .wavefront_size: 64
  - .agpr_count:     0
    .args:
      - .offset:         0
        .size:           4
        .value_kind:     by_value
      - .actual_access:  read_only
        .address_space:  global
        .offset:         8
        .size:           8
        .value_kind:     global_buffer
      - .offset:         16
        .size:           8
        .value_kind:     by_value
      - .offset:         24
        .size:           4
        .value_kind:     by_value
      - .offset:         32
        .size:           8
        .value_kind:     by_value
      - .actual_access:  read_only
        .address_space:  global
        .offset:         40
        .size:           8
        .value_kind:     global_buffer
      - .offset:         48
        .size:           8
        .value_kind:     by_value
      - .offset:         56
        .size:           4
        .value_kind:     by_value
      - .offset:         64
        .size:           8
        .value_kind:     by_value
      - .offset:         72
        .size:           4
        .value_kind:     by_value
      - .actual_access:  read_only
        .address_space:  global
        .offset:         80
        .size:           8
        .value_kind:     global_buffer
      - .actual_access:  write_only
        .address_space:  global
        .offset:         88
        .size:           8
        .value_kind:     global_buffer
      - .offset:         96
        .size:           4
        .value_kind:     hidden_block_count_x
      - .offset:         100
        .size:           4
        .value_kind:     hidden_block_count_y
      - .offset:         104
        .size:           4
        .value_kind:     hidden_block_count_z
      - .offset:         108
        .size:           2
        .value_kind:     hidden_group_size_x
      - .offset:         110
        .size:           2
        .value_kind:     hidden_group_size_y
      - .offset:         112
        .size:           2
        .value_kind:     hidden_group_size_z
      - .offset:         114
        .size:           2
        .value_kind:     hidden_remainder_x
      - .offset:         116
        .size:           2
        .value_kind:     hidden_remainder_y
      - .offset:         118
        .size:           2
        .value_kind:     hidden_remainder_z
      - .offset:         136
        .size:           8
        .value_kind:     hidden_global_offset_x
      - .offset:         144
        .size:           8
        .value_kind:     hidden_global_offset_y
      - .offset:         152
        .size:           8
        .value_kind:     hidden_global_offset_z
      - .offset:         160
        .size:           2
        .value_kind:     hidden_grid_dims
    .group_segment_fixed_size: 128
    .kernarg_segment_align: 8
    .kernarg_segment_size: 352
    .language:       OpenCL C
    .language_version:
      - 2
      - 0
    .max_flat_workgroup_size: 1024
    .name:           _ZL18rocblas_dot_kernelIiLb1ELi1024ELi32ELb0EDF16_PKPKDF16_DF16_EviT5_lT_lS4_lS5_liPT6_PT4_
    .private_segment_fixed_size: 0
    .sgpr_count:     29
    .sgpr_spill_count: 0
    .symbol:         _ZL18rocblas_dot_kernelIiLb1ELi1024ELi32ELb0EDF16_PKPKDF16_DF16_EviT5_lT_lS4_lS5_liPT6_PT4_.kd
    .uniform_work_group_size: 1
    .uses_dynamic_stack: false
    .vgpr_count:     11
    .vgpr_spill_count: 0
    .wavefront_size: 64
  - .agpr_count:     0
    .args:
      - .offset:         0
        .size:           4
        .value_kind:     by_value
      - .actual_access:  read_only
        .address_space:  global
        .offset:         8
        .size:           8
        .value_kind:     global_buffer
      - .offset:         16
        .size:           8
        .value_kind:     by_value
      - .offset:         24
        .size:           4
        .value_kind:     by_value
      - .offset:         32
        .size:           8
        .value_kind:     by_value
      - .offset:         40
        .size:           4
        .value_kind:     by_value
      - .actual_access:  read_only
        .address_space:  global
        .offset:         48
        .size:           8
        .value_kind:     global_buffer
      - .actual_access:  write_only
        .address_space:  global
        .offset:         56
        .size:           8
        .value_kind:     global_buffer
      - .offset:         64
        .size:           4
        .value_kind:     hidden_block_count_x
      - .offset:         68
        .size:           4
        .value_kind:     hidden_block_count_y
      - .offset:         72
        .size:           4
        .value_kind:     hidden_block_count_z
      - .offset:         76
        .size:           2
        .value_kind:     hidden_group_size_x
      - .offset:         78
        .size:           2
        .value_kind:     hidden_group_size_y
      - .offset:         80
        .size:           2
        .value_kind:     hidden_group_size_z
      - .offset:         82
        .size:           2
        .value_kind:     hidden_remainder_x
      - .offset:         84
        .size:           2
        .value_kind:     hidden_remainder_y
      - .offset:         86
        .size:           2
        .value_kind:     hidden_remainder_z
      - .offset:         104
        .size:           8
        .value_kind:     hidden_global_offset_x
      - .offset:         112
        .size:           8
        .value_kind:     hidden_global_offset_y
      - .offset:         120
        .size:           8
        .value_kind:     hidden_global_offset_z
      - .offset:         128
        .size:           2
        .value_kind:     hidden_grid_dims
    .group_segment_fixed_size: 128
    .kernarg_segment_align: 8
    .kernarg_segment_size: 320
    .language:       OpenCL C
    .language_version:
      - 2
      - 0
    .max_flat_workgroup_size: 1024
    .name:           _ZL24rocblas_dot_kernel_magsqIiLb1ELi1024ELi32ELb0EDF16_PKPKDF16_DF16_EviT5_lT_liPT6_PT4_
    .private_segment_fixed_size: 0
    .sgpr_count:     24
    .sgpr_spill_count: 0
    .symbol:         _ZL24rocblas_dot_kernel_magsqIiLb1ELi1024ELi32ELb0EDF16_PKPKDF16_DF16_EviT5_lT_liPT6_PT4_.kd
    .uniform_work_group_size: 1
    .uses_dynamic_stack: false
    .vgpr_count:     10
    .vgpr_spill_count: 0
    .wavefront_size: 64
  - .agpr_count:     0
    .args:
      - .offset:         0
        .size:           4
        .value_kind:     by_value
      - .actual_access:  read_only
        .address_space:  global
        .offset:         8
        .size:           8
        .value_kind:     global_buffer
      - .offset:         16
        .size:           8
        .value_kind:     by_value
      - .offset:         24
        .size:           4
        .value_kind:     by_value
      - .offset:         32
        .size:           8
        .value_kind:     by_value
      - .actual_access:  read_only
        .address_space:  global
        .offset:         40
        .size:           8
        .value_kind:     global_buffer
      - .offset:         48
        .size:           8
        .value_kind:     by_value
      - .offset:         56
        .size:           4
        .value_kind:     by_value
      - .offset:         64
        .size:           8
        .value_kind:     by_value
      - .actual_access:  read_only
        .address_space:  global
        .offset:         72
        .size:           8
        .value_kind:     global_buffer
      - .actual_access:  read_only
        .address_space:  global
        .offset:         80
        .size:           8
        .value_kind:     global_buffer
    .group_segment_fixed_size: 0
    .kernarg_segment_align: 8
    .kernarg_segment_size: 88
    .language:       OpenCL C
    .language_version:
      - 2
      - 0
    .max_flat_workgroup_size: 1024
    .name:           _ZL38rocblas_dot_kernel_gfx942_float_doubleIiLi1024EDF16_PKPKDF16_DF16_EviT2_lT_lS4_lS5_lPT3_PT1_
    .private_segment_fixed_size: 0
    .sgpr_count:     4
    .sgpr_spill_count: 0
    .symbol:         _ZL38rocblas_dot_kernel_gfx942_float_doubleIiLi1024EDF16_PKPKDF16_DF16_EviT2_lT_lS4_lS5_lPT3_PT1_.kd
    .uniform_work_group_size: 1
    .uses_dynamic_stack: false
    .vgpr_count:     0
    .vgpr_spill_count: 0
    .wavefront_size: 64
  - .agpr_count:     0
    .args:
      - .offset:         0
        .size:           4
        .value_kind:     by_value
      - .actual_access:  read_only
        .address_space:  global
        .offset:         8
        .size:           8
        .value_kind:     global_buffer
      - .offset:         16
        .size:           8
        .value_kind:     by_value
      - .offset:         24
        .size:           8
        .value_kind:     by_value
      - .actual_access:  read_only
        .address_space:  global
        .offset:         32
        .size:           8
        .value_kind:     global_buffer
      - .offset:         40
        .size:           8
        .value_kind:     by_value
      - .offset:         48
        .size:           8
        .value_kind:     by_value
      - .offset:         56
        .size:           4
        .value_kind:     by_value
      - .actual_access:  write_only
        .address_space:  global
        .offset:         64
        .size:           8
        .value_kind:     global_buffer
      - .actual_access:  write_only
        .address_space:  global
        .offset:         72
        .size:           8
        .value_kind:     global_buffer
      - .offset:         80
        .size:           4
        .value_kind:     hidden_block_count_x
      - .offset:         84
        .size:           4
        .value_kind:     hidden_block_count_y
      - .offset:         88
        .size:           4
        .value_kind:     hidden_block_count_z
      - .offset:         92
        .size:           2
        .value_kind:     hidden_group_size_x
      - .offset:         94
        .size:           2
        .value_kind:     hidden_group_size_y
      - .offset:         96
        .size:           2
        .value_kind:     hidden_group_size_z
      - .offset:         98
        .size:           2
        .value_kind:     hidden_remainder_x
      - .offset:         100
        .size:           2
        .value_kind:     hidden_remainder_y
      - .offset:         102
        .size:           2
        .value_kind:     hidden_remainder_z
      - .offset:         120
        .size:           8
        .value_kind:     hidden_global_offset_x
      - .offset:         128
        .size:           8
        .value_kind:     hidden_global_offset_y
      - .offset:         136
        .size:           8
        .value_kind:     hidden_global_offset_z
      - .offset:         144
        .size:           2
        .value_kind:     hidden_grid_dims
    .group_segment_fixed_size: 128
    .kernarg_segment_align: 8
    .kernarg_segment_size: 336
    .language:       OpenCL C
    .language_version:
      - 2
      - 0
    .max_flat_workgroup_size: 512
    .name:           _ZL23rocblas_dot_kernel_inc1ILb0ELi512ELi8ELb0EDF16_PKPKDF16_DF16_EviT4_llS4_lliPT5_PT3_
    .private_segment_fixed_size: 0
    .sgpr_count:     32
    .sgpr_spill_count: 0
    .symbol:         _ZL23rocblas_dot_kernel_inc1ILb0ELi512ELi8ELb0EDF16_PKPKDF16_DF16_EviT4_llS4_lliPT5_PT3_.kd
    .uniform_work_group_size: 1
    .uses_dynamic_stack: false
    .vgpr_count:     14
    .vgpr_spill_count: 0
    .wavefront_size: 64
  - .agpr_count:     0
    .args:
      - .offset:         0
        .size:           4
        .value_kind:     by_value
      - .actual_access:  read_only
        .address_space:  global
        .offset:         8
        .size:           8
        .value_kind:     global_buffer
      - .offset:         16
        .size:           8
        .value_kind:     by_value
      - .offset:         24
        .size:           4
        .value_kind:     by_value
      - .offset:         32
        .size:           8
        .value_kind:     by_value
      - .actual_access:  read_only
        .address_space:  global
        .offset:         40
        .size:           8
        .value_kind:     global_buffer
      - .offset:         48
        .size:           8
        .value_kind:     by_value
      - .offset:         56
        .size:           4
        .value_kind:     by_value
      - .offset:         64
        .size:           8
        .value_kind:     by_value
      - .offset:         72
        .size:           4
        .value_kind:     by_value
      - .actual_access:  write_only
        .address_space:  global
        .offset:         80
        .size:           8
        .value_kind:     global_buffer
      - .actual_access:  write_only
        .address_space:  global
        .offset:         88
        .size:           8
        .value_kind:     global_buffer
      - .offset:         96
        .size:           4
        .value_kind:     hidden_block_count_x
      - .offset:         100
        .size:           4
        .value_kind:     hidden_block_count_y
      - .offset:         104
        .size:           4
        .value_kind:     hidden_block_count_z
      - .offset:         108
        .size:           2
        .value_kind:     hidden_group_size_x
      - .offset:         110
        .size:           2
        .value_kind:     hidden_group_size_y
      - .offset:         112
        .size:           2
        .value_kind:     hidden_group_size_z
      - .offset:         114
        .size:           2
        .value_kind:     hidden_remainder_x
      - .offset:         116
        .size:           2
        .value_kind:     hidden_remainder_y
      - .offset:         118
        .size:           2
        .value_kind:     hidden_remainder_z
      - .offset:         136
        .size:           8
        .value_kind:     hidden_global_offset_x
      - .offset:         144
        .size:           8
        .value_kind:     hidden_global_offset_y
      - .offset:         152
        .size:           8
        .value_kind:     hidden_global_offset_z
      - .offset:         160
        .size:           2
        .value_kind:     hidden_grid_dims
    .group_segment_fixed_size: 128
    .kernarg_segment_align: 8
    .kernarg_segment_size: 352
    .language:       OpenCL C
    .language_version:
      - 2
      - 0
    .max_flat_workgroup_size: 512
    .name:           _ZL18rocblas_dot_kernelIiLb0ELi512ELi8ELb0EDF16_PKPKDF16_DF16_EviT5_lT_lS4_lS5_liPT6_PT4_
    .private_segment_fixed_size: 0
    .sgpr_count:     32
    .sgpr_spill_count: 0
    .symbol:         _ZL18rocblas_dot_kernelIiLb0ELi512ELi8ELb0EDF16_PKPKDF16_DF16_EviT5_lT_lS4_lS5_liPT6_PT4_.kd
    .uniform_work_group_size: 1
    .uses_dynamic_stack: false
    .vgpr_count:     11
    .vgpr_spill_count: 0
    .wavefront_size: 64
  - .agpr_count:     0
    .args:
      - .offset:         0
        .size:           4
        .value_kind:     by_value
      - .actual_access:  read_only
        .address_space:  global
        .offset:         8
        .size:           8
        .value_kind:     global_buffer
      - .offset:         16
        .size:           8
        .value_kind:     by_value
      - .offset:         24
        .size:           4
        .value_kind:     by_value
      - .offset:         32
        .size:           8
        .value_kind:     by_value
      - .offset:         40
        .size:           4
        .value_kind:     by_value
      - .actual_access:  write_only
        .address_space:  global
        .offset:         48
        .size:           8
        .value_kind:     global_buffer
      - .actual_access:  write_only
        .address_space:  global
        .offset:         56
        .size:           8
        .value_kind:     global_buffer
      - .offset:         64
        .size:           4
        .value_kind:     hidden_block_count_x
      - .offset:         68
        .size:           4
        .value_kind:     hidden_block_count_y
      - .offset:         72
        .size:           4
        .value_kind:     hidden_block_count_z
      - .offset:         76
        .size:           2
        .value_kind:     hidden_group_size_x
      - .offset:         78
        .size:           2
        .value_kind:     hidden_group_size_y
      - .offset:         80
        .size:           2
        .value_kind:     hidden_group_size_z
      - .offset:         82
        .size:           2
        .value_kind:     hidden_remainder_x
      - .offset:         84
        .size:           2
        .value_kind:     hidden_remainder_y
      - .offset:         86
        .size:           2
        .value_kind:     hidden_remainder_z
      - .offset:         104
        .size:           8
        .value_kind:     hidden_global_offset_x
      - .offset:         112
        .size:           8
        .value_kind:     hidden_global_offset_y
      - .offset:         120
        .size:           8
        .value_kind:     hidden_global_offset_z
      - .offset:         128
        .size:           2
        .value_kind:     hidden_grid_dims
    .group_segment_fixed_size: 128
    .kernarg_segment_align: 8
    .kernarg_segment_size: 320
    .language:       OpenCL C
    .language_version:
      - 2
      - 0
    .max_flat_workgroup_size: 512
    .name:           _ZL24rocblas_dot_kernel_magsqIiLb0ELi512ELi8ELb0EDF16_PKPKDF16_DF16_EviT5_lT_liPT6_PT4_
    .private_segment_fixed_size: 0
    .sgpr_count:     28
    .sgpr_spill_count: 0
    .symbol:         _ZL24rocblas_dot_kernel_magsqIiLb0ELi512ELi8ELb0EDF16_PKPKDF16_DF16_EviT5_lT_liPT6_PT4_.kd
    .uniform_work_group_size: 1
    .uses_dynamic_stack: false
    .vgpr_count:     10
    .vgpr_spill_count: 0
    .wavefront_size: 64
  - .agpr_count:     0
    .args:
      - .offset:         0
        .size:           4
        .value_kind:     by_value
      - .actual_access:  read_only
        .address_space:  global
        .offset:         8
        .size:           8
        .value_kind:     global_buffer
      - .offset:         16
        .size:           8
        .value_kind:     by_value
      - .offset:         24
        .size:           8
        .value_kind:     by_value
      - .offset:         32
        .size:           8
        .value_kind:     by_value
      - .actual_access:  read_only
        .address_space:  global
        .offset:         40
        .size:           8
        .value_kind:     global_buffer
      - .offset:         48
        .size:           8
        .value_kind:     by_value
      - .offset:         56
        .size:           8
        .value_kind:     by_value
      - .offset:         64
        .size:           8
        .value_kind:     by_value
      - .offset:         72
        .size:           4
        .value_kind:     by_value
      - .actual_access:  write_only
        .address_space:  global
        .offset:         80
        .size:           8
        .value_kind:     global_buffer
    .group_segment_fixed_size: 0
    .kernarg_segment_align: 8
    .kernarg_segment_size: 88
    .language:       OpenCL C
    .language_version:
      - 2
      - 0
    .max_flat_workgroup_size: 128
    .name:           _ZL28rocblas_dot_batched_4_kernelIlLi32ELi4ELb0EDF16_DF16_PKPKDF16_EviT5_lT_lS4_lS5_liPT4_
    .private_segment_fixed_size: 0
    .sgpr_count:     24
    .sgpr_spill_count: 0
    .symbol:         _ZL28rocblas_dot_batched_4_kernelIlLi32ELi4ELb0EDF16_DF16_PKPKDF16_EviT5_lT_lS4_lS5_liPT4_.kd
    .uniform_work_group_size: 1
    .uses_dynamic_stack: false
    .vgpr_count:     20
    .vgpr_spill_count: 0
    .wavefront_size: 64
  - .agpr_count:     0
    .args:
      - .offset:         0
        .size:           4
        .value_kind:     by_value
      - .actual_access:  read_only
        .address_space:  global
        .offset:         8
        .size:           8
        .value_kind:     global_buffer
      - .offset:         16
        .size:           8
        .value_kind:     by_value
      - .offset:         24
        .size:           8
        .value_kind:     by_value
      - .offset:         32
        .size:           8
        .value_kind:     by_value
      - .actual_access:  read_only
        .address_space:  global
        .offset:         40
        .size:           8
        .value_kind:     global_buffer
      - .offset:         48
        .size:           8
        .value_kind:     by_value
      - .offset:         56
        .size:           8
        .value_kind:     by_value
      - .offset:         64
        .size:           8
        .value_kind:     by_value
      - .offset:         72
        .size:           4
        .value_kind:     by_value
      - .actual_access:  write_only
        .address_space:  global
        .offset:         80
        .size:           8
        .value_kind:     global_buffer
    .group_segment_fixed_size: 0
    .kernarg_segment_align: 8
    .kernarg_segment_size: 88
    .language:       OpenCL C
    .language_version:
      - 2
      - 0
    .max_flat_workgroup_size: 256
    .name:           _ZL28rocblas_dot_batched_4_kernelIlLi64ELi4ELb0EDF16_DF16_PKPKDF16_EviT5_lT_lS4_lS5_liPT4_
    .private_segment_fixed_size: 0
    .sgpr_count:     24
    .sgpr_spill_count: 0
    .symbol:         _ZL28rocblas_dot_batched_4_kernelIlLi64ELi4ELb0EDF16_DF16_PKPKDF16_EviT5_lT_lS4_lS5_liPT4_.kd
    .uniform_work_group_size: 1
    .uses_dynamic_stack: false
    .vgpr_count:     20
    .vgpr_spill_count: 0
    .wavefront_size: 64
  - .agpr_count:     0
    .args:
      - .offset:         0
        .size:           4
        .value_kind:     by_value
      - .actual_access:  read_only
        .address_space:  global
        .offset:         8
        .size:           8
        .value_kind:     global_buffer
      - .offset:         16
        .size:           8
        .value_kind:     by_value
      - .offset:         24
        .size:           8
        .value_kind:     by_value
      - .offset:         32
        .size:           8
        .value_kind:     by_value
      - .actual_access:  read_only
        .address_space:  global
        .offset:         40
        .size:           8
        .value_kind:     global_buffer
      - .offset:         48
        .size:           8
        .value_kind:     by_value
      - .offset:         56
        .size:           8
        .value_kind:     by_value
      - .offset:         64
        .size:           8
        .value_kind:     by_value
      - .offset:         72
        .size:           4
        .value_kind:     by_value
      - .actual_access:  read_only
        .address_space:  global
        .offset:         80
        .size:           8
        .value_kind:     global_buffer
      - .actual_access:  write_only
        .address_space:  global
        .offset:         88
        .size:           8
        .value_kind:     global_buffer
      - .offset:         96
        .size:           4
        .value_kind:     hidden_block_count_x
      - .offset:         100
        .size:           4
        .value_kind:     hidden_block_count_y
      - .offset:         104
        .size:           4
        .value_kind:     hidden_block_count_z
      - .offset:         108
        .size:           2
        .value_kind:     hidden_group_size_x
      - .offset:         110
        .size:           2
        .value_kind:     hidden_group_size_y
      - .offset:         112
        .size:           2
        .value_kind:     hidden_group_size_z
      - .offset:         114
        .size:           2
        .value_kind:     hidden_remainder_x
      - .offset:         116
        .size:           2
        .value_kind:     hidden_remainder_y
      - .offset:         118
        .size:           2
        .value_kind:     hidden_remainder_z
      - .offset:         136
        .size:           8
        .value_kind:     hidden_global_offset_x
      - .offset:         144
        .size:           8
        .value_kind:     hidden_global_offset_y
      - .offset:         152
        .size:           8
        .value_kind:     hidden_global_offset_z
      - .offset:         160
        .size:           2
        .value_kind:     hidden_grid_dims
    .group_segment_fixed_size: 128
    .kernarg_segment_align: 8
    .kernarg_segment_size: 352
    .language:       OpenCL C
    .language_version:
      - 2
      - 0
    .max_flat_workgroup_size: 1024
    .name:           _ZL18rocblas_dot_kernelIlLb1ELi1024ELi32ELb0EDF16_PKPKDF16_DF16_EviT5_lT_lS4_lS5_liPT6_PT4_
    .private_segment_fixed_size: 0
    .sgpr_count:     30
    .sgpr_spill_count: 0
    .symbol:         _ZL18rocblas_dot_kernelIlLb1ELi1024ELi32ELb0EDF16_PKPKDF16_DF16_EviT5_lT_lS4_lS5_liPT6_PT4_.kd
    .uniform_work_group_size: 1
    .uses_dynamic_stack: false
    .vgpr_count:     11
    .vgpr_spill_count: 0
    .wavefront_size: 64
  - .agpr_count:     0
    .args:
      - .offset:         0
        .size:           4
        .value_kind:     by_value
      - .actual_access:  read_only
        .address_space:  global
        .offset:         8
        .size:           8
        .value_kind:     global_buffer
      - .offset:         16
        .size:           8
        .value_kind:     by_value
      - .offset:         24
        .size:           8
        .value_kind:     by_value
      - .offset:         32
        .size:           8
        .value_kind:     by_value
      - .offset:         40
        .size:           4
        .value_kind:     by_value
      - .actual_access:  read_only
        .address_space:  global
        .offset:         48
        .size:           8
        .value_kind:     global_buffer
      - .actual_access:  write_only
        .address_space:  global
        .offset:         56
        .size:           8
        .value_kind:     global_buffer
      - .offset:         64
        .size:           4
        .value_kind:     hidden_block_count_x
      - .offset:         68
        .size:           4
        .value_kind:     hidden_block_count_y
      - .offset:         72
        .size:           4
        .value_kind:     hidden_block_count_z
      - .offset:         76
        .size:           2
        .value_kind:     hidden_group_size_x
      - .offset:         78
        .size:           2
        .value_kind:     hidden_group_size_y
      - .offset:         80
        .size:           2
        .value_kind:     hidden_group_size_z
      - .offset:         82
        .size:           2
        .value_kind:     hidden_remainder_x
      - .offset:         84
        .size:           2
        .value_kind:     hidden_remainder_y
      - .offset:         86
        .size:           2
        .value_kind:     hidden_remainder_z
      - .offset:         104
        .size:           8
        .value_kind:     hidden_global_offset_x
      - .offset:         112
        .size:           8
        .value_kind:     hidden_global_offset_y
      - .offset:         120
        .size:           8
        .value_kind:     hidden_global_offset_z
      - .offset:         128
        .size:           2
        .value_kind:     hidden_grid_dims
    .group_segment_fixed_size: 128
    .kernarg_segment_align: 8
    .kernarg_segment_size: 320
    .language:       OpenCL C
    .language_version:
      - 2
      - 0
    .max_flat_workgroup_size: 1024
    .name:           _ZL24rocblas_dot_kernel_magsqIlLb1ELi1024ELi32ELb0EDF16_PKPKDF16_DF16_EviT5_lT_liPT6_PT4_
    .private_segment_fixed_size: 0
    .sgpr_count:     24
    .sgpr_spill_count: 0
    .symbol:         _ZL24rocblas_dot_kernel_magsqIlLb1ELi1024ELi32ELb0EDF16_PKPKDF16_DF16_EviT5_lT_liPT6_PT4_.kd
    .uniform_work_group_size: 1
    .uses_dynamic_stack: false
    .vgpr_count:     10
    .vgpr_spill_count: 0
    .wavefront_size: 64
  - .agpr_count:     0
    .args:
      - .offset:         0
        .size:           4
        .value_kind:     by_value
      - .actual_access:  read_only
        .address_space:  global
        .offset:         8
        .size:           8
        .value_kind:     global_buffer
      - .offset:         16
        .size:           8
        .value_kind:     by_value
      - .offset:         24
        .size:           8
        .value_kind:     by_value
      - .offset:         32
        .size:           8
        .value_kind:     by_value
      - .actual_access:  read_only
        .address_space:  global
        .offset:         40
        .size:           8
        .value_kind:     global_buffer
      - .offset:         48
        .size:           8
        .value_kind:     by_value
      - .offset:         56
        .size:           8
        .value_kind:     by_value
      - .offset:         64
        .size:           8
        .value_kind:     by_value
      - .actual_access:  read_only
        .address_space:  global
        .offset:         72
        .size:           8
        .value_kind:     global_buffer
      - .actual_access:  read_only
        .address_space:  global
        .offset:         80
        .size:           8
        .value_kind:     global_buffer
    .group_segment_fixed_size: 0
    .kernarg_segment_align: 8
    .kernarg_segment_size: 88
    .language:       OpenCL C
    .language_version:
      - 2
      - 0
    .max_flat_workgroup_size: 1024
    .name:           _ZL38rocblas_dot_kernel_gfx942_float_doubleIlLi1024EDF16_PKPKDF16_DF16_EviT2_lT_lS4_lS5_lPT3_PT1_
    .private_segment_fixed_size: 0
    .sgpr_count:     4
    .sgpr_spill_count: 0
    .symbol:         _ZL38rocblas_dot_kernel_gfx942_float_doubleIlLi1024EDF16_PKPKDF16_DF16_EviT2_lT_lS4_lS5_lPT3_PT1_.kd
    .uniform_work_group_size: 1
    .uses_dynamic_stack: false
    .vgpr_count:     0
    .vgpr_spill_count: 0
    .wavefront_size: 64
  - .agpr_count:     0
    .args:
      - .offset:         0
        .size:           4
        .value_kind:     by_value
      - .actual_access:  read_only
        .address_space:  global
        .offset:         8
        .size:           8
        .value_kind:     global_buffer
      - .offset:         16
        .size:           8
        .value_kind:     by_value
      - .offset:         24
        .size:           8
        .value_kind:     by_value
      - .offset:         32
        .size:           8
        .value_kind:     by_value
      - .actual_access:  read_only
        .address_space:  global
        .offset:         40
        .size:           8
        .value_kind:     global_buffer
      - .offset:         48
        .size:           8
        .value_kind:     by_value
      - .offset:         56
        .size:           8
        .value_kind:     by_value
      - .offset:         64
        .size:           8
        .value_kind:     by_value
      - .offset:         72
        .size:           4
        .value_kind:     by_value
      - .actual_access:  write_only
        .address_space:  global
        .offset:         80
        .size:           8
        .value_kind:     global_buffer
      - .actual_access:  write_only
        .address_space:  global
        .offset:         88
        .size:           8
        .value_kind:     global_buffer
      - .offset:         96
        .size:           4
        .value_kind:     hidden_block_count_x
      - .offset:         100
        .size:           4
        .value_kind:     hidden_block_count_y
      - .offset:         104
        .size:           4
        .value_kind:     hidden_block_count_z
      - .offset:         108
        .size:           2
        .value_kind:     hidden_group_size_x
      - .offset:         110
        .size:           2
        .value_kind:     hidden_group_size_y
      - .offset:         112
        .size:           2
        .value_kind:     hidden_group_size_z
      - .offset:         114
        .size:           2
        .value_kind:     hidden_remainder_x
      - .offset:         116
        .size:           2
        .value_kind:     hidden_remainder_y
      - .offset:         118
        .size:           2
        .value_kind:     hidden_remainder_z
      - .offset:         136
        .size:           8
        .value_kind:     hidden_global_offset_x
      - .offset:         144
        .size:           8
        .value_kind:     hidden_global_offset_y
      - .offset:         152
        .size:           8
        .value_kind:     hidden_global_offset_z
      - .offset:         160
        .size:           2
        .value_kind:     hidden_grid_dims
    .group_segment_fixed_size: 128
    .kernarg_segment_align: 8
    .kernarg_segment_size: 352
    .language:       OpenCL C
    .language_version:
      - 2
      - 0
    .max_flat_workgroup_size: 512
    .name:           _ZL18rocblas_dot_kernelIlLb0ELi512ELi8ELb0EDF16_PKPKDF16_DF16_EviT5_lT_lS4_lS5_liPT6_PT4_
    .private_segment_fixed_size: 0
    .sgpr_count:     30
    .sgpr_spill_count: 0
    .symbol:         _ZL18rocblas_dot_kernelIlLb0ELi512ELi8ELb0EDF16_PKPKDF16_DF16_EviT5_lT_lS4_lS5_liPT6_PT4_.kd
    .uniform_work_group_size: 1
    .uses_dynamic_stack: false
    .vgpr_count:     11
    .vgpr_spill_count: 0
    .wavefront_size: 64
  - .agpr_count:     0
    .args:
      - .offset:         0
        .size:           4
        .value_kind:     by_value
      - .actual_access:  read_only
        .address_space:  global
        .offset:         8
        .size:           8
        .value_kind:     global_buffer
      - .offset:         16
        .size:           8
        .value_kind:     by_value
      - .offset:         24
        .size:           8
        .value_kind:     by_value
      - .offset:         32
        .size:           8
        .value_kind:     by_value
      - .offset:         40
        .size:           4
        .value_kind:     by_value
      - .actual_access:  write_only
        .address_space:  global
        .offset:         48
        .size:           8
        .value_kind:     global_buffer
      - .actual_access:  write_only
        .address_space:  global
        .offset:         56
        .size:           8
        .value_kind:     global_buffer
      - .offset:         64
        .size:           4
        .value_kind:     hidden_block_count_x
      - .offset:         68
        .size:           4
        .value_kind:     hidden_block_count_y
      - .offset:         72
        .size:           4
        .value_kind:     hidden_block_count_z
      - .offset:         76
        .size:           2
        .value_kind:     hidden_group_size_x
      - .offset:         78
        .size:           2
        .value_kind:     hidden_group_size_y
      - .offset:         80
        .size:           2
        .value_kind:     hidden_group_size_z
      - .offset:         82
        .size:           2
        .value_kind:     hidden_remainder_x
      - .offset:         84
        .size:           2
        .value_kind:     hidden_remainder_y
      - .offset:         86
        .size:           2
        .value_kind:     hidden_remainder_z
      - .offset:         104
        .size:           8
        .value_kind:     hidden_global_offset_x
      - .offset:         112
        .size:           8
        .value_kind:     hidden_global_offset_y
      - .offset:         120
        .size:           8
        .value_kind:     hidden_global_offset_z
      - .offset:         128
        .size:           2
        .value_kind:     hidden_grid_dims
    .group_segment_fixed_size: 128
    .kernarg_segment_align: 8
    .kernarg_segment_size: 320
    .language:       OpenCL C
    .language_version:
      - 2
      - 0
    .max_flat_workgroup_size: 512
    .name:           _ZL24rocblas_dot_kernel_magsqIlLb0ELi512ELi8ELb0EDF16_PKPKDF16_DF16_EviT5_lT_liPT6_PT4_
    .private_segment_fixed_size: 0
    .sgpr_count:     28
    .sgpr_spill_count: 0
    .symbol:         _ZL24rocblas_dot_kernel_magsqIlLb0ELi512ELi8ELb0EDF16_PKPKDF16_DF16_EviT5_lT_liPT6_PT4_.kd
    .uniform_work_group_size: 1
    .uses_dynamic_stack: false
    .vgpr_count:     10
    .vgpr_spill_count: 0
    .wavefront_size: 64
  - .agpr_count:     0
    .args:
      - .offset:         0
        .size:           4
        .value_kind:     by_value
      - .actual_access:  read_only
        .address_space:  global
        .offset:         8
        .size:           8
        .value_kind:     global_buffer
      - .offset:         16
        .size:           8
        .value_kind:     by_value
      - .offset:         24
        .size:           4
        .value_kind:     by_value
      - .offset:         32
        .size:           8
        .value_kind:     by_value
      - .actual_access:  read_only
        .address_space:  global
        .offset:         40
        .size:           8
        .value_kind:     global_buffer
      - .offset:         48
        .size:           8
        .value_kind:     by_value
      - .offset:         56
        .size:           4
        .value_kind:     by_value
      - .offset:         64
        .size:           8
        .value_kind:     by_value
      - .offset:         72
        .size:           4
        .value_kind:     by_value
      - .actual_access:  write_only
        .address_space:  global
        .offset:         80
        .size:           8
        .value_kind:     global_buffer
    .group_segment_fixed_size: 0
    .kernarg_segment_align: 8
    .kernarg_segment_size: 88
    .language:       OpenCL C
    .language_version:
      - 2
      - 0
    .max_flat_workgroup_size: 128
    .name:           _ZL28rocblas_dot_batched_4_kernelIiLi32ELi4ELb0Ef16rocblas_bfloat16PKPKS0_EviT5_lT_lS5_lS6_liPT4_
    .private_segment_fixed_size: 0
    .sgpr_count:     22
    .sgpr_spill_count: 0
    .symbol:         _ZL28rocblas_dot_batched_4_kernelIiLi32ELi4ELb0Ef16rocblas_bfloat16PKPKS0_EviT5_lT_lS5_lS6_liPT4_.kd
    .uniform_work_group_size: 1
    .uses_dynamic_stack: false
    .vgpr_count:     14
    .vgpr_spill_count: 0
    .wavefront_size: 64
  - .agpr_count:     0
    .args:
      - .offset:         0
        .size:           4
        .value_kind:     by_value
      - .actual_access:  read_only
        .address_space:  global
        .offset:         8
        .size:           8
        .value_kind:     global_buffer
      - .offset:         16
        .size:           8
        .value_kind:     by_value
      - .offset:         24
        .size:           4
        .value_kind:     by_value
      - .offset:         32
        .size:           8
        .value_kind:     by_value
      - .actual_access:  read_only
        .address_space:  global
        .offset:         40
        .size:           8
        .value_kind:     global_buffer
      - .offset:         48
        .size:           8
        .value_kind:     by_value
      - .offset:         56
        .size:           4
        .value_kind:     by_value
      - .offset:         64
        .size:           8
        .value_kind:     by_value
      - .offset:         72
        .size:           4
        .value_kind:     by_value
      - .actual_access:  write_only
        .address_space:  global
        .offset:         80
        .size:           8
        .value_kind:     global_buffer
    .group_segment_fixed_size: 0
    .kernarg_segment_align: 8
    .kernarg_segment_size: 88
    .language:       OpenCL C
    .language_version:
      - 2
      - 0
    .max_flat_workgroup_size: 256
    .name:           _ZL28rocblas_dot_batched_4_kernelIiLi64ELi4ELb0Ef16rocblas_bfloat16PKPKS0_EviT5_lT_lS5_lS6_liPT4_
    .private_segment_fixed_size: 0
    .sgpr_count:     22
    .sgpr_spill_count: 0
    .symbol:         _ZL28rocblas_dot_batched_4_kernelIiLi64ELi4ELb0Ef16rocblas_bfloat16PKPKS0_EviT5_lT_lS5_lS6_liPT4_.kd
    .uniform_work_group_size: 1
    .uses_dynamic_stack: false
    .vgpr_count:     14
    .vgpr_spill_count: 0
    .wavefront_size: 64
  - .agpr_count:     0
    .args:
      - .offset:         0
        .size:           4
        .value_kind:     by_value
      - .actual_access:  read_only
        .address_space:  global
        .offset:         8
        .size:           8
        .value_kind:     global_buffer
      - .offset:         16
        .size:           8
        .value_kind:     by_value
      - .offset:         24
        .size:           8
        .value_kind:     by_value
      - .actual_access:  read_only
        .address_space:  global
        .offset:         32
        .size:           8
        .value_kind:     global_buffer
      - .offset:         40
        .size:           8
        .value_kind:     by_value
      - .offset:         48
        .size:           8
        .value_kind:     by_value
      - .offset:         56
        .size:           4
        .value_kind:     by_value
      - .actual_access:  read_only
        .address_space:  global
        .offset:         64
        .size:           8
        .value_kind:     global_buffer
      - .actual_access:  write_only
        .address_space:  global
        .offset:         72
        .size:           8
        .value_kind:     global_buffer
    .group_segment_fixed_size: 256
    .kernarg_segment_align: 8
    .kernarg_segment_size: 80
    .language:       OpenCL C
    .language_version:
      - 2
      - 0
    .max_flat_workgroup_size: 1024
    .name:           _ZL26rocblas_dot_kernel_inc1by2ILb1ELi1024ELi32ELb0E16rocblas_bfloat16PKPKS0_fEviT4_llS5_lliPT5_PT3_
    .private_segment_fixed_size: 0
    .sgpr_count:     28
    .sgpr_spill_count: 0
    .symbol:         _ZL26rocblas_dot_kernel_inc1by2ILb1ELi1024ELi32ELb0E16rocblas_bfloat16PKPKS0_fEviT4_llS5_lliPT5_PT3_.kd
    .uniform_work_group_size: 1
    .uses_dynamic_stack: false
    .vgpr_count:     12
    .vgpr_spill_count: 0
    .wavefront_size: 64
  - .agpr_count:     0
    .args:
      - .offset:         0
        .size:           4
        .value_kind:     by_value
      - .actual_access:  read_only
        .address_space:  global
        .offset:         8
        .size:           8
        .value_kind:     global_buffer
      - .offset:         16
        .size:           8
        .value_kind:     by_value
      - .offset:         24
        .size:           4
        .value_kind:     by_value
      - .offset:         32
        .size:           8
        .value_kind:     by_value
      - .actual_access:  read_only
        .address_space:  global
        .offset:         40
        .size:           8
        .value_kind:     global_buffer
      - .offset:         48
        .size:           8
        .value_kind:     by_value
      - .offset:         56
        .size:           4
        .value_kind:     by_value
      - .offset:         64
        .size:           8
        .value_kind:     by_value
      - .offset:         72
        .size:           4
        .value_kind:     by_value
      - .actual_access:  read_only
        .address_space:  global
        .offset:         80
        .size:           8
        .value_kind:     global_buffer
      - .actual_access:  write_only
        .address_space:  global
        .offset:         88
        .size:           8
        .value_kind:     global_buffer
      - .offset:         96
        .size:           4
        .value_kind:     hidden_block_count_x
      - .offset:         100
        .size:           4
        .value_kind:     hidden_block_count_y
      - .offset:         104
        .size:           4
        .value_kind:     hidden_block_count_z
      - .offset:         108
        .size:           2
        .value_kind:     hidden_group_size_x
      - .offset:         110
        .size:           2
        .value_kind:     hidden_group_size_y
      - .offset:         112
        .size:           2
        .value_kind:     hidden_group_size_z
      - .offset:         114
        .size:           2
        .value_kind:     hidden_remainder_x
      - .offset:         116
        .size:           2
        .value_kind:     hidden_remainder_y
      - .offset:         118
        .size:           2
        .value_kind:     hidden_remainder_z
      - .offset:         136
        .size:           8
        .value_kind:     hidden_global_offset_x
      - .offset:         144
        .size:           8
        .value_kind:     hidden_global_offset_y
      - .offset:         152
        .size:           8
        .value_kind:     hidden_global_offset_z
      - .offset:         160
        .size:           2
        .value_kind:     hidden_grid_dims
    .group_segment_fixed_size: 256
    .kernarg_segment_align: 8
    .kernarg_segment_size: 352
    .language:       OpenCL C
    .language_version:
      - 2
      - 0
    .max_flat_workgroup_size: 1024
    .name:           _ZL18rocblas_dot_kernelIiLb1ELi1024ELi32ELb0E16rocblas_bfloat16PKPKS0_fEviT5_lT_lS5_lS6_liPT6_PT4_
    .private_segment_fixed_size: 0
    .sgpr_count:     29
    .sgpr_spill_count: 0
    .symbol:         _ZL18rocblas_dot_kernelIiLb1ELi1024ELi32ELb0E16rocblas_bfloat16PKPKS0_fEviT5_lT_lS5_lS6_liPT6_PT4_.kd
    .uniform_work_group_size: 1
    .uses_dynamic_stack: false
    .vgpr_count:     11
    .vgpr_spill_count: 0
    .wavefront_size: 64
  - .agpr_count:     0
    .args:
      - .offset:         0
        .size:           4
        .value_kind:     by_value
      - .actual_access:  read_only
        .address_space:  global
        .offset:         8
        .size:           8
        .value_kind:     global_buffer
      - .offset:         16
        .size:           8
        .value_kind:     by_value
      - .offset:         24
        .size:           4
        .value_kind:     by_value
      - .offset:         32
        .size:           8
        .value_kind:     by_value
      - .offset:         40
        .size:           4
        .value_kind:     by_value
      - .actual_access:  read_only
        .address_space:  global
        .offset:         48
        .size:           8
        .value_kind:     global_buffer
      - .actual_access:  write_only
        .address_space:  global
        .offset:         56
        .size:           8
        .value_kind:     global_buffer
      - .offset:         64
        .size:           4
        .value_kind:     hidden_block_count_x
      - .offset:         68
        .size:           4
        .value_kind:     hidden_block_count_y
      - .offset:         72
        .size:           4
        .value_kind:     hidden_block_count_z
      - .offset:         76
        .size:           2
        .value_kind:     hidden_group_size_x
      - .offset:         78
        .size:           2
        .value_kind:     hidden_group_size_y
      - .offset:         80
        .size:           2
        .value_kind:     hidden_group_size_z
      - .offset:         82
        .size:           2
        .value_kind:     hidden_remainder_x
      - .offset:         84
        .size:           2
        .value_kind:     hidden_remainder_y
      - .offset:         86
        .size:           2
        .value_kind:     hidden_remainder_z
      - .offset:         104
        .size:           8
        .value_kind:     hidden_global_offset_x
      - .offset:         112
        .size:           8
        .value_kind:     hidden_global_offset_y
      - .offset:         120
        .size:           8
        .value_kind:     hidden_global_offset_z
      - .offset:         128
        .size:           2
        .value_kind:     hidden_grid_dims
    .group_segment_fixed_size: 256
    .kernarg_segment_align: 8
    .kernarg_segment_size: 320
    .language:       OpenCL C
    .language_version:
      - 2
      - 0
    .max_flat_workgroup_size: 1024
    .name:           _ZL24rocblas_dot_kernel_magsqIiLb1ELi1024ELi32ELb0E16rocblas_bfloat16PKPKS0_fEviT5_lT_liPT6_PT4_
    .private_segment_fixed_size: 0
    .sgpr_count:     24
    .sgpr_spill_count: 0
    .symbol:         _ZL24rocblas_dot_kernel_magsqIiLb1ELi1024ELi32ELb0E16rocblas_bfloat16PKPKS0_fEviT5_lT_liPT6_PT4_.kd
    .uniform_work_group_size: 1
    .uses_dynamic_stack: false
    .vgpr_count:     10
    .vgpr_spill_count: 0
    .wavefront_size: 64
  - .agpr_count:     0
    .args:
      - .offset:         0
        .size:           4
        .value_kind:     by_value
      - .actual_access:  read_only
        .address_space:  global
        .offset:         8
        .size:           8
        .value_kind:     global_buffer
      - .offset:         16
        .size:           8
        .value_kind:     by_value
      - .offset:         24
        .size:           4
        .value_kind:     by_value
      - .offset:         32
        .size:           8
        .value_kind:     by_value
      - .actual_access:  read_only
        .address_space:  global
        .offset:         40
        .size:           8
        .value_kind:     global_buffer
      - .offset:         48
        .size:           8
        .value_kind:     by_value
      - .offset:         56
        .size:           4
        .value_kind:     by_value
      - .offset:         64
        .size:           8
        .value_kind:     by_value
      - .actual_access:  read_only
        .address_space:  global
        .offset:         72
        .size:           8
        .value_kind:     global_buffer
      - .actual_access:  read_only
        .address_space:  global
        .offset:         80
        .size:           8
        .value_kind:     global_buffer
    .group_segment_fixed_size: 0
    .kernarg_segment_align: 8
    .kernarg_segment_size: 88
    .language:       OpenCL C
    .language_version:
      - 2
      - 0
    .max_flat_workgroup_size: 1024
    .name:           _ZL38rocblas_dot_kernel_gfx942_float_doubleIiLi1024E16rocblas_bfloat16PKPKS0_fEviT2_lT_lS5_lS6_lPT3_PT1_
    .private_segment_fixed_size: 0
    .sgpr_count:     4
    .sgpr_spill_count: 0
    .symbol:         _ZL38rocblas_dot_kernel_gfx942_float_doubleIiLi1024E16rocblas_bfloat16PKPKS0_fEviT2_lT_lS5_lS6_lPT3_PT1_.kd
    .uniform_work_group_size: 1
    .uses_dynamic_stack: false
    .vgpr_count:     0
    .vgpr_spill_count: 0
    .wavefront_size: 64
  - .agpr_count:     0
    .args:
      - .offset:         0
        .size:           4
        .value_kind:     by_value
      - .actual_access:  read_only
        .address_space:  global
        .offset:         8
        .size:           8
        .value_kind:     global_buffer
      - .offset:         16
        .size:           8
        .value_kind:     by_value
      - .offset:         24
        .size:           8
        .value_kind:     by_value
      - .actual_access:  read_only
        .address_space:  global
        .offset:         32
        .size:           8
        .value_kind:     global_buffer
      - .offset:         40
        .size:           8
        .value_kind:     by_value
      - .offset:         48
        .size:           8
        .value_kind:     by_value
      - .offset:         56
        .size:           4
        .value_kind:     by_value
      - .actual_access:  write_only
        .address_space:  global
        .offset:         64
        .size:           8
        .value_kind:     global_buffer
      - .actual_access:  write_only
        .address_space:  global
        .offset:         72
        .size:           8
        .value_kind:     global_buffer
      - .offset:         80
        .size:           4
        .value_kind:     hidden_block_count_x
      - .offset:         84
        .size:           4
        .value_kind:     hidden_block_count_y
      - .offset:         88
        .size:           4
        .value_kind:     hidden_block_count_z
      - .offset:         92
        .size:           2
        .value_kind:     hidden_group_size_x
      - .offset:         94
        .size:           2
        .value_kind:     hidden_group_size_y
      - .offset:         96
        .size:           2
        .value_kind:     hidden_group_size_z
      - .offset:         98
        .size:           2
        .value_kind:     hidden_remainder_x
      - .offset:         100
        .size:           2
        .value_kind:     hidden_remainder_y
      - .offset:         102
        .size:           2
        .value_kind:     hidden_remainder_z
      - .offset:         120
        .size:           8
        .value_kind:     hidden_global_offset_x
      - .offset:         128
        .size:           8
        .value_kind:     hidden_global_offset_y
      - .offset:         136
        .size:           8
        .value_kind:     hidden_global_offset_z
      - .offset:         144
        .size:           2
        .value_kind:     hidden_grid_dims
    .group_segment_fixed_size: 256
    .kernarg_segment_align: 8
    .kernarg_segment_size: 336
    .language:       OpenCL C
    .language_version:
      - 2
      - 0
    .max_flat_workgroup_size: 512
    .name:           _ZL23rocblas_dot_kernel_inc1ILb0ELi512ELi8ELb0E16rocblas_bfloat16PKPKS0_fEviT4_llS5_lliPT5_PT3_
    .private_segment_fixed_size: 0
    .sgpr_count:     32
    .sgpr_spill_count: 0
    .symbol:         _ZL23rocblas_dot_kernel_inc1ILb0ELi512ELi8ELb0E16rocblas_bfloat16PKPKS0_fEviT4_llS5_lliPT5_PT3_.kd
    .uniform_work_group_size: 1
    .uses_dynamic_stack: false
    .vgpr_count:     14
    .vgpr_spill_count: 0
    .wavefront_size: 64
  - .agpr_count:     0
    .args:
      - .offset:         0
        .size:           4
        .value_kind:     by_value
      - .actual_access:  read_only
        .address_space:  global
        .offset:         8
        .size:           8
        .value_kind:     global_buffer
      - .offset:         16
        .size:           8
        .value_kind:     by_value
      - .offset:         24
        .size:           4
        .value_kind:     by_value
      - .offset:         32
        .size:           8
        .value_kind:     by_value
      - .actual_access:  read_only
        .address_space:  global
        .offset:         40
        .size:           8
        .value_kind:     global_buffer
      - .offset:         48
        .size:           8
        .value_kind:     by_value
      - .offset:         56
        .size:           4
        .value_kind:     by_value
      - .offset:         64
        .size:           8
        .value_kind:     by_value
      - .offset:         72
        .size:           4
        .value_kind:     by_value
      - .actual_access:  write_only
        .address_space:  global
        .offset:         80
        .size:           8
        .value_kind:     global_buffer
      - .actual_access:  write_only
        .address_space:  global
        .offset:         88
        .size:           8
        .value_kind:     global_buffer
      - .offset:         96
        .size:           4
        .value_kind:     hidden_block_count_x
      - .offset:         100
        .size:           4
        .value_kind:     hidden_block_count_y
      - .offset:         104
        .size:           4
        .value_kind:     hidden_block_count_z
      - .offset:         108
        .size:           2
        .value_kind:     hidden_group_size_x
      - .offset:         110
        .size:           2
        .value_kind:     hidden_group_size_y
      - .offset:         112
        .size:           2
        .value_kind:     hidden_group_size_z
      - .offset:         114
        .size:           2
        .value_kind:     hidden_remainder_x
      - .offset:         116
        .size:           2
        .value_kind:     hidden_remainder_y
      - .offset:         118
        .size:           2
        .value_kind:     hidden_remainder_z
      - .offset:         136
        .size:           8
        .value_kind:     hidden_global_offset_x
      - .offset:         144
        .size:           8
        .value_kind:     hidden_global_offset_y
      - .offset:         152
        .size:           8
        .value_kind:     hidden_global_offset_z
      - .offset:         160
        .size:           2
        .value_kind:     hidden_grid_dims
    .group_segment_fixed_size: 256
    .kernarg_segment_align: 8
    .kernarg_segment_size: 352
    .language:       OpenCL C
    .language_version:
      - 2
      - 0
    .max_flat_workgroup_size: 512
    .name:           _ZL18rocblas_dot_kernelIiLb0ELi512ELi8ELb0E16rocblas_bfloat16PKPKS0_fEviT5_lT_lS5_lS6_liPT6_PT4_
    .private_segment_fixed_size: 0
    .sgpr_count:     32
    .sgpr_spill_count: 0
    .symbol:         _ZL18rocblas_dot_kernelIiLb0ELi512ELi8ELb0E16rocblas_bfloat16PKPKS0_fEviT5_lT_lS5_lS6_liPT6_PT4_.kd
    .uniform_work_group_size: 1
    .uses_dynamic_stack: false
    .vgpr_count:     11
    .vgpr_spill_count: 0
    .wavefront_size: 64
  - .agpr_count:     0
    .args:
      - .offset:         0
        .size:           4
        .value_kind:     by_value
      - .actual_access:  read_only
        .address_space:  global
        .offset:         8
        .size:           8
        .value_kind:     global_buffer
      - .offset:         16
        .size:           8
        .value_kind:     by_value
      - .offset:         24
        .size:           4
        .value_kind:     by_value
      - .offset:         32
        .size:           8
        .value_kind:     by_value
      - .offset:         40
        .size:           4
        .value_kind:     by_value
      - .actual_access:  write_only
        .address_space:  global
        .offset:         48
        .size:           8
        .value_kind:     global_buffer
      - .actual_access:  write_only
        .address_space:  global
        .offset:         56
        .size:           8
        .value_kind:     global_buffer
      - .offset:         64
        .size:           4
        .value_kind:     hidden_block_count_x
      - .offset:         68
        .size:           4
        .value_kind:     hidden_block_count_y
      - .offset:         72
        .size:           4
        .value_kind:     hidden_block_count_z
      - .offset:         76
        .size:           2
        .value_kind:     hidden_group_size_x
      - .offset:         78
        .size:           2
        .value_kind:     hidden_group_size_y
      - .offset:         80
        .size:           2
        .value_kind:     hidden_group_size_z
      - .offset:         82
        .size:           2
        .value_kind:     hidden_remainder_x
      - .offset:         84
        .size:           2
        .value_kind:     hidden_remainder_y
      - .offset:         86
        .size:           2
        .value_kind:     hidden_remainder_z
      - .offset:         104
        .size:           8
        .value_kind:     hidden_global_offset_x
      - .offset:         112
        .size:           8
        .value_kind:     hidden_global_offset_y
      - .offset:         120
        .size:           8
        .value_kind:     hidden_global_offset_z
      - .offset:         128
        .size:           2
        .value_kind:     hidden_grid_dims
    .group_segment_fixed_size: 256
    .kernarg_segment_align: 8
    .kernarg_segment_size: 320
    .language:       OpenCL C
    .language_version:
      - 2
      - 0
    .max_flat_workgroup_size: 512
    .name:           _ZL24rocblas_dot_kernel_magsqIiLb0ELi512ELi8ELb0E16rocblas_bfloat16PKPKS0_fEviT5_lT_liPT6_PT4_
    .private_segment_fixed_size: 0
    .sgpr_count:     28
    .sgpr_spill_count: 0
    .symbol:         _ZL24rocblas_dot_kernel_magsqIiLb0ELi512ELi8ELb0E16rocblas_bfloat16PKPKS0_fEviT5_lT_liPT6_PT4_.kd
    .uniform_work_group_size: 1
    .uses_dynamic_stack: false
    .vgpr_count:     9
    .vgpr_spill_count: 0
    .wavefront_size: 64
  - .agpr_count:     0
    .args:
      - .offset:         0
        .size:           4
        .value_kind:     by_value
      - .actual_access:  read_only
        .address_space:  global
        .offset:         8
        .size:           8
        .value_kind:     global_buffer
      - .offset:         16
        .size:           8
        .value_kind:     by_value
      - .offset:         24
        .size:           4
        .value_kind:     by_value
      - .offset:         32
        .size:           8
        .value_kind:     by_value
      - .actual_access:  read_only
        .address_space:  global
        .offset:         40
        .size:           8
        .value_kind:     global_buffer
      - .offset:         48
        .size:           8
        .value_kind:     by_value
      - .offset:         56
        .size:           4
        .value_kind:     by_value
      - .offset:         64
        .size:           8
        .value_kind:     by_value
      - .offset:         72
        .size:           4
        .value_kind:     by_value
      - .actual_access:  write_only
        .address_space:  global
        .offset:         80
        .size:           8
        .value_kind:     global_buffer
    .group_segment_fixed_size: 0
    .kernarg_segment_align: 8
    .kernarg_segment_size: 88
    .language:       OpenCL C
    .language_version:
      - 2
      - 0
    .max_flat_workgroup_size: 128
    .name:           _ZL28rocblas_dot_batched_4_kernelIiLi32ELi4ELb0EffPKPK16rocblas_bfloat16EviT5_lT_lS5_lS6_liPT4_
    .private_segment_fixed_size: 0
    .sgpr_count:     22
    .sgpr_spill_count: 0
    .symbol:         _ZL28rocblas_dot_batched_4_kernelIiLi32ELi4ELb0EffPKPK16rocblas_bfloat16EviT5_lT_lS5_lS6_liPT4_.kd
    .uniform_work_group_size: 1
    .uses_dynamic_stack: false
    .vgpr_count:     14
    .vgpr_spill_count: 0
    .wavefront_size: 64
  - .agpr_count:     0
    .args:
      - .offset:         0
        .size:           4
        .value_kind:     by_value
      - .actual_access:  read_only
        .address_space:  global
        .offset:         8
        .size:           8
        .value_kind:     global_buffer
      - .offset:         16
        .size:           8
        .value_kind:     by_value
      - .offset:         24
        .size:           4
        .value_kind:     by_value
      - .offset:         32
        .size:           8
        .value_kind:     by_value
      - .actual_access:  read_only
        .address_space:  global
        .offset:         40
        .size:           8
        .value_kind:     global_buffer
      - .offset:         48
        .size:           8
        .value_kind:     by_value
      - .offset:         56
        .size:           4
        .value_kind:     by_value
      - .offset:         64
        .size:           8
        .value_kind:     by_value
      - .offset:         72
        .size:           4
        .value_kind:     by_value
      - .actual_access:  write_only
        .address_space:  global
        .offset:         80
        .size:           8
        .value_kind:     global_buffer
    .group_segment_fixed_size: 0
    .kernarg_segment_align: 8
    .kernarg_segment_size: 88
    .language:       OpenCL C
    .language_version:
      - 2
      - 0
    .max_flat_workgroup_size: 256
    .name:           _ZL28rocblas_dot_batched_4_kernelIiLi64ELi4ELb0EffPKPK16rocblas_bfloat16EviT5_lT_lS5_lS6_liPT4_
    .private_segment_fixed_size: 0
    .sgpr_count:     22
    .sgpr_spill_count: 0
    .symbol:         _ZL28rocblas_dot_batched_4_kernelIiLi64ELi4ELb0EffPKPK16rocblas_bfloat16EviT5_lT_lS5_lS6_liPT4_.kd
    .uniform_work_group_size: 1
    .uses_dynamic_stack: false
    .vgpr_count:     14
    .vgpr_spill_count: 0
    .wavefront_size: 64
  - .agpr_count:     0
    .args:
      - .offset:         0
        .size:           4
        .value_kind:     by_value
      - .actual_access:  read_only
        .address_space:  global
        .offset:         8
        .size:           8
        .value_kind:     global_buffer
      - .offset:         16
        .size:           8
        .value_kind:     by_value
      - .offset:         24
        .size:           4
        .value_kind:     by_value
      - .offset:         32
        .size:           8
        .value_kind:     by_value
      - .actual_access:  read_only
        .address_space:  global
        .offset:         40
        .size:           8
        .value_kind:     global_buffer
      - .offset:         48
        .size:           8
        .value_kind:     by_value
      - .offset:         56
        .size:           4
        .value_kind:     by_value
      - .offset:         64
        .size:           8
        .value_kind:     by_value
      - .offset:         72
        .size:           4
        .value_kind:     by_value
      - .actual_access:  read_only
        .address_space:  global
        .offset:         80
        .size:           8
        .value_kind:     global_buffer
      - .actual_access:  write_only
        .address_space:  global
        .offset:         88
        .size:           8
        .value_kind:     global_buffer
      - .offset:         96
        .size:           4
        .value_kind:     hidden_block_count_x
      - .offset:         100
        .size:           4
        .value_kind:     hidden_block_count_y
      - .offset:         104
        .size:           4
        .value_kind:     hidden_block_count_z
      - .offset:         108
        .size:           2
        .value_kind:     hidden_group_size_x
      - .offset:         110
        .size:           2
        .value_kind:     hidden_group_size_y
      - .offset:         112
        .size:           2
        .value_kind:     hidden_group_size_z
      - .offset:         114
        .size:           2
        .value_kind:     hidden_remainder_x
      - .offset:         116
        .size:           2
        .value_kind:     hidden_remainder_y
      - .offset:         118
        .size:           2
        .value_kind:     hidden_remainder_z
      - .offset:         136
        .size:           8
        .value_kind:     hidden_global_offset_x
      - .offset:         144
        .size:           8
        .value_kind:     hidden_global_offset_y
      - .offset:         152
        .size:           8
        .value_kind:     hidden_global_offset_z
      - .offset:         160
        .size:           2
        .value_kind:     hidden_grid_dims
    .group_segment_fixed_size: 256
    .kernarg_segment_align: 8
    .kernarg_segment_size: 352
    .language:       OpenCL C
    .language_version:
      - 2
      - 0
    .max_flat_workgroup_size: 1024
    .name:           _ZL18rocblas_dot_kernelIiLb1ELi1024ELi32ELb0EfPKPK16rocblas_bfloat16fEviT5_lT_lS5_lS6_liPT6_PT4_
    .private_segment_fixed_size: 0
    .sgpr_count:     29
    .sgpr_spill_count: 0
    .symbol:         _ZL18rocblas_dot_kernelIiLb1ELi1024ELi32ELb0EfPKPK16rocblas_bfloat16fEviT5_lT_lS5_lS6_liPT6_PT4_.kd
    .uniform_work_group_size: 1
    .uses_dynamic_stack: false
    .vgpr_count:     11
    .vgpr_spill_count: 0
    .wavefront_size: 64
  - .agpr_count:     0
    .args:
      - .offset:         0
        .size:           4
        .value_kind:     by_value
      - .actual_access:  read_only
        .address_space:  global
        .offset:         8
        .size:           8
        .value_kind:     global_buffer
      - .offset:         16
        .size:           8
        .value_kind:     by_value
      - .offset:         24
        .size:           4
        .value_kind:     by_value
      - .offset:         32
        .size:           8
        .value_kind:     by_value
      - .offset:         40
        .size:           4
        .value_kind:     by_value
      - .actual_access:  read_only
        .address_space:  global
        .offset:         48
        .size:           8
        .value_kind:     global_buffer
      - .actual_access:  write_only
        .address_space:  global
        .offset:         56
        .size:           8
        .value_kind:     global_buffer
      - .offset:         64
        .size:           4
        .value_kind:     hidden_block_count_x
      - .offset:         68
        .size:           4
        .value_kind:     hidden_block_count_y
      - .offset:         72
        .size:           4
        .value_kind:     hidden_block_count_z
      - .offset:         76
        .size:           2
        .value_kind:     hidden_group_size_x
      - .offset:         78
        .size:           2
        .value_kind:     hidden_group_size_y
      - .offset:         80
        .size:           2
        .value_kind:     hidden_group_size_z
      - .offset:         82
        .size:           2
        .value_kind:     hidden_remainder_x
      - .offset:         84
        .size:           2
        .value_kind:     hidden_remainder_y
      - .offset:         86
        .size:           2
        .value_kind:     hidden_remainder_z
      - .offset:         104
        .size:           8
        .value_kind:     hidden_global_offset_x
      - .offset:         112
        .size:           8
        .value_kind:     hidden_global_offset_y
      - .offset:         120
        .size:           8
        .value_kind:     hidden_global_offset_z
      - .offset:         128
        .size:           2
        .value_kind:     hidden_grid_dims
    .group_segment_fixed_size: 256
    .kernarg_segment_align: 8
    .kernarg_segment_size: 320
    .language:       OpenCL C
    .language_version:
      - 2
      - 0
    .max_flat_workgroup_size: 1024
    .name:           _ZL24rocblas_dot_kernel_magsqIiLb1ELi1024ELi32ELb0EfPKPK16rocblas_bfloat16fEviT5_lT_liPT6_PT4_
    .private_segment_fixed_size: 0
    .sgpr_count:     24
    .sgpr_spill_count: 0
    .symbol:         _ZL24rocblas_dot_kernel_magsqIiLb1ELi1024ELi32ELb0EfPKPK16rocblas_bfloat16fEviT5_lT_liPT6_PT4_.kd
    .uniform_work_group_size: 1
    .uses_dynamic_stack: false
    .vgpr_count:     10
    .vgpr_spill_count: 0
    .wavefront_size: 64
  - .agpr_count:     0
    .args:
      - .offset:         0
        .size:           4
        .value_kind:     by_value
      - .actual_access:  read_only
        .address_space:  global
        .offset:         8
        .size:           8
        .value_kind:     global_buffer
      - .offset:         16
        .size:           8
        .value_kind:     by_value
      - .offset:         24
        .size:           4
        .value_kind:     by_value
      - .offset:         32
        .size:           8
        .value_kind:     by_value
      - .actual_access:  read_only
        .address_space:  global
        .offset:         40
        .size:           8
        .value_kind:     global_buffer
      - .offset:         48
        .size:           8
        .value_kind:     by_value
      - .offset:         56
        .size:           4
        .value_kind:     by_value
      - .offset:         64
        .size:           8
        .value_kind:     by_value
      - .actual_access:  read_only
        .address_space:  global
        .offset:         72
        .size:           8
        .value_kind:     global_buffer
      - .actual_access:  read_only
        .address_space:  global
        .offset:         80
        .size:           8
        .value_kind:     global_buffer
    .group_segment_fixed_size: 0
    .kernarg_segment_align: 8
    .kernarg_segment_size: 88
    .language:       OpenCL C
    .language_version:
      - 2
      - 0
    .max_flat_workgroup_size: 1024
    .name:           _ZL38rocblas_dot_kernel_gfx942_float_doubleIiLi1024EfPKPK16rocblas_bfloat16fEviT2_lT_lS5_lS6_lPT3_PT1_
    .private_segment_fixed_size: 0
    .sgpr_count:     4
    .sgpr_spill_count: 0
    .symbol:         _ZL38rocblas_dot_kernel_gfx942_float_doubleIiLi1024EfPKPK16rocblas_bfloat16fEviT2_lT_lS5_lS6_lPT3_PT1_.kd
    .uniform_work_group_size: 1
    .uses_dynamic_stack: false
    .vgpr_count:     0
    .vgpr_spill_count: 0
    .wavefront_size: 64
  - .agpr_count:     0
    .args:
      - .offset:         0
        .size:           4
        .value_kind:     by_value
      - .actual_access:  read_only
        .address_space:  global
        .offset:         8
        .size:           8
        .value_kind:     global_buffer
      - .offset:         16
        .size:           8
        .value_kind:     by_value
      - .offset:         24
        .size:           4
        .value_kind:     by_value
      - .offset:         32
        .size:           8
        .value_kind:     by_value
      - .actual_access:  read_only
        .address_space:  global
        .offset:         40
        .size:           8
        .value_kind:     global_buffer
      - .offset:         48
        .size:           8
        .value_kind:     by_value
      - .offset:         56
        .size:           4
        .value_kind:     by_value
      - .offset:         64
        .size:           8
        .value_kind:     by_value
      - .offset:         72
        .size:           4
        .value_kind:     by_value
      - .actual_access:  write_only
        .address_space:  global
        .offset:         80
        .size:           8
        .value_kind:     global_buffer
      - .actual_access:  write_only
        .address_space:  global
        .offset:         88
        .size:           8
        .value_kind:     global_buffer
      - .offset:         96
        .size:           4
        .value_kind:     hidden_block_count_x
      - .offset:         100
        .size:           4
        .value_kind:     hidden_block_count_y
      - .offset:         104
        .size:           4
        .value_kind:     hidden_block_count_z
      - .offset:         108
        .size:           2
        .value_kind:     hidden_group_size_x
      - .offset:         110
        .size:           2
        .value_kind:     hidden_group_size_y
      - .offset:         112
        .size:           2
        .value_kind:     hidden_group_size_z
      - .offset:         114
        .size:           2
        .value_kind:     hidden_remainder_x
      - .offset:         116
        .size:           2
        .value_kind:     hidden_remainder_y
      - .offset:         118
        .size:           2
        .value_kind:     hidden_remainder_z
      - .offset:         136
        .size:           8
        .value_kind:     hidden_global_offset_x
      - .offset:         144
        .size:           8
        .value_kind:     hidden_global_offset_y
      - .offset:         152
        .size:           8
        .value_kind:     hidden_global_offset_z
      - .offset:         160
        .size:           2
        .value_kind:     hidden_grid_dims
    .group_segment_fixed_size: 256
    .kernarg_segment_align: 8
    .kernarg_segment_size: 352
    .language:       OpenCL C
    .language_version:
      - 2
      - 0
    .max_flat_workgroup_size: 512
    .name:           _ZL18rocblas_dot_kernelIiLb0ELi512ELi4ELb0EfPKPK16rocblas_bfloat16fEviT5_lT_lS5_lS6_liPT6_PT4_
    .private_segment_fixed_size: 0
    .sgpr_count:     32
    .sgpr_spill_count: 0
    .symbol:         _ZL18rocblas_dot_kernelIiLb0ELi512ELi4ELb0EfPKPK16rocblas_bfloat16fEviT5_lT_lS5_lS6_liPT6_PT4_.kd
    .uniform_work_group_size: 1
    .uses_dynamic_stack: false
    .vgpr_count:     11
    .vgpr_spill_count: 0
    .wavefront_size: 64
  - .agpr_count:     0
    .args:
      - .offset:         0
        .size:           4
        .value_kind:     by_value
      - .actual_access:  read_only
        .address_space:  global
        .offset:         8
        .size:           8
        .value_kind:     global_buffer
      - .offset:         16
        .size:           8
        .value_kind:     by_value
      - .offset:         24
        .size:           4
        .value_kind:     by_value
      - .offset:         32
        .size:           8
        .value_kind:     by_value
      - .offset:         40
        .size:           4
        .value_kind:     by_value
      - .actual_access:  write_only
        .address_space:  global
        .offset:         48
        .size:           8
        .value_kind:     global_buffer
      - .actual_access:  write_only
        .address_space:  global
        .offset:         56
        .size:           8
        .value_kind:     global_buffer
      - .offset:         64
        .size:           4
        .value_kind:     hidden_block_count_x
      - .offset:         68
        .size:           4
        .value_kind:     hidden_block_count_y
      - .offset:         72
        .size:           4
        .value_kind:     hidden_block_count_z
      - .offset:         76
        .size:           2
        .value_kind:     hidden_group_size_x
      - .offset:         78
        .size:           2
        .value_kind:     hidden_group_size_y
      - .offset:         80
        .size:           2
        .value_kind:     hidden_group_size_z
      - .offset:         82
        .size:           2
        .value_kind:     hidden_remainder_x
      - .offset:         84
        .size:           2
        .value_kind:     hidden_remainder_y
      - .offset:         86
        .size:           2
        .value_kind:     hidden_remainder_z
      - .offset:         104
        .size:           8
        .value_kind:     hidden_global_offset_x
      - .offset:         112
        .size:           8
        .value_kind:     hidden_global_offset_y
      - .offset:         120
        .size:           8
        .value_kind:     hidden_global_offset_z
      - .offset:         128
        .size:           2
        .value_kind:     hidden_grid_dims
    .group_segment_fixed_size: 256
    .kernarg_segment_align: 8
    .kernarg_segment_size: 320
    .language:       OpenCL C
    .language_version:
      - 2
      - 0
    .max_flat_workgroup_size: 512
    .name:           _ZL24rocblas_dot_kernel_magsqIiLb0ELi512ELi4ELb0EfPKPK16rocblas_bfloat16fEviT5_lT_liPT6_PT4_
    .private_segment_fixed_size: 0
    .sgpr_count:     28
    .sgpr_spill_count: 0
    .symbol:         _ZL24rocblas_dot_kernel_magsqIiLb0ELi512ELi4ELb0EfPKPK16rocblas_bfloat16fEviT5_lT_liPT6_PT4_.kd
    .uniform_work_group_size: 1
    .uses_dynamic_stack: false
    .vgpr_count:     9
    .vgpr_spill_count: 0
    .wavefront_size: 64
  - .agpr_count:     0
    .args:
      - .offset:         0
        .size:           4
        .value_kind:     by_value
      - .actual_access:  read_only
        .address_space:  global
        .offset:         8
        .size:           8
        .value_kind:     global_buffer
      - .offset:         16
        .size:           8
        .value_kind:     by_value
      - .offset:         24
        .size:           8
        .value_kind:     by_value
      - .offset:         32
        .size:           8
        .value_kind:     by_value
      - .actual_access:  read_only
        .address_space:  global
        .offset:         40
        .size:           8
        .value_kind:     global_buffer
      - .offset:         48
        .size:           8
        .value_kind:     by_value
      - .offset:         56
        .size:           8
        .value_kind:     by_value
      - .offset:         64
        .size:           8
        .value_kind:     by_value
      - .offset:         72
        .size:           4
        .value_kind:     by_value
      - .actual_access:  write_only
        .address_space:  global
        .offset:         80
        .size:           8
        .value_kind:     global_buffer
    .group_segment_fixed_size: 0
    .kernarg_segment_align: 8
    .kernarg_segment_size: 88
    .language:       OpenCL C
    .language_version:
      - 2
      - 0
    .max_flat_workgroup_size: 128
    .name:           _ZL28rocblas_dot_batched_4_kernelIlLi32ELi4ELb0Ef16rocblas_bfloat16PKPKS0_EviT5_lT_lS5_lS6_liPT4_
    .private_segment_fixed_size: 0
    .sgpr_count:     24
    .sgpr_spill_count: 0
    .symbol:         _ZL28rocblas_dot_batched_4_kernelIlLi32ELi4ELb0Ef16rocblas_bfloat16PKPKS0_EviT5_lT_lS5_lS6_liPT4_.kd
    .uniform_work_group_size: 1
    .uses_dynamic_stack: false
    .vgpr_count:     20
    .vgpr_spill_count: 0
    .wavefront_size: 64
  - .agpr_count:     0
    .args:
      - .offset:         0
        .size:           4
        .value_kind:     by_value
      - .actual_access:  read_only
        .address_space:  global
        .offset:         8
        .size:           8
        .value_kind:     global_buffer
      - .offset:         16
        .size:           8
        .value_kind:     by_value
      - .offset:         24
        .size:           8
        .value_kind:     by_value
      - .offset:         32
        .size:           8
        .value_kind:     by_value
      - .actual_access:  read_only
        .address_space:  global
        .offset:         40
        .size:           8
        .value_kind:     global_buffer
      - .offset:         48
        .size:           8
        .value_kind:     by_value
      - .offset:         56
        .size:           8
        .value_kind:     by_value
      - .offset:         64
        .size:           8
        .value_kind:     by_value
      - .offset:         72
        .size:           4
        .value_kind:     by_value
      - .actual_access:  write_only
        .address_space:  global
        .offset:         80
        .size:           8
        .value_kind:     global_buffer
    .group_segment_fixed_size: 0
    .kernarg_segment_align: 8
    .kernarg_segment_size: 88
    .language:       OpenCL C
    .language_version:
      - 2
      - 0
    .max_flat_workgroup_size: 256
    .name:           _ZL28rocblas_dot_batched_4_kernelIlLi64ELi4ELb0Ef16rocblas_bfloat16PKPKS0_EviT5_lT_lS5_lS6_liPT4_
    .private_segment_fixed_size: 0
    .sgpr_count:     24
    .sgpr_spill_count: 0
    .symbol:         _ZL28rocblas_dot_batched_4_kernelIlLi64ELi4ELb0Ef16rocblas_bfloat16PKPKS0_EviT5_lT_lS5_lS6_liPT4_.kd
    .uniform_work_group_size: 1
    .uses_dynamic_stack: false
    .vgpr_count:     20
    .vgpr_spill_count: 0
    .wavefront_size: 64
  - .agpr_count:     0
    .args:
      - .offset:         0
        .size:           4
        .value_kind:     by_value
      - .actual_access:  read_only
        .address_space:  global
        .offset:         8
        .size:           8
        .value_kind:     global_buffer
      - .offset:         16
        .size:           8
        .value_kind:     by_value
      - .offset:         24
        .size:           8
        .value_kind:     by_value
      - .offset:         32
        .size:           8
        .value_kind:     by_value
      - .actual_access:  read_only
        .address_space:  global
        .offset:         40
        .size:           8
        .value_kind:     global_buffer
      - .offset:         48
        .size:           8
        .value_kind:     by_value
      - .offset:         56
        .size:           8
        .value_kind:     by_value
      - .offset:         64
        .size:           8
        .value_kind:     by_value
      - .offset:         72
        .size:           4
        .value_kind:     by_value
      - .actual_access:  read_only
        .address_space:  global
        .offset:         80
        .size:           8
        .value_kind:     global_buffer
      - .actual_access:  write_only
        .address_space:  global
        .offset:         88
        .size:           8
        .value_kind:     global_buffer
      - .offset:         96
        .size:           4
        .value_kind:     hidden_block_count_x
      - .offset:         100
        .size:           4
        .value_kind:     hidden_block_count_y
      - .offset:         104
        .size:           4
        .value_kind:     hidden_block_count_z
      - .offset:         108
        .size:           2
        .value_kind:     hidden_group_size_x
      - .offset:         110
        .size:           2
        .value_kind:     hidden_group_size_y
      - .offset:         112
        .size:           2
        .value_kind:     hidden_group_size_z
      - .offset:         114
        .size:           2
        .value_kind:     hidden_remainder_x
      - .offset:         116
        .size:           2
        .value_kind:     hidden_remainder_y
      - .offset:         118
        .size:           2
        .value_kind:     hidden_remainder_z
      - .offset:         136
        .size:           8
        .value_kind:     hidden_global_offset_x
      - .offset:         144
        .size:           8
        .value_kind:     hidden_global_offset_y
      - .offset:         152
        .size:           8
        .value_kind:     hidden_global_offset_z
      - .offset:         160
        .size:           2
        .value_kind:     hidden_grid_dims
    .group_segment_fixed_size: 256
    .kernarg_segment_align: 8
    .kernarg_segment_size: 352
    .language:       OpenCL C
    .language_version:
      - 2
      - 0
    .max_flat_workgroup_size: 1024
    .name:           _ZL18rocblas_dot_kernelIlLb1ELi1024ELi32ELb0E16rocblas_bfloat16PKPKS0_fEviT5_lT_lS5_lS6_liPT6_PT4_
    .private_segment_fixed_size: 0
    .sgpr_count:     30
    .sgpr_spill_count: 0
    .symbol:         _ZL18rocblas_dot_kernelIlLb1ELi1024ELi32ELb0E16rocblas_bfloat16PKPKS0_fEviT5_lT_lS5_lS6_liPT6_PT4_.kd
    .uniform_work_group_size: 1
    .uses_dynamic_stack: false
    .vgpr_count:     11
    .vgpr_spill_count: 0
    .wavefront_size: 64
  - .agpr_count:     0
    .args:
      - .offset:         0
        .size:           4
        .value_kind:     by_value
      - .actual_access:  read_only
        .address_space:  global
        .offset:         8
        .size:           8
        .value_kind:     global_buffer
      - .offset:         16
        .size:           8
        .value_kind:     by_value
      - .offset:         24
        .size:           8
        .value_kind:     by_value
      - .offset:         32
        .size:           8
        .value_kind:     by_value
      - .offset:         40
        .size:           4
        .value_kind:     by_value
      - .actual_access:  read_only
        .address_space:  global
        .offset:         48
        .size:           8
        .value_kind:     global_buffer
      - .actual_access:  write_only
        .address_space:  global
        .offset:         56
        .size:           8
        .value_kind:     global_buffer
      - .offset:         64
        .size:           4
        .value_kind:     hidden_block_count_x
      - .offset:         68
        .size:           4
        .value_kind:     hidden_block_count_y
      - .offset:         72
        .size:           4
        .value_kind:     hidden_block_count_z
      - .offset:         76
        .size:           2
        .value_kind:     hidden_group_size_x
      - .offset:         78
        .size:           2
        .value_kind:     hidden_group_size_y
      - .offset:         80
        .size:           2
        .value_kind:     hidden_group_size_z
      - .offset:         82
        .size:           2
        .value_kind:     hidden_remainder_x
      - .offset:         84
        .size:           2
        .value_kind:     hidden_remainder_y
      - .offset:         86
        .size:           2
        .value_kind:     hidden_remainder_z
      - .offset:         104
        .size:           8
        .value_kind:     hidden_global_offset_x
      - .offset:         112
        .size:           8
        .value_kind:     hidden_global_offset_y
      - .offset:         120
        .size:           8
        .value_kind:     hidden_global_offset_z
      - .offset:         128
        .size:           2
        .value_kind:     hidden_grid_dims
    .group_segment_fixed_size: 256
    .kernarg_segment_align: 8
    .kernarg_segment_size: 320
    .language:       OpenCL C
    .language_version:
      - 2
      - 0
    .max_flat_workgroup_size: 1024
    .name:           _ZL24rocblas_dot_kernel_magsqIlLb1ELi1024ELi32ELb0E16rocblas_bfloat16PKPKS0_fEviT5_lT_liPT6_PT4_
    .private_segment_fixed_size: 0
    .sgpr_count:     24
    .sgpr_spill_count: 0
    .symbol:         _ZL24rocblas_dot_kernel_magsqIlLb1ELi1024ELi32ELb0E16rocblas_bfloat16PKPKS0_fEviT5_lT_liPT6_PT4_.kd
    .uniform_work_group_size: 1
    .uses_dynamic_stack: false
    .vgpr_count:     10
    .vgpr_spill_count: 0
    .wavefront_size: 64
  - .agpr_count:     0
    .args:
      - .offset:         0
        .size:           4
        .value_kind:     by_value
      - .actual_access:  read_only
        .address_space:  global
        .offset:         8
        .size:           8
        .value_kind:     global_buffer
      - .offset:         16
        .size:           8
        .value_kind:     by_value
      - .offset:         24
        .size:           8
        .value_kind:     by_value
      - .offset:         32
        .size:           8
        .value_kind:     by_value
      - .actual_access:  read_only
        .address_space:  global
        .offset:         40
        .size:           8
        .value_kind:     global_buffer
      - .offset:         48
        .size:           8
        .value_kind:     by_value
      - .offset:         56
        .size:           8
        .value_kind:     by_value
      - .offset:         64
        .size:           8
        .value_kind:     by_value
      - .actual_access:  read_only
        .address_space:  global
        .offset:         72
        .size:           8
        .value_kind:     global_buffer
      - .actual_access:  read_only
        .address_space:  global
        .offset:         80
        .size:           8
        .value_kind:     global_buffer
    .group_segment_fixed_size: 0
    .kernarg_segment_align: 8
    .kernarg_segment_size: 88
    .language:       OpenCL C
    .language_version:
      - 2
      - 0
    .max_flat_workgroup_size: 1024
    .name:           _ZL38rocblas_dot_kernel_gfx942_float_doubleIlLi1024E16rocblas_bfloat16PKPKS0_fEviT2_lT_lS5_lS6_lPT3_PT1_
    .private_segment_fixed_size: 0
    .sgpr_count:     4
    .sgpr_spill_count: 0
    .symbol:         _ZL38rocblas_dot_kernel_gfx942_float_doubleIlLi1024E16rocblas_bfloat16PKPKS0_fEviT2_lT_lS5_lS6_lPT3_PT1_.kd
    .uniform_work_group_size: 1
    .uses_dynamic_stack: false
    .vgpr_count:     0
    .vgpr_spill_count: 0
    .wavefront_size: 64
  - .agpr_count:     0
    .args:
      - .offset:         0
        .size:           4
        .value_kind:     by_value
      - .actual_access:  read_only
        .address_space:  global
        .offset:         8
        .size:           8
        .value_kind:     global_buffer
      - .offset:         16
        .size:           8
        .value_kind:     by_value
      - .offset:         24
        .size:           8
        .value_kind:     by_value
      - .offset:         32
        .size:           8
        .value_kind:     by_value
      - .actual_access:  read_only
        .address_space:  global
        .offset:         40
        .size:           8
        .value_kind:     global_buffer
      - .offset:         48
        .size:           8
        .value_kind:     by_value
      - .offset:         56
        .size:           8
        .value_kind:     by_value
      - .offset:         64
        .size:           8
        .value_kind:     by_value
      - .offset:         72
        .size:           4
        .value_kind:     by_value
      - .actual_access:  write_only
        .address_space:  global
        .offset:         80
        .size:           8
        .value_kind:     global_buffer
      - .actual_access:  write_only
        .address_space:  global
        .offset:         88
        .size:           8
        .value_kind:     global_buffer
      - .offset:         96
        .size:           4
        .value_kind:     hidden_block_count_x
      - .offset:         100
        .size:           4
        .value_kind:     hidden_block_count_y
      - .offset:         104
        .size:           4
        .value_kind:     hidden_block_count_z
      - .offset:         108
        .size:           2
        .value_kind:     hidden_group_size_x
      - .offset:         110
        .size:           2
        .value_kind:     hidden_group_size_y
      - .offset:         112
        .size:           2
        .value_kind:     hidden_group_size_z
      - .offset:         114
        .size:           2
        .value_kind:     hidden_remainder_x
      - .offset:         116
        .size:           2
        .value_kind:     hidden_remainder_y
      - .offset:         118
        .size:           2
        .value_kind:     hidden_remainder_z
      - .offset:         136
        .size:           8
        .value_kind:     hidden_global_offset_x
      - .offset:         144
        .size:           8
        .value_kind:     hidden_global_offset_y
      - .offset:         152
        .size:           8
        .value_kind:     hidden_global_offset_z
      - .offset:         160
        .size:           2
        .value_kind:     hidden_grid_dims
    .group_segment_fixed_size: 256
    .kernarg_segment_align: 8
    .kernarg_segment_size: 352
    .language:       OpenCL C
    .language_version:
      - 2
      - 0
    .max_flat_workgroup_size: 512
    .name:           _ZL18rocblas_dot_kernelIlLb0ELi512ELi8ELb0E16rocblas_bfloat16PKPKS0_fEviT5_lT_lS5_lS6_liPT6_PT4_
    .private_segment_fixed_size: 0
    .sgpr_count:     30
    .sgpr_spill_count: 0
    .symbol:         _ZL18rocblas_dot_kernelIlLb0ELi512ELi8ELb0E16rocblas_bfloat16PKPKS0_fEviT5_lT_lS5_lS6_liPT6_PT4_.kd
    .uniform_work_group_size: 1
    .uses_dynamic_stack: false
    .vgpr_count:     11
    .vgpr_spill_count: 0
    .wavefront_size: 64
  - .agpr_count:     0
    .args:
      - .offset:         0
        .size:           4
        .value_kind:     by_value
      - .actual_access:  read_only
        .address_space:  global
        .offset:         8
        .size:           8
        .value_kind:     global_buffer
      - .offset:         16
        .size:           8
        .value_kind:     by_value
      - .offset:         24
        .size:           8
        .value_kind:     by_value
      - .offset:         32
        .size:           8
        .value_kind:     by_value
      - .offset:         40
        .size:           4
        .value_kind:     by_value
      - .actual_access:  write_only
        .address_space:  global
        .offset:         48
        .size:           8
        .value_kind:     global_buffer
      - .actual_access:  write_only
        .address_space:  global
        .offset:         56
        .size:           8
        .value_kind:     global_buffer
      - .offset:         64
        .size:           4
        .value_kind:     hidden_block_count_x
      - .offset:         68
        .size:           4
        .value_kind:     hidden_block_count_y
      - .offset:         72
        .size:           4
        .value_kind:     hidden_block_count_z
      - .offset:         76
        .size:           2
        .value_kind:     hidden_group_size_x
      - .offset:         78
        .size:           2
        .value_kind:     hidden_group_size_y
      - .offset:         80
        .size:           2
        .value_kind:     hidden_group_size_z
      - .offset:         82
        .size:           2
        .value_kind:     hidden_remainder_x
      - .offset:         84
        .size:           2
        .value_kind:     hidden_remainder_y
      - .offset:         86
        .size:           2
        .value_kind:     hidden_remainder_z
      - .offset:         104
        .size:           8
        .value_kind:     hidden_global_offset_x
      - .offset:         112
        .size:           8
        .value_kind:     hidden_global_offset_y
      - .offset:         120
        .size:           8
        .value_kind:     hidden_global_offset_z
      - .offset:         128
        .size:           2
        .value_kind:     hidden_grid_dims
    .group_segment_fixed_size: 256
    .kernarg_segment_align: 8
    .kernarg_segment_size: 320
    .language:       OpenCL C
    .language_version:
      - 2
      - 0
    .max_flat_workgroup_size: 512
    .name:           _ZL24rocblas_dot_kernel_magsqIlLb0ELi512ELi8ELb0E16rocblas_bfloat16PKPKS0_fEviT5_lT_liPT6_PT4_
    .private_segment_fixed_size: 0
    .sgpr_count:     28
    .sgpr_spill_count: 0
    .symbol:         _ZL24rocblas_dot_kernel_magsqIlLb0ELi512ELi8ELb0E16rocblas_bfloat16PKPKS0_fEviT5_lT_liPT6_PT4_.kd
    .uniform_work_group_size: 1
    .uses_dynamic_stack: false
    .vgpr_count:     9
    .vgpr_spill_count: 0
    .wavefront_size: 64
  - .agpr_count:     0
    .args:
      - .offset:         0
        .size:           4
        .value_kind:     by_value
      - .actual_access:  read_only
        .address_space:  global
        .offset:         8
        .size:           8
        .value_kind:     global_buffer
      - .offset:         16
        .size:           8
        .value_kind:     by_value
      - .offset:         24
        .size:           4
        .value_kind:     by_value
      - .offset:         32
        .size:           8
        .value_kind:     by_value
      - .actual_access:  read_only
        .address_space:  global
        .offset:         40
        .size:           8
        .value_kind:     global_buffer
      - .offset:         48
        .size:           8
        .value_kind:     by_value
      - .offset:         56
        .size:           4
        .value_kind:     by_value
      - .offset:         64
        .size:           8
        .value_kind:     by_value
      - .offset:         72
        .size:           4
        .value_kind:     by_value
      - .actual_access:  write_only
        .address_space:  global
        .offset:         80
        .size:           8
        .value_kind:     global_buffer
    .group_segment_fixed_size: 0
    .kernarg_segment_align: 8
    .kernarg_segment_size: 88
    .language:       OpenCL C
    .language_version:
      - 2
      - 0
    .max_flat_workgroup_size: 128
    .name:           _ZL28rocblas_dot_batched_4_kernelIiLi32ELi4ELb0EffPKPKfEviT5_lT_lS4_lS5_liPT4_
    .private_segment_fixed_size: 0
    .sgpr_count:     22
    .sgpr_spill_count: 0
    .symbol:         _ZL28rocblas_dot_batched_4_kernelIiLi32ELi4ELb0EffPKPKfEviT5_lT_lS4_lS5_liPT4_.kd
    .uniform_work_group_size: 1
    .uses_dynamic_stack: false
    .vgpr_count:     14
    .vgpr_spill_count: 0
    .wavefront_size: 64
  - .agpr_count:     0
    .args:
      - .offset:         0
        .size:           4
        .value_kind:     by_value
      - .actual_access:  read_only
        .address_space:  global
        .offset:         8
        .size:           8
        .value_kind:     global_buffer
      - .offset:         16
        .size:           8
        .value_kind:     by_value
      - .offset:         24
        .size:           4
        .value_kind:     by_value
      - .offset:         32
        .size:           8
        .value_kind:     by_value
      - .actual_access:  read_only
        .address_space:  global
        .offset:         40
        .size:           8
        .value_kind:     global_buffer
      - .offset:         48
        .size:           8
        .value_kind:     by_value
      - .offset:         56
        .size:           4
        .value_kind:     by_value
      - .offset:         64
        .size:           8
        .value_kind:     by_value
      - .offset:         72
        .size:           4
        .value_kind:     by_value
      - .actual_access:  write_only
        .address_space:  global
        .offset:         80
        .size:           8
        .value_kind:     global_buffer
    .group_segment_fixed_size: 0
    .kernarg_segment_align: 8
    .kernarg_segment_size: 88
    .language:       OpenCL C
    .language_version:
      - 2
      - 0
    .max_flat_workgroup_size: 256
    .name:           _ZL28rocblas_dot_batched_4_kernelIiLi64ELi4ELb0EffPKPKfEviT5_lT_lS4_lS5_liPT4_
    .private_segment_fixed_size: 0
    .sgpr_count:     22
    .sgpr_spill_count: 0
    .symbol:         _ZL28rocblas_dot_batched_4_kernelIiLi64ELi4ELb0EffPKPKfEviT5_lT_lS4_lS5_liPT4_.kd
    .uniform_work_group_size: 1
    .uses_dynamic_stack: false
    .vgpr_count:     14
    .vgpr_spill_count: 0
    .wavefront_size: 64
  - .agpr_count:     0
    .args:
      - .offset:         0
        .size:           4
        .value_kind:     by_value
      - .actual_access:  read_only
        .address_space:  global
        .offset:         8
        .size:           8
        .value_kind:     global_buffer
      - .offset:         16
        .size:           8
        .value_kind:     by_value
      - .offset:         24
        .size:           8
        .value_kind:     by_value
      - .actual_access:  read_only
        .address_space:  global
        .offset:         32
        .size:           8
        .value_kind:     global_buffer
      - .offset:         40
        .size:           8
        .value_kind:     by_value
      - .offset:         48
        .size:           8
        .value_kind:     by_value
      - .offset:         56
        .size:           4
        .value_kind:     by_value
      - .actual_access:  read_only
        .address_space:  global
        .offset:         64
        .size:           8
        .value_kind:     global_buffer
      - .actual_access:  write_only
        .address_space:  global
        .offset:         72
        .size:           8
        .value_kind:     global_buffer
    .group_segment_fixed_size: 256
    .kernarg_segment_align: 8
    .kernarg_segment_size: 80
    .language:       OpenCL C
    .language_version:
      - 2
      - 0
    .max_flat_workgroup_size: 1024
    .name:           _ZL26rocblas_dot_kernel_inc1by2ILb1ELi1024ELi32ELb0EfPKPKffEviT4_llS4_lliPT5_PT3_
    .private_segment_fixed_size: 0
    .sgpr_count:     28
    .sgpr_spill_count: 0
    .symbol:         _ZL26rocblas_dot_kernel_inc1by2ILb1ELi1024ELi32ELb0EfPKPKffEviT4_llS4_lliPT5_PT3_.kd
    .uniform_work_group_size: 1
    .uses_dynamic_stack: false
    .vgpr_count:     12
    .vgpr_spill_count: 0
    .wavefront_size: 64
  - .agpr_count:     0
    .args:
      - .offset:         0
        .size:           4
        .value_kind:     by_value
      - .actual_access:  read_only
        .address_space:  global
        .offset:         8
        .size:           8
        .value_kind:     global_buffer
      - .offset:         16
        .size:           8
        .value_kind:     by_value
      - .offset:         24
        .size:           4
        .value_kind:     by_value
      - .offset:         32
        .size:           8
        .value_kind:     by_value
      - .actual_access:  read_only
        .address_space:  global
        .offset:         40
        .size:           8
        .value_kind:     global_buffer
      - .offset:         48
        .size:           8
        .value_kind:     by_value
      - .offset:         56
        .size:           4
        .value_kind:     by_value
      - .offset:         64
        .size:           8
        .value_kind:     by_value
      - .offset:         72
        .size:           4
        .value_kind:     by_value
      - .actual_access:  read_only
        .address_space:  global
        .offset:         80
        .size:           8
        .value_kind:     global_buffer
      - .actual_access:  write_only
        .address_space:  global
        .offset:         88
        .size:           8
        .value_kind:     global_buffer
      - .offset:         96
        .size:           4
        .value_kind:     hidden_block_count_x
      - .offset:         100
        .size:           4
        .value_kind:     hidden_block_count_y
      - .offset:         104
        .size:           4
        .value_kind:     hidden_block_count_z
      - .offset:         108
        .size:           2
        .value_kind:     hidden_group_size_x
      - .offset:         110
        .size:           2
        .value_kind:     hidden_group_size_y
      - .offset:         112
        .size:           2
        .value_kind:     hidden_group_size_z
      - .offset:         114
        .size:           2
        .value_kind:     hidden_remainder_x
      - .offset:         116
        .size:           2
        .value_kind:     hidden_remainder_y
      - .offset:         118
        .size:           2
        .value_kind:     hidden_remainder_z
      - .offset:         136
        .size:           8
        .value_kind:     hidden_global_offset_x
      - .offset:         144
        .size:           8
        .value_kind:     hidden_global_offset_y
      - .offset:         152
        .size:           8
        .value_kind:     hidden_global_offset_z
      - .offset:         160
        .size:           2
        .value_kind:     hidden_grid_dims
    .group_segment_fixed_size: 256
    .kernarg_segment_align: 8
    .kernarg_segment_size: 352
    .language:       OpenCL C
    .language_version:
      - 2
      - 0
    .max_flat_workgroup_size: 1024
    .name:           _ZL18rocblas_dot_kernelIiLb1ELi1024ELi32ELb0EfPKPKffEviT5_lT_lS4_lS5_liPT6_PT4_
    .private_segment_fixed_size: 0
    .sgpr_count:     29
    .sgpr_spill_count: 0
    .symbol:         _ZL18rocblas_dot_kernelIiLb1ELi1024ELi32ELb0EfPKPKffEviT5_lT_lS4_lS5_liPT6_PT4_.kd
    .uniform_work_group_size: 1
    .uses_dynamic_stack: false
    .vgpr_count:     11
    .vgpr_spill_count: 0
    .wavefront_size: 64
  - .agpr_count:     0
    .args:
      - .offset:         0
        .size:           4
        .value_kind:     by_value
      - .actual_access:  read_only
        .address_space:  global
        .offset:         8
        .size:           8
        .value_kind:     global_buffer
      - .offset:         16
        .size:           8
        .value_kind:     by_value
      - .offset:         24
        .size:           4
        .value_kind:     by_value
      - .offset:         32
        .size:           8
        .value_kind:     by_value
      - .offset:         40
        .size:           4
        .value_kind:     by_value
      - .actual_access:  read_only
        .address_space:  global
        .offset:         48
        .size:           8
        .value_kind:     global_buffer
      - .actual_access:  write_only
        .address_space:  global
        .offset:         56
        .size:           8
        .value_kind:     global_buffer
      - .offset:         64
        .size:           4
        .value_kind:     hidden_block_count_x
      - .offset:         68
        .size:           4
        .value_kind:     hidden_block_count_y
      - .offset:         72
        .size:           4
        .value_kind:     hidden_block_count_z
      - .offset:         76
        .size:           2
        .value_kind:     hidden_group_size_x
      - .offset:         78
        .size:           2
        .value_kind:     hidden_group_size_y
      - .offset:         80
        .size:           2
        .value_kind:     hidden_group_size_z
      - .offset:         82
        .size:           2
        .value_kind:     hidden_remainder_x
      - .offset:         84
        .size:           2
        .value_kind:     hidden_remainder_y
      - .offset:         86
        .size:           2
        .value_kind:     hidden_remainder_z
      - .offset:         104
        .size:           8
        .value_kind:     hidden_global_offset_x
      - .offset:         112
        .size:           8
        .value_kind:     hidden_global_offset_y
      - .offset:         120
        .size:           8
        .value_kind:     hidden_global_offset_z
      - .offset:         128
        .size:           2
        .value_kind:     hidden_grid_dims
    .group_segment_fixed_size: 256
    .kernarg_segment_align: 8
    .kernarg_segment_size: 320
    .language:       OpenCL C
    .language_version:
      - 2
      - 0
    .max_flat_workgroup_size: 1024
    .name:           _ZL24rocblas_dot_kernel_magsqIiLb1ELi1024ELi32ELb0EfPKPKffEviT5_lT_liPT6_PT4_
    .private_segment_fixed_size: 0
    .sgpr_count:     24
    .sgpr_spill_count: 0
    .symbol:         _ZL24rocblas_dot_kernel_magsqIiLb1ELi1024ELi32ELb0EfPKPKffEviT5_lT_liPT6_PT4_.kd
    .uniform_work_group_size: 1
    .uses_dynamic_stack: false
    .vgpr_count:     10
    .vgpr_spill_count: 0
    .wavefront_size: 64
  - .agpr_count:     0
    .args:
      - .offset:         0
        .size:           4
        .value_kind:     by_value
      - .actual_access:  read_only
        .address_space:  global
        .offset:         8
        .size:           8
        .value_kind:     global_buffer
      - .offset:         16
        .size:           8
        .value_kind:     by_value
      - .offset:         24
        .size:           4
        .value_kind:     by_value
      - .offset:         32
        .size:           8
        .value_kind:     by_value
      - .actual_access:  read_only
        .address_space:  global
        .offset:         40
        .size:           8
        .value_kind:     global_buffer
      - .offset:         48
        .size:           8
        .value_kind:     by_value
      - .offset:         56
        .size:           4
        .value_kind:     by_value
      - .offset:         64
        .size:           8
        .value_kind:     by_value
      - .actual_access:  read_only
        .address_space:  global
        .offset:         72
        .size:           8
        .value_kind:     global_buffer
      - .actual_access:  read_only
        .address_space:  global
        .offset:         80
        .size:           8
        .value_kind:     global_buffer
    .group_segment_fixed_size: 0
    .kernarg_segment_align: 8
    .kernarg_segment_size: 88
    .language:       OpenCL C
    .language_version:
      - 2
      - 0
    .max_flat_workgroup_size: 1024
    .name:           _ZL38rocblas_dot_kernel_gfx942_float_doubleIiLi1024EfPKPKffEviT2_lT_lS4_lS5_lPT3_PT1_
    .private_segment_fixed_size: 0
    .sgpr_count:     4
    .sgpr_spill_count: 0
    .symbol:         _ZL38rocblas_dot_kernel_gfx942_float_doubleIiLi1024EfPKPKffEviT2_lT_lS4_lS5_lPT3_PT1_.kd
    .uniform_work_group_size: 1
    .uses_dynamic_stack: false
    .vgpr_count:     0
    .vgpr_spill_count: 0
    .wavefront_size: 64
  - .agpr_count:     0
    .args:
      - .offset:         0
        .size:           4
        .value_kind:     by_value
      - .actual_access:  read_only
        .address_space:  global
        .offset:         8
        .size:           8
        .value_kind:     global_buffer
      - .offset:         16
        .size:           8
        .value_kind:     by_value
      - .offset:         24
        .size:           8
        .value_kind:     by_value
      - .actual_access:  read_only
        .address_space:  global
        .offset:         32
        .size:           8
        .value_kind:     global_buffer
      - .offset:         40
        .size:           8
        .value_kind:     by_value
      - .offset:         48
        .size:           8
        .value_kind:     by_value
      - .offset:         56
        .size:           4
        .value_kind:     by_value
      - .actual_access:  write_only
        .address_space:  global
        .offset:         64
        .size:           8
        .value_kind:     global_buffer
      - .actual_access:  write_only
        .address_space:  global
        .offset:         72
        .size:           8
        .value_kind:     global_buffer
      - .offset:         80
        .size:           4
        .value_kind:     hidden_block_count_x
      - .offset:         84
        .size:           4
        .value_kind:     hidden_block_count_y
      - .offset:         88
        .size:           4
        .value_kind:     hidden_block_count_z
      - .offset:         92
        .size:           2
        .value_kind:     hidden_group_size_x
      - .offset:         94
        .size:           2
        .value_kind:     hidden_group_size_y
      - .offset:         96
        .size:           2
        .value_kind:     hidden_group_size_z
      - .offset:         98
        .size:           2
        .value_kind:     hidden_remainder_x
      - .offset:         100
        .size:           2
        .value_kind:     hidden_remainder_y
      - .offset:         102
        .size:           2
        .value_kind:     hidden_remainder_z
      - .offset:         120
        .size:           8
        .value_kind:     hidden_global_offset_x
      - .offset:         128
        .size:           8
        .value_kind:     hidden_global_offset_y
      - .offset:         136
        .size:           8
        .value_kind:     hidden_global_offset_z
      - .offset:         144
        .size:           2
        .value_kind:     hidden_grid_dims
    .group_segment_fixed_size: 256
    .kernarg_segment_align: 8
    .kernarg_segment_size: 336
    .language:       OpenCL C
    .language_version:
      - 2
      - 0
    .max_flat_workgroup_size: 512
    .name:           _ZL23rocblas_dot_kernel_inc1ILb0ELi512ELi4ELb0EfPKPKffEviT4_llS4_lliPT5_PT3_
    .private_segment_fixed_size: 0
    .sgpr_count:     32
    .sgpr_spill_count: 0
    .symbol:         _ZL23rocblas_dot_kernel_inc1ILb0ELi512ELi4ELb0EfPKPKffEviT4_llS4_lliPT5_PT3_.kd
    .uniform_work_group_size: 1
    .uses_dynamic_stack: false
    .vgpr_count:     14
    .vgpr_spill_count: 0
    .wavefront_size: 64
  - .agpr_count:     0
    .args:
      - .offset:         0
        .size:           4
        .value_kind:     by_value
      - .actual_access:  read_only
        .address_space:  global
        .offset:         8
        .size:           8
        .value_kind:     global_buffer
      - .offset:         16
        .size:           8
        .value_kind:     by_value
      - .offset:         24
        .size:           4
        .value_kind:     by_value
      - .offset:         32
        .size:           8
        .value_kind:     by_value
      - .actual_access:  read_only
        .address_space:  global
        .offset:         40
        .size:           8
        .value_kind:     global_buffer
      - .offset:         48
        .size:           8
        .value_kind:     by_value
      - .offset:         56
        .size:           4
        .value_kind:     by_value
      - .offset:         64
        .size:           8
        .value_kind:     by_value
      - .offset:         72
        .size:           4
        .value_kind:     by_value
      - .actual_access:  write_only
        .address_space:  global
        .offset:         80
        .size:           8
        .value_kind:     global_buffer
      - .actual_access:  write_only
        .address_space:  global
        .offset:         88
        .size:           8
        .value_kind:     global_buffer
      - .offset:         96
        .size:           4
        .value_kind:     hidden_block_count_x
      - .offset:         100
        .size:           4
        .value_kind:     hidden_block_count_y
      - .offset:         104
        .size:           4
        .value_kind:     hidden_block_count_z
      - .offset:         108
        .size:           2
        .value_kind:     hidden_group_size_x
      - .offset:         110
        .size:           2
        .value_kind:     hidden_group_size_y
      - .offset:         112
        .size:           2
        .value_kind:     hidden_group_size_z
      - .offset:         114
        .size:           2
        .value_kind:     hidden_remainder_x
      - .offset:         116
        .size:           2
        .value_kind:     hidden_remainder_y
      - .offset:         118
        .size:           2
        .value_kind:     hidden_remainder_z
      - .offset:         136
        .size:           8
        .value_kind:     hidden_global_offset_x
      - .offset:         144
        .size:           8
        .value_kind:     hidden_global_offset_y
      - .offset:         152
        .size:           8
        .value_kind:     hidden_global_offset_z
      - .offset:         160
        .size:           2
        .value_kind:     hidden_grid_dims
    .group_segment_fixed_size: 256
    .kernarg_segment_align: 8
    .kernarg_segment_size: 352
    .language:       OpenCL C
    .language_version:
      - 2
      - 0
    .max_flat_workgroup_size: 512
    .name:           _ZL18rocblas_dot_kernelIiLb0ELi512ELi4ELb0EfPKPKffEviT5_lT_lS4_lS5_liPT6_PT4_
    .private_segment_fixed_size: 0
    .sgpr_count:     32
    .sgpr_spill_count: 0
    .symbol:         _ZL18rocblas_dot_kernelIiLb0ELi512ELi4ELb0EfPKPKffEviT5_lT_lS4_lS5_liPT6_PT4_.kd
    .uniform_work_group_size: 1
    .uses_dynamic_stack: false
    .vgpr_count:     11
    .vgpr_spill_count: 0
    .wavefront_size: 64
  - .agpr_count:     0
    .args:
      - .offset:         0
        .size:           4
        .value_kind:     by_value
      - .actual_access:  read_only
        .address_space:  global
        .offset:         8
        .size:           8
        .value_kind:     global_buffer
      - .offset:         16
        .size:           8
        .value_kind:     by_value
      - .offset:         24
        .size:           4
        .value_kind:     by_value
      - .offset:         32
        .size:           8
        .value_kind:     by_value
      - .offset:         40
        .size:           4
        .value_kind:     by_value
      - .actual_access:  write_only
        .address_space:  global
        .offset:         48
        .size:           8
        .value_kind:     global_buffer
      - .actual_access:  write_only
        .address_space:  global
        .offset:         56
        .size:           8
        .value_kind:     global_buffer
      - .offset:         64
        .size:           4
        .value_kind:     hidden_block_count_x
      - .offset:         68
        .size:           4
        .value_kind:     hidden_block_count_y
      - .offset:         72
        .size:           4
        .value_kind:     hidden_block_count_z
      - .offset:         76
        .size:           2
        .value_kind:     hidden_group_size_x
      - .offset:         78
        .size:           2
        .value_kind:     hidden_group_size_y
      - .offset:         80
        .size:           2
        .value_kind:     hidden_group_size_z
      - .offset:         82
        .size:           2
        .value_kind:     hidden_remainder_x
      - .offset:         84
        .size:           2
        .value_kind:     hidden_remainder_y
      - .offset:         86
        .size:           2
        .value_kind:     hidden_remainder_z
      - .offset:         104
        .size:           8
        .value_kind:     hidden_global_offset_x
      - .offset:         112
        .size:           8
        .value_kind:     hidden_global_offset_y
      - .offset:         120
        .size:           8
        .value_kind:     hidden_global_offset_z
      - .offset:         128
        .size:           2
        .value_kind:     hidden_grid_dims
    .group_segment_fixed_size: 256
    .kernarg_segment_align: 8
    .kernarg_segment_size: 320
    .language:       OpenCL C
    .language_version:
      - 2
      - 0
    .max_flat_workgroup_size: 512
    .name:           _ZL24rocblas_dot_kernel_magsqIiLb0ELi512ELi4ELb0EfPKPKffEviT5_lT_liPT6_PT4_
    .private_segment_fixed_size: 0
    .sgpr_count:     28
    .sgpr_spill_count: 0
    .symbol:         _ZL24rocblas_dot_kernel_magsqIiLb0ELi512ELi4ELb0EfPKPKffEviT5_lT_liPT6_PT4_.kd
    .uniform_work_group_size: 1
    .uses_dynamic_stack: false
    .vgpr_count:     9
    .vgpr_spill_count: 0
    .wavefront_size: 64
  - .agpr_count:     0
    .args:
      - .offset:         0
        .size:           4
        .value_kind:     by_value
      - .actual_access:  read_only
        .address_space:  global
        .offset:         8
        .size:           8
        .value_kind:     global_buffer
      - .offset:         16
        .size:           8
        .value_kind:     by_value
      - .offset:         24
        .size:           8
        .value_kind:     by_value
      - .offset:         32
        .size:           8
        .value_kind:     by_value
      - .actual_access:  read_only
        .address_space:  global
        .offset:         40
        .size:           8
        .value_kind:     global_buffer
      - .offset:         48
        .size:           8
        .value_kind:     by_value
      - .offset:         56
        .size:           8
        .value_kind:     by_value
      - .offset:         64
        .size:           8
        .value_kind:     by_value
      - .offset:         72
        .size:           4
        .value_kind:     by_value
      - .actual_access:  write_only
        .address_space:  global
        .offset:         80
        .size:           8
        .value_kind:     global_buffer
    .group_segment_fixed_size: 0
    .kernarg_segment_align: 8
    .kernarg_segment_size: 88
    .language:       OpenCL C
    .language_version:
      - 2
      - 0
    .max_flat_workgroup_size: 128
    .name:           _ZL28rocblas_dot_batched_4_kernelIlLi32ELi4ELb0EffPKPKfEviT5_lT_lS4_lS5_liPT4_
    .private_segment_fixed_size: 0
    .sgpr_count:     24
    .sgpr_spill_count: 0
    .symbol:         _ZL28rocblas_dot_batched_4_kernelIlLi32ELi4ELb0EffPKPKfEviT5_lT_lS4_lS5_liPT4_.kd
    .uniform_work_group_size: 1
    .uses_dynamic_stack: false
    .vgpr_count:     20
    .vgpr_spill_count: 0
    .wavefront_size: 64
  - .agpr_count:     0
    .args:
      - .offset:         0
        .size:           4
        .value_kind:     by_value
      - .actual_access:  read_only
        .address_space:  global
        .offset:         8
        .size:           8
        .value_kind:     global_buffer
      - .offset:         16
        .size:           8
        .value_kind:     by_value
      - .offset:         24
        .size:           8
        .value_kind:     by_value
      - .offset:         32
        .size:           8
        .value_kind:     by_value
      - .actual_access:  read_only
        .address_space:  global
        .offset:         40
        .size:           8
        .value_kind:     global_buffer
      - .offset:         48
        .size:           8
        .value_kind:     by_value
      - .offset:         56
        .size:           8
        .value_kind:     by_value
      - .offset:         64
        .size:           8
        .value_kind:     by_value
      - .offset:         72
        .size:           4
        .value_kind:     by_value
      - .actual_access:  write_only
        .address_space:  global
        .offset:         80
        .size:           8
        .value_kind:     global_buffer
    .group_segment_fixed_size: 0
    .kernarg_segment_align: 8
    .kernarg_segment_size: 88
    .language:       OpenCL C
    .language_version:
      - 2
      - 0
    .max_flat_workgroup_size: 256
    .name:           _ZL28rocblas_dot_batched_4_kernelIlLi64ELi4ELb0EffPKPKfEviT5_lT_lS4_lS5_liPT4_
    .private_segment_fixed_size: 0
    .sgpr_count:     24
    .sgpr_spill_count: 0
    .symbol:         _ZL28rocblas_dot_batched_4_kernelIlLi64ELi4ELb0EffPKPKfEviT5_lT_lS4_lS5_liPT4_.kd
    .uniform_work_group_size: 1
    .uses_dynamic_stack: false
    .vgpr_count:     20
    .vgpr_spill_count: 0
    .wavefront_size: 64
  - .agpr_count:     0
    .args:
      - .offset:         0
        .size:           4
        .value_kind:     by_value
      - .actual_access:  read_only
        .address_space:  global
        .offset:         8
        .size:           8
        .value_kind:     global_buffer
      - .offset:         16
        .size:           8
        .value_kind:     by_value
      - .offset:         24
        .size:           8
        .value_kind:     by_value
      - .offset:         32
        .size:           8
        .value_kind:     by_value
      - .actual_access:  read_only
        .address_space:  global
        .offset:         40
        .size:           8
        .value_kind:     global_buffer
      - .offset:         48
        .size:           8
        .value_kind:     by_value
      - .offset:         56
        .size:           8
        .value_kind:     by_value
      - .offset:         64
        .size:           8
        .value_kind:     by_value
      - .offset:         72
        .size:           4
        .value_kind:     by_value
      - .actual_access:  read_only
        .address_space:  global
        .offset:         80
        .size:           8
        .value_kind:     global_buffer
      - .actual_access:  write_only
        .address_space:  global
        .offset:         88
        .size:           8
        .value_kind:     global_buffer
      - .offset:         96
        .size:           4
        .value_kind:     hidden_block_count_x
      - .offset:         100
        .size:           4
        .value_kind:     hidden_block_count_y
      - .offset:         104
        .size:           4
        .value_kind:     hidden_block_count_z
      - .offset:         108
        .size:           2
        .value_kind:     hidden_group_size_x
      - .offset:         110
        .size:           2
        .value_kind:     hidden_group_size_y
      - .offset:         112
        .size:           2
        .value_kind:     hidden_group_size_z
      - .offset:         114
        .size:           2
        .value_kind:     hidden_remainder_x
      - .offset:         116
        .size:           2
        .value_kind:     hidden_remainder_y
      - .offset:         118
        .size:           2
        .value_kind:     hidden_remainder_z
      - .offset:         136
        .size:           8
        .value_kind:     hidden_global_offset_x
      - .offset:         144
        .size:           8
        .value_kind:     hidden_global_offset_y
      - .offset:         152
        .size:           8
        .value_kind:     hidden_global_offset_z
      - .offset:         160
        .size:           2
        .value_kind:     hidden_grid_dims
    .group_segment_fixed_size: 256
    .kernarg_segment_align: 8
    .kernarg_segment_size: 352
    .language:       OpenCL C
    .language_version:
      - 2
      - 0
    .max_flat_workgroup_size: 1024
    .name:           _ZL18rocblas_dot_kernelIlLb1ELi1024ELi32ELb0EfPKPKffEviT5_lT_lS4_lS5_liPT6_PT4_
    .private_segment_fixed_size: 0
    .sgpr_count:     30
    .sgpr_spill_count: 0
    .symbol:         _ZL18rocblas_dot_kernelIlLb1ELi1024ELi32ELb0EfPKPKffEviT5_lT_lS4_lS5_liPT6_PT4_.kd
    .uniform_work_group_size: 1
    .uses_dynamic_stack: false
    .vgpr_count:     11
    .vgpr_spill_count: 0
    .wavefront_size: 64
  - .agpr_count:     0
    .args:
      - .offset:         0
        .size:           4
        .value_kind:     by_value
      - .actual_access:  read_only
        .address_space:  global
        .offset:         8
        .size:           8
        .value_kind:     global_buffer
      - .offset:         16
        .size:           8
        .value_kind:     by_value
      - .offset:         24
        .size:           8
        .value_kind:     by_value
      - .offset:         32
        .size:           8
        .value_kind:     by_value
      - .offset:         40
        .size:           4
        .value_kind:     by_value
      - .actual_access:  read_only
        .address_space:  global
        .offset:         48
        .size:           8
        .value_kind:     global_buffer
      - .actual_access:  write_only
        .address_space:  global
        .offset:         56
        .size:           8
        .value_kind:     global_buffer
      - .offset:         64
        .size:           4
        .value_kind:     hidden_block_count_x
      - .offset:         68
        .size:           4
        .value_kind:     hidden_block_count_y
      - .offset:         72
        .size:           4
        .value_kind:     hidden_block_count_z
      - .offset:         76
        .size:           2
        .value_kind:     hidden_group_size_x
      - .offset:         78
        .size:           2
        .value_kind:     hidden_group_size_y
      - .offset:         80
        .size:           2
        .value_kind:     hidden_group_size_z
      - .offset:         82
        .size:           2
        .value_kind:     hidden_remainder_x
      - .offset:         84
        .size:           2
        .value_kind:     hidden_remainder_y
      - .offset:         86
        .size:           2
        .value_kind:     hidden_remainder_z
      - .offset:         104
        .size:           8
        .value_kind:     hidden_global_offset_x
      - .offset:         112
        .size:           8
        .value_kind:     hidden_global_offset_y
      - .offset:         120
        .size:           8
        .value_kind:     hidden_global_offset_z
      - .offset:         128
        .size:           2
        .value_kind:     hidden_grid_dims
    .group_segment_fixed_size: 256
    .kernarg_segment_align: 8
    .kernarg_segment_size: 320
    .language:       OpenCL C
    .language_version:
      - 2
      - 0
    .max_flat_workgroup_size: 1024
    .name:           _ZL24rocblas_dot_kernel_magsqIlLb1ELi1024ELi32ELb0EfPKPKffEviT5_lT_liPT6_PT4_
    .private_segment_fixed_size: 0
    .sgpr_count:     24
    .sgpr_spill_count: 0
    .symbol:         _ZL24rocblas_dot_kernel_magsqIlLb1ELi1024ELi32ELb0EfPKPKffEviT5_lT_liPT6_PT4_.kd
    .uniform_work_group_size: 1
    .uses_dynamic_stack: false
    .vgpr_count:     10
    .vgpr_spill_count: 0
    .wavefront_size: 64
  - .agpr_count:     0
    .args:
      - .offset:         0
        .size:           4
        .value_kind:     by_value
      - .actual_access:  read_only
        .address_space:  global
        .offset:         8
        .size:           8
        .value_kind:     global_buffer
      - .offset:         16
        .size:           8
        .value_kind:     by_value
      - .offset:         24
        .size:           8
        .value_kind:     by_value
      - .offset:         32
        .size:           8
        .value_kind:     by_value
      - .actual_access:  read_only
        .address_space:  global
        .offset:         40
        .size:           8
        .value_kind:     global_buffer
      - .offset:         48
        .size:           8
        .value_kind:     by_value
      - .offset:         56
        .size:           8
        .value_kind:     by_value
      - .offset:         64
        .size:           8
        .value_kind:     by_value
      - .actual_access:  read_only
        .address_space:  global
        .offset:         72
        .size:           8
        .value_kind:     global_buffer
      - .actual_access:  read_only
        .address_space:  global
        .offset:         80
        .size:           8
        .value_kind:     global_buffer
    .group_segment_fixed_size: 0
    .kernarg_segment_align: 8
    .kernarg_segment_size: 88
    .language:       OpenCL C
    .language_version:
      - 2
      - 0
    .max_flat_workgroup_size: 1024
    .name:           _ZL38rocblas_dot_kernel_gfx942_float_doubleIlLi1024EfPKPKffEviT2_lT_lS4_lS5_lPT3_PT1_
    .private_segment_fixed_size: 0
    .sgpr_count:     4
    .sgpr_spill_count: 0
    .symbol:         _ZL38rocblas_dot_kernel_gfx942_float_doubleIlLi1024EfPKPKffEviT2_lT_lS4_lS5_lPT3_PT1_.kd
    .uniform_work_group_size: 1
    .uses_dynamic_stack: false
    .vgpr_count:     0
    .vgpr_spill_count: 0
    .wavefront_size: 64
  - .agpr_count:     0
    .args:
      - .offset:         0
        .size:           4
        .value_kind:     by_value
      - .actual_access:  read_only
        .address_space:  global
        .offset:         8
        .size:           8
        .value_kind:     global_buffer
      - .offset:         16
        .size:           8
        .value_kind:     by_value
      - .offset:         24
        .size:           8
        .value_kind:     by_value
      - .offset:         32
        .size:           8
        .value_kind:     by_value
      - .actual_access:  read_only
        .address_space:  global
        .offset:         40
        .size:           8
        .value_kind:     global_buffer
      - .offset:         48
        .size:           8
        .value_kind:     by_value
      - .offset:         56
        .size:           8
        .value_kind:     by_value
      - .offset:         64
        .size:           8
        .value_kind:     by_value
      - .offset:         72
        .size:           4
        .value_kind:     by_value
      - .actual_access:  write_only
        .address_space:  global
        .offset:         80
        .size:           8
        .value_kind:     global_buffer
      - .actual_access:  write_only
        .address_space:  global
        .offset:         88
        .size:           8
        .value_kind:     global_buffer
      - .offset:         96
        .size:           4
        .value_kind:     hidden_block_count_x
      - .offset:         100
        .size:           4
        .value_kind:     hidden_block_count_y
      - .offset:         104
        .size:           4
        .value_kind:     hidden_block_count_z
      - .offset:         108
        .size:           2
        .value_kind:     hidden_group_size_x
      - .offset:         110
        .size:           2
        .value_kind:     hidden_group_size_y
      - .offset:         112
        .size:           2
        .value_kind:     hidden_group_size_z
      - .offset:         114
        .size:           2
        .value_kind:     hidden_remainder_x
      - .offset:         116
        .size:           2
        .value_kind:     hidden_remainder_y
      - .offset:         118
        .size:           2
        .value_kind:     hidden_remainder_z
      - .offset:         136
        .size:           8
        .value_kind:     hidden_global_offset_x
      - .offset:         144
        .size:           8
        .value_kind:     hidden_global_offset_y
      - .offset:         152
        .size:           8
        .value_kind:     hidden_global_offset_z
      - .offset:         160
        .size:           2
        .value_kind:     hidden_grid_dims
    .group_segment_fixed_size: 256
    .kernarg_segment_align: 8
    .kernarg_segment_size: 352
    .language:       OpenCL C
    .language_version:
      - 2
      - 0
    .max_flat_workgroup_size: 512
    .name:           _ZL18rocblas_dot_kernelIlLb0ELi512ELi4ELb0EfPKPKffEviT5_lT_lS4_lS5_liPT6_PT4_
    .private_segment_fixed_size: 0
    .sgpr_count:     30
    .sgpr_spill_count: 0
    .symbol:         _ZL18rocblas_dot_kernelIlLb0ELi512ELi4ELb0EfPKPKffEviT5_lT_lS4_lS5_liPT6_PT4_.kd
    .uniform_work_group_size: 1
    .uses_dynamic_stack: false
    .vgpr_count:     11
    .vgpr_spill_count: 0
    .wavefront_size: 64
  - .agpr_count:     0
    .args:
      - .offset:         0
        .size:           4
        .value_kind:     by_value
      - .actual_access:  read_only
        .address_space:  global
        .offset:         8
        .size:           8
        .value_kind:     global_buffer
      - .offset:         16
        .size:           8
        .value_kind:     by_value
      - .offset:         24
        .size:           8
        .value_kind:     by_value
      - .offset:         32
        .size:           8
        .value_kind:     by_value
      - .offset:         40
        .size:           4
        .value_kind:     by_value
      - .actual_access:  write_only
        .address_space:  global
        .offset:         48
        .size:           8
        .value_kind:     global_buffer
      - .actual_access:  write_only
        .address_space:  global
        .offset:         56
        .size:           8
        .value_kind:     global_buffer
      - .offset:         64
        .size:           4
        .value_kind:     hidden_block_count_x
      - .offset:         68
        .size:           4
        .value_kind:     hidden_block_count_y
      - .offset:         72
        .size:           4
        .value_kind:     hidden_block_count_z
      - .offset:         76
        .size:           2
        .value_kind:     hidden_group_size_x
      - .offset:         78
        .size:           2
        .value_kind:     hidden_group_size_y
      - .offset:         80
        .size:           2
        .value_kind:     hidden_group_size_z
      - .offset:         82
        .size:           2
        .value_kind:     hidden_remainder_x
      - .offset:         84
        .size:           2
        .value_kind:     hidden_remainder_y
      - .offset:         86
        .size:           2
        .value_kind:     hidden_remainder_z
      - .offset:         104
        .size:           8
        .value_kind:     hidden_global_offset_x
      - .offset:         112
        .size:           8
        .value_kind:     hidden_global_offset_y
      - .offset:         120
        .size:           8
        .value_kind:     hidden_global_offset_z
      - .offset:         128
        .size:           2
        .value_kind:     hidden_grid_dims
    .group_segment_fixed_size: 256
    .kernarg_segment_align: 8
    .kernarg_segment_size: 320
    .language:       OpenCL C
    .language_version:
      - 2
      - 0
    .max_flat_workgroup_size: 512
    .name:           _ZL24rocblas_dot_kernel_magsqIlLb0ELi512ELi4ELb0EfPKPKffEviT5_lT_liPT6_PT4_
    .private_segment_fixed_size: 0
    .sgpr_count:     28
    .sgpr_spill_count: 0
    .symbol:         _ZL24rocblas_dot_kernel_magsqIlLb0ELi512ELi4ELb0EfPKPKffEviT5_lT_liPT6_PT4_.kd
    .uniform_work_group_size: 1
    .uses_dynamic_stack: false
    .vgpr_count:     9
    .vgpr_spill_count: 0
    .wavefront_size: 64
  - .agpr_count:     0
    .args:
      - .offset:         0
        .size:           4
        .value_kind:     by_value
      - .actual_access:  read_only
        .address_space:  global
        .offset:         8
        .size:           8
        .value_kind:     global_buffer
      - .offset:         16
        .size:           8
        .value_kind:     by_value
      - .offset:         24
        .size:           4
        .value_kind:     by_value
      - .offset:         32
        .size:           8
        .value_kind:     by_value
      - .actual_access:  read_only
        .address_space:  global
        .offset:         40
        .size:           8
        .value_kind:     global_buffer
      - .offset:         48
        .size:           8
        .value_kind:     by_value
      - .offset:         56
        .size:           4
        .value_kind:     by_value
      - .offset:         64
        .size:           8
        .value_kind:     by_value
      - .offset:         72
        .size:           4
        .value_kind:     by_value
      - .actual_access:  write_only
        .address_space:  global
        .offset:         80
        .size:           8
        .value_kind:     global_buffer
    .group_segment_fixed_size: 0
    .kernarg_segment_align: 8
    .kernarg_segment_size: 88
    .language:       OpenCL C
    .language_version:
      - 2
      - 0
    .max_flat_workgroup_size: 128
    .name:           _ZL28rocblas_dot_batched_4_kernelIiLi32ELi4ELb0EddPKPKdEviT5_lT_lS4_lS5_liPT4_
    .private_segment_fixed_size: 0
    .sgpr_count:     22
    .sgpr_spill_count: 0
    .symbol:         _ZL28rocblas_dot_batched_4_kernelIiLi32ELi4ELb0EddPKPKdEviT5_lT_lS4_lS5_liPT4_.kd
    .uniform_work_group_size: 1
    .uses_dynamic_stack: false
    .vgpr_count:     16
    .vgpr_spill_count: 0
    .wavefront_size: 64
  - .agpr_count:     0
    .args:
      - .offset:         0
        .size:           4
        .value_kind:     by_value
      - .actual_access:  read_only
        .address_space:  global
        .offset:         8
        .size:           8
        .value_kind:     global_buffer
      - .offset:         16
        .size:           8
        .value_kind:     by_value
      - .offset:         24
        .size:           4
        .value_kind:     by_value
      - .offset:         32
        .size:           8
        .value_kind:     by_value
      - .actual_access:  read_only
        .address_space:  global
        .offset:         40
        .size:           8
        .value_kind:     global_buffer
      - .offset:         48
        .size:           8
        .value_kind:     by_value
      - .offset:         56
        .size:           4
        .value_kind:     by_value
      - .offset:         64
        .size:           8
        .value_kind:     by_value
      - .offset:         72
        .size:           4
        .value_kind:     by_value
      - .actual_access:  write_only
        .address_space:  global
        .offset:         80
        .size:           8
        .value_kind:     global_buffer
    .group_segment_fixed_size: 0
    .kernarg_segment_align: 8
    .kernarg_segment_size: 88
    .language:       OpenCL C
    .language_version:
      - 2
      - 0
    .max_flat_workgroup_size: 256
    .name:           _ZL28rocblas_dot_batched_4_kernelIiLi64ELi4ELb0EddPKPKdEviT5_lT_lS4_lS5_liPT4_
    .private_segment_fixed_size: 0
    .sgpr_count:     22
    .sgpr_spill_count: 0
    .symbol:         _ZL28rocblas_dot_batched_4_kernelIiLi64ELi4ELb0EddPKPKdEviT5_lT_lS4_lS5_liPT4_.kd
    .uniform_work_group_size: 1
    .uses_dynamic_stack: false
    .vgpr_count:     16
    .vgpr_spill_count: 0
    .wavefront_size: 64
  - .agpr_count:     0
    .args:
      - .offset:         0
        .size:           4
        .value_kind:     by_value
      - .actual_access:  read_only
        .address_space:  global
        .offset:         8
        .size:           8
        .value_kind:     global_buffer
      - .offset:         16
        .size:           8
        .value_kind:     by_value
      - .offset:         24
        .size:           8
        .value_kind:     by_value
      - .actual_access:  read_only
        .address_space:  global
        .offset:         32
        .size:           8
        .value_kind:     global_buffer
      - .offset:         40
        .size:           8
        .value_kind:     by_value
      - .offset:         48
        .size:           8
        .value_kind:     by_value
      - .offset:         56
        .size:           4
        .value_kind:     by_value
      - .actual_access:  read_only
        .address_space:  global
        .offset:         64
        .size:           8
        .value_kind:     global_buffer
      - .actual_access:  write_only
        .address_space:  global
        .offset:         72
        .size:           8
        .value_kind:     global_buffer
    .group_segment_fixed_size: 512
    .kernarg_segment_align: 8
    .kernarg_segment_size: 80
    .language:       OpenCL C
    .language_version:
      - 2
      - 0
    .max_flat_workgroup_size: 1024
    .name:           _ZL26rocblas_dot_kernel_inc1by2ILb1ELi1024ELi32ELb0EdPKPKddEviT4_llS4_lliPT5_PT3_
    .private_segment_fixed_size: 0
    .sgpr_count:     24
    .sgpr_spill_count: 0
    .symbol:         _ZL26rocblas_dot_kernel_inc1by2ILb1ELi1024ELi32ELb0EdPKPKddEviT4_llS4_lliPT5_PT3_.kd
    .uniform_work_group_size: 1
    .uses_dynamic_stack: false
    .vgpr_count:     12
    .vgpr_spill_count: 0
    .wavefront_size: 64
  - .agpr_count:     0
    .args:
      - .offset:         0
        .size:           4
        .value_kind:     by_value
      - .actual_access:  read_only
        .address_space:  global
        .offset:         8
        .size:           8
        .value_kind:     global_buffer
      - .offset:         16
        .size:           8
        .value_kind:     by_value
      - .offset:         24
        .size:           4
        .value_kind:     by_value
      - .offset:         32
        .size:           8
        .value_kind:     by_value
      - .actual_access:  read_only
        .address_space:  global
        .offset:         40
        .size:           8
        .value_kind:     global_buffer
      - .offset:         48
        .size:           8
        .value_kind:     by_value
      - .offset:         56
        .size:           4
        .value_kind:     by_value
      - .offset:         64
        .size:           8
        .value_kind:     by_value
      - .offset:         72
        .size:           4
        .value_kind:     by_value
      - .actual_access:  read_only
        .address_space:  global
        .offset:         80
        .size:           8
        .value_kind:     global_buffer
      - .actual_access:  write_only
        .address_space:  global
        .offset:         88
        .size:           8
        .value_kind:     global_buffer
      - .offset:         96
        .size:           4
        .value_kind:     hidden_block_count_x
      - .offset:         100
        .size:           4
        .value_kind:     hidden_block_count_y
      - .offset:         104
        .size:           4
        .value_kind:     hidden_block_count_z
      - .offset:         108
        .size:           2
        .value_kind:     hidden_group_size_x
      - .offset:         110
        .size:           2
        .value_kind:     hidden_group_size_y
      - .offset:         112
        .size:           2
        .value_kind:     hidden_group_size_z
      - .offset:         114
        .size:           2
        .value_kind:     hidden_remainder_x
      - .offset:         116
        .size:           2
        .value_kind:     hidden_remainder_y
      - .offset:         118
        .size:           2
        .value_kind:     hidden_remainder_z
      - .offset:         136
        .size:           8
        .value_kind:     hidden_global_offset_x
      - .offset:         144
        .size:           8
        .value_kind:     hidden_global_offset_y
      - .offset:         152
        .size:           8
        .value_kind:     hidden_global_offset_z
      - .offset:         160
        .size:           2
        .value_kind:     hidden_grid_dims
    .group_segment_fixed_size: 512
    .kernarg_segment_align: 8
    .kernarg_segment_size: 352
    .language:       OpenCL C
    .language_version:
      - 2
      - 0
    .max_flat_workgroup_size: 1024
    .name:           _ZL18rocblas_dot_kernelIiLb1ELi1024ELi32ELb0EdPKPKddEviT5_lT_lS4_lS5_liPT6_PT4_
    .private_segment_fixed_size: 0
    .sgpr_count:     29
    .sgpr_spill_count: 0
    .symbol:         _ZL18rocblas_dot_kernelIiLb1ELi1024ELi32ELb0EdPKPKddEviT5_lT_lS4_lS5_liPT6_PT4_.kd
    .uniform_work_group_size: 1
    .uses_dynamic_stack: false
    .vgpr_count:     14
    .vgpr_spill_count: 0
    .wavefront_size: 64
  - .agpr_count:     0
    .args:
      - .offset:         0
        .size:           4
        .value_kind:     by_value
      - .actual_access:  read_only
        .address_space:  global
        .offset:         8
        .size:           8
        .value_kind:     global_buffer
      - .offset:         16
        .size:           8
        .value_kind:     by_value
      - .offset:         24
        .size:           4
        .value_kind:     by_value
      - .offset:         32
        .size:           8
        .value_kind:     by_value
      - .offset:         40
        .size:           4
        .value_kind:     by_value
      - .actual_access:  read_only
        .address_space:  global
        .offset:         48
        .size:           8
        .value_kind:     global_buffer
      - .actual_access:  write_only
        .address_space:  global
        .offset:         56
        .size:           8
        .value_kind:     global_buffer
      - .offset:         64
        .size:           4
        .value_kind:     hidden_block_count_x
      - .offset:         68
        .size:           4
        .value_kind:     hidden_block_count_y
      - .offset:         72
        .size:           4
        .value_kind:     hidden_block_count_z
      - .offset:         76
        .size:           2
        .value_kind:     hidden_group_size_x
      - .offset:         78
        .size:           2
        .value_kind:     hidden_group_size_y
      - .offset:         80
        .size:           2
        .value_kind:     hidden_group_size_z
      - .offset:         82
        .size:           2
        .value_kind:     hidden_remainder_x
      - .offset:         84
        .size:           2
        .value_kind:     hidden_remainder_y
      - .offset:         86
        .size:           2
        .value_kind:     hidden_remainder_z
      - .offset:         104
        .size:           8
        .value_kind:     hidden_global_offset_x
      - .offset:         112
        .size:           8
        .value_kind:     hidden_global_offset_y
      - .offset:         120
        .size:           8
        .value_kind:     hidden_global_offset_z
      - .offset:         128
        .size:           2
        .value_kind:     hidden_grid_dims
    .group_segment_fixed_size: 512
    .kernarg_segment_align: 8
    .kernarg_segment_size: 320
    .language:       OpenCL C
    .language_version:
      - 2
      - 0
    .max_flat_workgroup_size: 1024
    .name:           _ZL24rocblas_dot_kernel_magsqIiLb1ELi1024ELi32ELb0EdPKPKddEviT5_lT_liPT6_PT4_
    .private_segment_fixed_size: 0
    .sgpr_count:     24
    .sgpr_spill_count: 0
    .symbol:         _ZL24rocblas_dot_kernel_magsqIiLb1ELi1024ELi32ELb0EdPKPKddEviT5_lT_liPT6_PT4_.kd
    .uniform_work_group_size: 1
    .uses_dynamic_stack: false
    .vgpr_count:     12
    .vgpr_spill_count: 0
    .wavefront_size: 64
  - .agpr_count:     0
    .args:
      - .offset:         0
        .size:           4
        .value_kind:     by_value
      - .actual_access:  read_only
        .address_space:  global
        .offset:         8
        .size:           8
        .value_kind:     global_buffer
      - .offset:         16
        .size:           8
        .value_kind:     by_value
      - .offset:         24
        .size:           4
        .value_kind:     by_value
      - .offset:         32
        .size:           8
        .value_kind:     by_value
      - .actual_access:  read_only
        .address_space:  global
        .offset:         40
        .size:           8
        .value_kind:     global_buffer
      - .offset:         48
        .size:           8
        .value_kind:     by_value
      - .offset:         56
        .size:           4
        .value_kind:     by_value
      - .offset:         64
        .size:           8
        .value_kind:     by_value
      - .actual_access:  read_only
        .address_space:  global
        .offset:         72
        .size:           8
        .value_kind:     global_buffer
      - .actual_access:  read_only
        .address_space:  global
        .offset:         80
        .size:           8
        .value_kind:     global_buffer
    .group_segment_fixed_size: 0
    .kernarg_segment_align: 8
    .kernarg_segment_size: 88
    .language:       OpenCL C
    .language_version:
      - 2
      - 0
    .max_flat_workgroup_size: 1024
    .name:           _ZL38rocblas_dot_kernel_gfx942_float_doubleIiLi1024EdPKPKddEviT2_lT_lS4_lS5_lPT3_PT1_
    .private_segment_fixed_size: 0
    .sgpr_count:     4
    .sgpr_spill_count: 0
    .symbol:         _ZL38rocblas_dot_kernel_gfx942_float_doubleIiLi1024EdPKPKddEviT2_lT_lS4_lS5_lPT3_PT1_.kd
    .uniform_work_group_size: 1
    .uses_dynamic_stack: false
    .vgpr_count:     0
    .vgpr_spill_count: 0
    .wavefront_size: 64
  - .agpr_count:     0
    .args:
      - .offset:         0
        .size:           4
        .value_kind:     by_value
      - .actual_access:  read_only
        .address_space:  global
        .offset:         8
        .size:           8
        .value_kind:     global_buffer
      - .offset:         16
        .size:           8
        .value_kind:     by_value
      - .offset:         24
        .size:           8
        .value_kind:     by_value
      - .actual_access:  read_only
        .address_space:  global
        .offset:         32
        .size:           8
        .value_kind:     global_buffer
      - .offset:         40
        .size:           8
        .value_kind:     by_value
      - .offset:         48
        .size:           8
        .value_kind:     by_value
      - .offset:         56
        .size:           4
        .value_kind:     by_value
      - .actual_access:  write_only
        .address_space:  global
        .offset:         64
        .size:           8
        .value_kind:     global_buffer
      - .actual_access:  write_only
        .address_space:  global
        .offset:         72
        .size:           8
        .value_kind:     global_buffer
      - .offset:         80
        .size:           4
        .value_kind:     hidden_block_count_x
      - .offset:         84
        .size:           4
        .value_kind:     hidden_block_count_y
      - .offset:         88
        .size:           4
        .value_kind:     hidden_block_count_z
      - .offset:         92
        .size:           2
        .value_kind:     hidden_group_size_x
      - .offset:         94
        .size:           2
        .value_kind:     hidden_group_size_y
      - .offset:         96
        .size:           2
        .value_kind:     hidden_group_size_z
      - .offset:         98
        .size:           2
        .value_kind:     hidden_remainder_x
      - .offset:         100
        .size:           2
        .value_kind:     hidden_remainder_y
      - .offset:         102
        .size:           2
        .value_kind:     hidden_remainder_z
      - .offset:         120
        .size:           8
        .value_kind:     hidden_global_offset_x
      - .offset:         128
        .size:           8
        .value_kind:     hidden_global_offset_y
      - .offset:         136
        .size:           8
        .value_kind:     hidden_global_offset_z
      - .offset:         144
        .size:           2
        .value_kind:     hidden_grid_dims
    .group_segment_fixed_size: 512
    .kernarg_segment_align: 8
    .kernarg_segment_size: 336
    .language:       OpenCL C
    .language_version:
      - 2
      - 0
    .max_flat_workgroup_size: 512
    .name:           _ZL23rocblas_dot_kernel_inc1ILb0ELi512ELi2ELb0EdPKPKddEviT4_llS4_lliPT5_PT3_
    .private_segment_fixed_size: 0
    .sgpr_count:     24
    .sgpr_spill_count: 0
    .symbol:         _ZL23rocblas_dot_kernel_inc1ILb0ELi512ELi2ELb0EdPKPKddEviT4_llS4_lliPT5_PT3_.kd
    .uniform_work_group_size: 1
    .uses_dynamic_stack: false
    .vgpr_count:     11
    .vgpr_spill_count: 0
    .wavefront_size: 64
  - .agpr_count:     0
    .args:
      - .offset:         0
        .size:           4
        .value_kind:     by_value
      - .actual_access:  read_only
        .address_space:  global
        .offset:         8
        .size:           8
        .value_kind:     global_buffer
      - .offset:         16
        .size:           8
        .value_kind:     by_value
      - .offset:         24
        .size:           4
        .value_kind:     by_value
      - .offset:         32
        .size:           8
        .value_kind:     by_value
      - .actual_access:  read_only
        .address_space:  global
        .offset:         40
        .size:           8
        .value_kind:     global_buffer
      - .offset:         48
        .size:           8
        .value_kind:     by_value
      - .offset:         56
        .size:           4
        .value_kind:     by_value
      - .offset:         64
        .size:           8
        .value_kind:     by_value
      - .offset:         72
        .size:           4
        .value_kind:     by_value
      - .actual_access:  write_only
        .address_space:  global
        .offset:         80
        .size:           8
        .value_kind:     global_buffer
      - .actual_access:  write_only
        .address_space:  global
        .offset:         88
        .size:           8
        .value_kind:     global_buffer
      - .offset:         96
        .size:           4
        .value_kind:     hidden_block_count_x
      - .offset:         100
        .size:           4
        .value_kind:     hidden_block_count_y
      - .offset:         104
        .size:           4
        .value_kind:     hidden_block_count_z
      - .offset:         108
        .size:           2
        .value_kind:     hidden_group_size_x
      - .offset:         110
        .size:           2
        .value_kind:     hidden_group_size_y
      - .offset:         112
        .size:           2
        .value_kind:     hidden_group_size_z
      - .offset:         114
        .size:           2
        .value_kind:     hidden_remainder_x
      - .offset:         116
        .size:           2
        .value_kind:     hidden_remainder_y
      - .offset:         118
        .size:           2
        .value_kind:     hidden_remainder_z
      - .offset:         136
        .size:           8
        .value_kind:     hidden_global_offset_x
      - .offset:         144
        .size:           8
        .value_kind:     hidden_global_offset_y
      - .offset:         152
        .size:           8
        .value_kind:     hidden_global_offset_z
      - .offset:         160
        .size:           2
        .value_kind:     hidden_grid_dims
    .group_segment_fixed_size: 512
    .kernarg_segment_align: 8
    .kernarg_segment_size: 352
    .language:       OpenCL C
    .language_version:
      - 2
      - 0
    .max_flat_workgroup_size: 512
    .name:           _ZL18rocblas_dot_kernelIiLb0ELi512ELi2ELb0EdPKPKddEviT5_lT_lS4_lS5_liPT6_PT4_
    .private_segment_fixed_size: 0
    .sgpr_count:     28
    .sgpr_spill_count: 0
    .symbol:         _ZL18rocblas_dot_kernelIiLb0ELi512ELi2ELb0EdPKPKddEviT5_lT_lS4_lS5_liPT6_PT4_.kd
    .uniform_work_group_size: 1
    .uses_dynamic_stack: false
    .vgpr_count:     11
    .vgpr_spill_count: 0
    .wavefront_size: 64
  - .agpr_count:     0
    .args:
      - .offset:         0
        .size:           4
        .value_kind:     by_value
      - .actual_access:  read_only
        .address_space:  global
        .offset:         8
        .size:           8
        .value_kind:     global_buffer
      - .offset:         16
        .size:           8
        .value_kind:     by_value
      - .offset:         24
        .size:           4
        .value_kind:     by_value
      - .offset:         32
        .size:           8
        .value_kind:     by_value
      - .offset:         40
        .size:           4
        .value_kind:     by_value
      - .actual_access:  write_only
        .address_space:  global
        .offset:         48
        .size:           8
        .value_kind:     global_buffer
      - .actual_access:  write_only
        .address_space:  global
        .offset:         56
        .size:           8
        .value_kind:     global_buffer
      - .offset:         64
        .size:           4
        .value_kind:     hidden_block_count_x
      - .offset:         68
        .size:           4
        .value_kind:     hidden_block_count_y
      - .offset:         72
        .size:           4
        .value_kind:     hidden_block_count_z
      - .offset:         76
        .size:           2
        .value_kind:     hidden_group_size_x
      - .offset:         78
        .size:           2
        .value_kind:     hidden_group_size_y
      - .offset:         80
        .size:           2
        .value_kind:     hidden_group_size_z
      - .offset:         82
        .size:           2
        .value_kind:     hidden_remainder_x
      - .offset:         84
        .size:           2
        .value_kind:     hidden_remainder_y
      - .offset:         86
        .size:           2
        .value_kind:     hidden_remainder_z
      - .offset:         104
        .size:           8
        .value_kind:     hidden_global_offset_x
      - .offset:         112
        .size:           8
        .value_kind:     hidden_global_offset_y
      - .offset:         120
        .size:           8
        .value_kind:     hidden_global_offset_z
      - .offset:         128
        .size:           2
        .value_kind:     hidden_grid_dims
    .group_segment_fixed_size: 512
    .kernarg_segment_align: 8
    .kernarg_segment_size: 320
    .language:       OpenCL C
    .language_version:
      - 2
      - 0
    .max_flat_workgroup_size: 512
    .name:           _ZL24rocblas_dot_kernel_magsqIiLb0ELi512ELi2ELb0EdPKPKddEviT5_lT_liPT6_PT4_
    .private_segment_fixed_size: 0
    .sgpr_count:     20
    .sgpr_spill_count: 0
    .symbol:         _ZL24rocblas_dot_kernel_magsqIiLb0ELi512ELi2ELb0EdPKPKddEviT5_lT_liPT6_PT4_.kd
    .uniform_work_group_size: 1
    .uses_dynamic_stack: false
    .vgpr_count:     11
    .vgpr_spill_count: 0
    .wavefront_size: 64
  - .agpr_count:     0
    .args:
      - .offset:         0
        .size:           4
        .value_kind:     by_value
      - .actual_access:  read_only
        .address_space:  global
        .offset:         8
        .size:           8
        .value_kind:     global_buffer
      - .offset:         16
        .size:           8
        .value_kind:     by_value
      - .offset:         24
        .size:           8
        .value_kind:     by_value
      - .offset:         32
        .size:           8
        .value_kind:     by_value
      - .actual_access:  read_only
        .address_space:  global
        .offset:         40
        .size:           8
        .value_kind:     global_buffer
      - .offset:         48
        .size:           8
        .value_kind:     by_value
      - .offset:         56
        .size:           8
        .value_kind:     by_value
      - .offset:         64
        .size:           8
        .value_kind:     by_value
      - .offset:         72
        .size:           4
        .value_kind:     by_value
      - .actual_access:  write_only
        .address_space:  global
        .offset:         80
        .size:           8
        .value_kind:     global_buffer
    .group_segment_fixed_size: 0
    .kernarg_segment_align: 8
    .kernarg_segment_size: 88
    .language:       OpenCL C
    .language_version:
      - 2
      - 0
    .max_flat_workgroup_size: 128
    .name:           _ZL28rocblas_dot_batched_4_kernelIlLi32ELi4ELb0EddPKPKdEviT5_lT_lS4_lS5_liPT4_
    .private_segment_fixed_size: 0
    .sgpr_count:     24
    .sgpr_spill_count: 0
    .symbol:         _ZL28rocblas_dot_batched_4_kernelIlLi32ELi4ELb0EddPKPKdEviT5_lT_lS4_lS5_liPT4_.kd
    .uniform_work_group_size: 1
    .uses_dynamic_stack: false
    .vgpr_count:     21
    .vgpr_spill_count: 0
    .wavefront_size: 64
  - .agpr_count:     0
    .args:
      - .offset:         0
        .size:           4
        .value_kind:     by_value
      - .actual_access:  read_only
        .address_space:  global
        .offset:         8
        .size:           8
        .value_kind:     global_buffer
      - .offset:         16
        .size:           8
        .value_kind:     by_value
      - .offset:         24
        .size:           8
        .value_kind:     by_value
      - .offset:         32
        .size:           8
        .value_kind:     by_value
      - .actual_access:  read_only
        .address_space:  global
        .offset:         40
        .size:           8
        .value_kind:     global_buffer
      - .offset:         48
        .size:           8
        .value_kind:     by_value
      - .offset:         56
        .size:           8
        .value_kind:     by_value
      - .offset:         64
        .size:           8
        .value_kind:     by_value
      - .offset:         72
        .size:           4
        .value_kind:     by_value
      - .actual_access:  write_only
        .address_space:  global
        .offset:         80
        .size:           8
        .value_kind:     global_buffer
    .group_segment_fixed_size: 0
    .kernarg_segment_align: 8
    .kernarg_segment_size: 88
    .language:       OpenCL C
    .language_version:
      - 2
      - 0
    .max_flat_workgroup_size: 256
    .name:           _ZL28rocblas_dot_batched_4_kernelIlLi64ELi4ELb0EddPKPKdEviT5_lT_lS4_lS5_liPT4_
    .private_segment_fixed_size: 0
    .sgpr_count:     24
    .sgpr_spill_count: 0
    .symbol:         _ZL28rocblas_dot_batched_4_kernelIlLi64ELi4ELb0EddPKPKdEviT5_lT_lS4_lS5_liPT4_.kd
    .uniform_work_group_size: 1
    .uses_dynamic_stack: false
    .vgpr_count:     21
    .vgpr_spill_count: 0
    .wavefront_size: 64
  - .agpr_count:     0
    .args:
      - .offset:         0
        .size:           4
        .value_kind:     by_value
      - .actual_access:  read_only
        .address_space:  global
        .offset:         8
        .size:           8
        .value_kind:     global_buffer
      - .offset:         16
        .size:           8
        .value_kind:     by_value
      - .offset:         24
        .size:           8
        .value_kind:     by_value
      - .offset:         32
        .size:           8
        .value_kind:     by_value
      - .actual_access:  read_only
        .address_space:  global
        .offset:         40
        .size:           8
        .value_kind:     global_buffer
      - .offset:         48
        .size:           8
        .value_kind:     by_value
      - .offset:         56
        .size:           8
        .value_kind:     by_value
      - .offset:         64
        .size:           8
        .value_kind:     by_value
      - .offset:         72
        .size:           4
        .value_kind:     by_value
      - .actual_access:  read_only
        .address_space:  global
        .offset:         80
        .size:           8
        .value_kind:     global_buffer
      - .actual_access:  write_only
        .address_space:  global
        .offset:         88
        .size:           8
        .value_kind:     global_buffer
      - .offset:         96
        .size:           4
        .value_kind:     hidden_block_count_x
      - .offset:         100
        .size:           4
        .value_kind:     hidden_block_count_y
      - .offset:         104
        .size:           4
        .value_kind:     hidden_block_count_z
      - .offset:         108
        .size:           2
        .value_kind:     hidden_group_size_x
      - .offset:         110
        .size:           2
        .value_kind:     hidden_group_size_y
      - .offset:         112
        .size:           2
        .value_kind:     hidden_group_size_z
      - .offset:         114
        .size:           2
        .value_kind:     hidden_remainder_x
      - .offset:         116
        .size:           2
        .value_kind:     hidden_remainder_y
      - .offset:         118
        .size:           2
        .value_kind:     hidden_remainder_z
      - .offset:         136
        .size:           8
        .value_kind:     hidden_global_offset_x
      - .offset:         144
        .size:           8
        .value_kind:     hidden_global_offset_y
      - .offset:         152
        .size:           8
        .value_kind:     hidden_global_offset_z
      - .offset:         160
        .size:           2
        .value_kind:     hidden_grid_dims
    .group_segment_fixed_size: 512
    .kernarg_segment_align: 8
    .kernarg_segment_size: 352
    .language:       OpenCL C
    .language_version:
      - 2
      - 0
    .max_flat_workgroup_size: 1024
    .name:           _ZL18rocblas_dot_kernelIlLb1ELi1024ELi32ELb0EdPKPKddEviT5_lT_lS4_lS5_liPT6_PT4_
    .private_segment_fixed_size: 0
    .sgpr_count:     30
    .sgpr_spill_count: 0
    .symbol:         _ZL18rocblas_dot_kernelIlLb1ELi1024ELi32ELb0EdPKPKddEviT5_lT_lS4_lS5_liPT6_PT4_.kd
    .uniform_work_group_size: 1
    .uses_dynamic_stack: false
    .vgpr_count:     14
    .vgpr_spill_count: 0
    .wavefront_size: 64
  - .agpr_count:     0
    .args:
      - .offset:         0
        .size:           4
        .value_kind:     by_value
      - .actual_access:  read_only
        .address_space:  global
        .offset:         8
        .size:           8
        .value_kind:     global_buffer
      - .offset:         16
        .size:           8
        .value_kind:     by_value
      - .offset:         24
        .size:           8
        .value_kind:     by_value
      - .offset:         32
        .size:           8
        .value_kind:     by_value
      - .offset:         40
        .size:           4
        .value_kind:     by_value
      - .actual_access:  read_only
        .address_space:  global
        .offset:         48
        .size:           8
        .value_kind:     global_buffer
      - .actual_access:  write_only
        .address_space:  global
        .offset:         56
        .size:           8
        .value_kind:     global_buffer
      - .offset:         64
        .size:           4
        .value_kind:     hidden_block_count_x
      - .offset:         68
        .size:           4
        .value_kind:     hidden_block_count_y
      - .offset:         72
        .size:           4
        .value_kind:     hidden_block_count_z
      - .offset:         76
        .size:           2
        .value_kind:     hidden_group_size_x
      - .offset:         78
        .size:           2
        .value_kind:     hidden_group_size_y
      - .offset:         80
        .size:           2
        .value_kind:     hidden_group_size_z
      - .offset:         82
        .size:           2
        .value_kind:     hidden_remainder_x
      - .offset:         84
        .size:           2
        .value_kind:     hidden_remainder_y
      - .offset:         86
        .size:           2
        .value_kind:     hidden_remainder_z
      - .offset:         104
        .size:           8
        .value_kind:     hidden_global_offset_x
      - .offset:         112
        .size:           8
        .value_kind:     hidden_global_offset_y
      - .offset:         120
        .size:           8
        .value_kind:     hidden_global_offset_z
      - .offset:         128
        .size:           2
        .value_kind:     hidden_grid_dims
    .group_segment_fixed_size: 512
    .kernarg_segment_align: 8
    .kernarg_segment_size: 320
    .language:       OpenCL C
    .language_version:
      - 2
      - 0
    .max_flat_workgroup_size: 1024
    .name:           _ZL24rocblas_dot_kernel_magsqIlLb1ELi1024ELi32ELb0EdPKPKddEviT5_lT_liPT6_PT4_
    .private_segment_fixed_size: 0
    .sgpr_count:     24
    .sgpr_spill_count: 0
    .symbol:         _ZL24rocblas_dot_kernel_magsqIlLb1ELi1024ELi32ELb0EdPKPKddEviT5_lT_liPT6_PT4_.kd
    .uniform_work_group_size: 1
    .uses_dynamic_stack: false
    .vgpr_count:     12
    .vgpr_spill_count: 0
    .wavefront_size: 64
  - .agpr_count:     0
    .args:
      - .offset:         0
        .size:           4
        .value_kind:     by_value
      - .actual_access:  read_only
        .address_space:  global
        .offset:         8
        .size:           8
        .value_kind:     global_buffer
      - .offset:         16
        .size:           8
        .value_kind:     by_value
      - .offset:         24
        .size:           8
        .value_kind:     by_value
      - .offset:         32
        .size:           8
        .value_kind:     by_value
      - .actual_access:  read_only
        .address_space:  global
        .offset:         40
        .size:           8
        .value_kind:     global_buffer
      - .offset:         48
        .size:           8
        .value_kind:     by_value
      - .offset:         56
        .size:           8
        .value_kind:     by_value
      - .offset:         64
        .size:           8
        .value_kind:     by_value
      - .actual_access:  read_only
        .address_space:  global
        .offset:         72
        .size:           8
        .value_kind:     global_buffer
      - .actual_access:  read_only
        .address_space:  global
        .offset:         80
        .size:           8
        .value_kind:     global_buffer
    .group_segment_fixed_size: 0
    .kernarg_segment_align: 8
    .kernarg_segment_size: 88
    .language:       OpenCL C
    .language_version:
      - 2
      - 0
    .max_flat_workgroup_size: 1024
    .name:           _ZL38rocblas_dot_kernel_gfx942_float_doubleIlLi1024EdPKPKddEviT2_lT_lS4_lS5_lPT3_PT1_
    .private_segment_fixed_size: 0
    .sgpr_count:     4
    .sgpr_spill_count: 0
    .symbol:         _ZL38rocblas_dot_kernel_gfx942_float_doubleIlLi1024EdPKPKddEviT2_lT_lS4_lS5_lPT3_PT1_.kd
    .uniform_work_group_size: 1
    .uses_dynamic_stack: false
    .vgpr_count:     0
    .vgpr_spill_count: 0
    .wavefront_size: 64
  - .agpr_count:     0
    .args:
      - .offset:         0
        .size:           4
        .value_kind:     by_value
      - .actual_access:  read_only
        .address_space:  global
        .offset:         8
        .size:           8
        .value_kind:     global_buffer
      - .offset:         16
        .size:           8
        .value_kind:     by_value
      - .offset:         24
        .size:           8
        .value_kind:     by_value
      - .offset:         32
        .size:           8
        .value_kind:     by_value
      - .actual_access:  read_only
        .address_space:  global
        .offset:         40
        .size:           8
        .value_kind:     global_buffer
      - .offset:         48
        .size:           8
        .value_kind:     by_value
      - .offset:         56
        .size:           8
        .value_kind:     by_value
      - .offset:         64
        .size:           8
        .value_kind:     by_value
      - .offset:         72
        .size:           4
        .value_kind:     by_value
      - .actual_access:  write_only
        .address_space:  global
        .offset:         80
        .size:           8
        .value_kind:     global_buffer
      - .actual_access:  write_only
        .address_space:  global
        .offset:         88
        .size:           8
        .value_kind:     global_buffer
      - .offset:         96
        .size:           4
        .value_kind:     hidden_block_count_x
      - .offset:         100
        .size:           4
        .value_kind:     hidden_block_count_y
      - .offset:         104
        .size:           4
        .value_kind:     hidden_block_count_z
      - .offset:         108
        .size:           2
        .value_kind:     hidden_group_size_x
      - .offset:         110
        .size:           2
        .value_kind:     hidden_group_size_y
      - .offset:         112
        .size:           2
        .value_kind:     hidden_group_size_z
      - .offset:         114
        .size:           2
        .value_kind:     hidden_remainder_x
      - .offset:         116
        .size:           2
        .value_kind:     hidden_remainder_y
      - .offset:         118
        .size:           2
        .value_kind:     hidden_remainder_z
      - .offset:         136
        .size:           8
        .value_kind:     hidden_global_offset_x
      - .offset:         144
        .size:           8
        .value_kind:     hidden_global_offset_y
      - .offset:         152
        .size:           8
        .value_kind:     hidden_global_offset_z
      - .offset:         160
        .size:           2
        .value_kind:     hidden_grid_dims
    .group_segment_fixed_size: 512
    .kernarg_segment_align: 8
    .kernarg_segment_size: 352
    .language:       OpenCL C
    .language_version:
      - 2
      - 0
    .max_flat_workgroup_size: 512
    .name:           _ZL18rocblas_dot_kernelIlLb0ELi512ELi2ELb0EdPKPKddEviT5_lT_lS4_lS5_liPT6_PT4_
    .private_segment_fixed_size: 0
    .sgpr_count:     28
    .sgpr_spill_count: 0
    .symbol:         _ZL18rocblas_dot_kernelIlLb0ELi512ELi2ELb0EdPKPKddEviT5_lT_lS4_lS5_liPT6_PT4_.kd
    .uniform_work_group_size: 1
    .uses_dynamic_stack: false
    .vgpr_count:     11
    .vgpr_spill_count: 0
    .wavefront_size: 64
  - .agpr_count:     0
    .args:
      - .offset:         0
        .size:           4
        .value_kind:     by_value
      - .actual_access:  read_only
        .address_space:  global
        .offset:         8
        .size:           8
        .value_kind:     global_buffer
      - .offset:         16
        .size:           8
        .value_kind:     by_value
      - .offset:         24
        .size:           8
        .value_kind:     by_value
      - .offset:         32
        .size:           8
        .value_kind:     by_value
      - .offset:         40
        .size:           4
        .value_kind:     by_value
      - .actual_access:  write_only
        .address_space:  global
        .offset:         48
        .size:           8
        .value_kind:     global_buffer
      - .actual_access:  write_only
        .address_space:  global
        .offset:         56
        .size:           8
        .value_kind:     global_buffer
      - .offset:         64
        .size:           4
        .value_kind:     hidden_block_count_x
      - .offset:         68
        .size:           4
        .value_kind:     hidden_block_count_y
      - .offset:         72
        .size:           4
        .value_kind:     hidden_block_count_z
      - .offset:         76
        .size:           2
        .value_kind:     hidden_group_size_x
      - .offset:         78
        .size:           2
        .value_kind:     hidden_group_size_y
      - .offset:         80
        .size:           2
        .value_kind:     hidden_group_size_z
      - .offset:         82
        .size:           2
        .value_kind:     hidden_remainder_x
      - .offset:         84
        .size:           2
        .value_kind:     hidden_remainder_y
      - .offset:         86
        .size:           2
        .value_kind:     hidden_remainder_z
      - .offset:         104
        .size:           8
        .value_kind:     hidden_global_offset_x
      - .offset:         112
        .size:           8
        .value_kind:     hidden_global_offset_y
      - .offset:         120
        .size:           8
        .value_kind:     hidden_global_offset_z
      - .offset:         128
        .size:           2
        .value_kind:     hidden_grid_dims
    .group_segment_fixed_size: 512
    .kernarg_segment_align: 8
    .kernarg_segment_size: 320
    .language:       OpenCL C
    .language_version:
      - 2
      - 0
    .max_flat_workgroup_size: 512
    .name:           _ZL24rocblas_dot_kernel_magsqIlLb0ELi512ELi2ELb0EdPKPKddEviT5_lT_liPT6_PT4_
    .private_segment_fixed_size: 0
    .sgpr_count:     22
    .sgpr_spill_count: 0
    .symbol:         _ZL24rocblas_dot_kernel_magsqIlLb0ELi512ELi2ELb0EdPKPKddEviT5_lT_liPT6_PT4_.kd
    .uniform_work_group_size: 1
    .uses_dynamic_stack: false
    .vgpr_count:     11
    .vgpr_spill_count: 0
    .wavefront_size: 64
  - .agpr_count:     0
    .args:
      - .offset:         0
        .size:           4
        .value_kind:     by_value
      - .actual_access:  read_only
        .address_space:  global
        .offset:         8
        .size:           8
        .value_kind:     global_buffer
      - .offset:         16
        .size:           8
        .value_kind:     by_value
      - .offset:         24
        .size:           4
        .value_kind:     by_value
      - .offset:         32
        .size:           8
        .value_kind:     by_value
      - .actual_access:  read_only
        .address_space:  global
        .offset:         40
        .size:           8
        .value_kind:     global_buffer
      - .offset:         48
        .size:           8
        .value_kind:     by_value
      - .offset:         56
        .size:           4
        .value_kind:     by_value
      - .offset:         64
        .size:           8
        .value_kind:     by_value
      - .offset:         72
        .size:           4
        .value_kind:     by_value
      - .actual_access:  write_only
        .address_space:  global
        .offset:         80
        .size:           8
        .value_kind:     global_buffer
    .group_segment_fixed_size: 0
    .kernarg_segment_align: 8
    .kernarg_segment_size: 88
    .language:       OpenCL C
    .language_version:
      - 2
      - 0
    .max_flat_workgroup_size: 128
    .name:           _ZL28rocblas_dot_batched_4_kernelIiLi32ELi4ELb0E19rocblas_complex_numIfES1_PKPKS1_EviT5_lT_lS6_lS7_liPT4_
    .private_segment_fixed_size: 0
    .sgpr_count:     22
    .sgpr_spill_count: 0
    .symbol:         _ZL28rocblas_dot_batched_4_kernelIiLi32ELi4ELb0E19rocblas_complex_numIfES1_PKPKS1_EviT5_lT_lS6_lS7_liPT4_.kd
    .uniform_work_group_size: 1
    .uses_dynamic_stack: false
    .vgpr_count:     20
    .vgpr_spill_count: 0
    .wavefront_size: 64
  - .agpr_count:     0
    .args:
      - .offset:         0
        .size:           4
        .value_kind:     by_value
      - .actual_access:  read_only
        .address_space:  global
        .offset:         8
        .size:           8
        .value_kind:     global_buffer
      - .offset:         16
        .size:           8
        .value_kind:     by_value
      - .offset:         24
        .size:           4
        .value_kind:     by_value
      - .offset:         32
        .size:           8
        .value_kind:     by_value
      - .actual_access:  read_only
        .address_space:  global
        .offset:         40
        .size:           8
        .value_kind:     global_buffer
      - .offset:         48
        .size:           8
        .value_kind:     by_value
      - .offset:         56
        .size:           4
        .value_kind:     by_value
      - .offset:         64
        .size:           8
        .value_kind:     by_value
      - .offset:         72
        .size:           4
        .value_kind:     by_value
      - .actual_access:  write_only
        .address_space:  global
        .offset:         80
        .size:           8
        .value_kind:     global_buffer
    .group_segment_fixed_size: 0
    .kernarg_segment_align: 8
    .kernarg_segment_size: 88
    .language:       OpenCL C
    .language_version:
      - 2
      - 0
    .max_flat_workgroup_size: 256
    .name:           _ZL28rocblas_dot_batched_4_kernelIiLi64ELi4ELb0E19rocblas_complex_numIfES1_PKPKS1_EviT5_lT_lS6_lS7_liPT4_
    .private_segment_fixed_size: 0
    .sgpr_count:     22
    .sgpr_spill_count: 0
    .symbol:         _ZL28rocblas_dot_batched_4_kernelIiLi64ELi4ELb0E19rocblas_complex_numIfES1_PKPKS1_EviT5_lT_lS6_lS7_liPT4_.kd
    .uniform_work_group_size: 1
    .uses_dynamic_stack: false
    .vgpr_count:     20
    .vgpr_spill_count: 0
    .wavefront_size: 64
  - .agpr_count:     0
    .args:
      - .offset:         0
        .size:           4
        .value_kind:     by_value
      - .actual_access:  read_only
        .address_space:  global
        .offset:         8
        .size:           8
        .value_kind:     global_buffer
      - .offset:         16
        .size:           8
        .value_kind:     by_value
      - .offset:         24
        .size:           8
        .value_kind:     by_value
      - .actual_access:  read_only
        .address_space:  global
        .offset:         32
        .size:           8
        .value_kind:     global_buffer
      - .offset:         40
        .size:           8
        .value_kind:     by_value
      - .offset:         48
        .size:           8
        .value_kind:     by_value
      - .offset:         56
        .size:           4
        .value_kind:     by_value
      - .actual_access:  read_only
        .address_space:  global
        .offset:         64
        .size:           8
        .value_kind:     global_buffer
      - .actual_access:  write_only
        .address_space:  global
        .offset:         72
        .size:           8
        .value_kind:     global_buffer
    .group_segment_fixed_size: 512
    .kernarg_segment_align: 8
    .kernarg_segment_size: 80
    .language:       OpenCL C
    .language_version:
      - 2
      - 0
    .max_flat_workgroup_size: 1024
    .name:           _ZL26rocblas_dot_kernel_inc1by2ILb1ELi1024ELi32ELb0E19rocblas_complex_numIfEPKPKS1_S1_EviT4_llS6_lliPT5_PT3_
    .private_segment_fixed_size: 0
    .sgpr_count:     24
    .sgpr_spill_count: 0
    .symbol:         _ZL26rocblas_dot_kernel_inc1by2ILb1ELi1024ELi32ELb0E19rocblas_complex_numIfEPKPKS1_S1_EviT4_llS6_lliPT5_PT3_.kd
    .uniform_work_group_size: 1
    .uses_dynamic_stack: false
    .vgpr_count:     16
    .vgpr_spill_count: 0
    .wavefront_size: 64
  - .agpr_count:     0
    .args:
      - .offset:         0
        .size:           4
        .value_kind:     by_value
      - .actual_access:  read_only
        .address_space:  global
        .offset:         8
        .size:           8
        .value_kind:     global_buffer
      - .offset:         16
        .size:           8
        .value_kind:     by_value
      - .offset:         24
        .size:           4
        .value_kind:     by_value
      - .offset:         32
        .size:           8
        .value_kind:     by_value
      - .actual_access:  read_only
        .address_space:  global
        .offset:         40
        .size:           8
        .value_kind:     global_buffer
      - .offset:         48
        .size:           8
        .value_kind:     by_value
      - .offset:         56
        .size:           4
        .value_kind:     by_value
      - .offset:         64
        .size:           8
        .value_kind:     by_value
      - .offset:         72
        .size:           4
        .value_kind:     by_value
      - .actual_access:  read_only
        .address_space:  global
        .offset:         80
        .size:           8
        .value_kind:     global_buffer
      - .actual_access:  write_only
        .address_space:  global
        .offset:         88
        .size:           8
        .value_kind:     global_buffer
      - .offset:         96
        .size:           4
        .value_kind:     hidden_block_count_x
      - .offset:         100
        .size:           4
        .value_kind:     hidden_block_count_y
      - .offset:         104
        .size:           4
        .value_kind:     hidden_block_count_z
      - .offset:         108
        .size:           2
        .value_kind:     hidden_group_size_x
      - .offset:         110
        .size:           2
        .value_kind:     hidden_group_size_y
      - .offset:         112
        .size:           2
        .value_kind:     hidden_group_size_z
      - .offset:         114
        .size:           2
        .value_kind:     hidden_remainder_x
      - .offset:         116
        .size:           2
        .value_kind:     hidden_remainder_y
      - .offset:         118
        .size:           2
        .value_kind:     hidden_remainder_z
      - .offset:         136
        .size:           8
        .value_kind:     hidden_global_offset_x
      - .offset:         144
        .size:           8
        .value_kind:     hidden_global_offset_y
      - .offset:         152
        .size:           8
        .value_kind:     hidden_global_offset_z
      - .offset:         160
        .size:           2
        .value_kind:     hidden_grid_dims
    .group_segment_fixed_size: 512
    .kernarg_segment_align: 8
    .kernarg_segment_size: 352
    .language:       OpenCL C
    .language_version:
      - 2
      - 0
    .max_flat_workgroup_size: 1024
    .name:           _ZL18rocblas_dot_kernelIiLb1ELi1024ELi32ELb0E19rocblas_complex_numIfEPKPKS1_S1_EviT5_lT_lS6_lS7_liPT6_PT4_
    .private_segment_fixed_size: 0
    .sgpr_count:     29
    .sgpr_spill_count: 0
    .symbol:         _ZL18rocblas_dot_kernelIiLb1ELi1024ELi32ELb0E19rocblas_complex_numIfEPKPKS1_S1_EviT5_lT_lS6_lS7_liPT6_PT4_.kd
    .uniform_work_group_size: 1
    .uses_dynamic_stack: false
    .vgpr_count:     18
    .vgpr_spill_count: 0
    .wavefront_size: 64
  - .agpr_count:     0
    .args:
      - .offset:         0
        .size:           4
        .value_kind:     by_value
      - .actual_access:  read_only
        .address_space:  global
        .offset:         8
        .size:           8
        .value_kind:     global_buffer
      - .offset:         16
        .size:           8
        .value_kind:     by_value
      - .offset:         24
        .size:           4
        .value_kind:     by_value
      - .offset:         32
        .size:           8
        .value_kind:     by_value
      - .offset:         40
        .size:           4
        .value_kind:     by_value
      - .actual_access:  read_only
        .address_space:  global
        .offset:         48
        .size:           8
        .value_kind:     global_buffer
      - .actual_access:  write_only
        .address_space:  global
        .offset:         56
        .size:           8
        .value_kind:     global_buffer
      - .offset:         64
        .size:           4
        .value_kind:     hidden_block_count_x
      - .offset:         68
        .size:           4
        .value_kind:     hidden_block_count_y
      - .offset:         72
        .size:           4
        .value_kind:     hidden_block_count_z
      - .offset:         76
        .size:           2
        .value_kind:     hidden_group_size_x
      - .offset:         78
        .size:           2
        .value_kind:     hidden_group_size_y
      - .offset:         80
        .size:           2
        .value_kind:     hidden_group_size_z
      - .offset:         82
        .size:           2
        .value_kind:     hidden_remainder_x
      - .offset:         84
        .size:           2
        .value_kind:     hidden_remainder_y
      - .offset:         86
        .size:           2
        .value_kind:     hidden_remainder_z
      - .offset:         104
        .size:           8
        .value_kind:     hidden_global_offset_x
      - .offset:         112
        .size:           8
        .value_kind:     hidden_global_offset_y
      - .offset:         120
        .size:           8
        .value_kind:     hidden_global_offset_z
      - .offset:         128
        .size:           2
        .value_kind:     hidden_grid_dims
    .group_segment_fixed_size: 512
    .kernarg_segment_align: 8
    .kernarg_segment_size: 320
    .language:       OpenCL C
    .language_version:
      - 2
      - 0
    .max_flat_workgroup_size: 1024
    .name:           _ZL24rocblas_dot_kernel_magsqIiLb1ELi1024ELi32ELb0E19rocblas_complex_numIfEPKPKS1_S1_EviT5_lT_liPT6_PT4_
    .private_segment_fixed_size: 0
    .sgpr_count:     24
    .sgpr_spill_count: 0
    .symbol:         _ZL24rocblas_dot_kernel_magsqIiLb1ELi1024ELi32ELb0E19rocblas_complex_numIfEPKPKS1_S1_EviT5_lT_liPT6_PT4_.kd
    .uniform_work_group_size: 1
    .uses_dynamic_stack: false
    .vgpr_count:     14
    .vgpr_spill_count: 0
    .wavefront_size: 64
  - .agpr_count:     0
    .args:
      - .offset:         0
        .size:           4
        .value_kind:     by_value
      - .actual_access:  read_only
        .address_space:  global
        .offset:         8
        .size:           8
        .value_kind:     global_buffer
      - .offset:         16
        .size:           8
        .value_kind:     by_value
      - .offset:         24
        .size:           4
        .value_kind:     by_value
      - .offset:         32
        .size:           8
        .value_kind:     by_value
      - .actual_access:  read_only
        .address_space:  global
        .offset:         40
        .size:           8
        .value_kind:     global_buffer
      - .offset:         48
        .size:           8
        .value_kind:     by_value
      - .offset:         56
        .size:           4
        .value_kind:     by_value
      - .offset:         64
        .size:           8
        .value_kind:     by_value
      - .actual_access:  read_only
        .address_space:  global
        .offset:         72
        .size:           8
        .value_kind:     global_buffer
      - .actual_access:  read_only
        .address_space:  global
        .offset:         80
        .size:           8
        .value_kind:     global_buffer
    .group_segment_fixed_size: 0
    .kernarg_segment_align: 8
    .kernarg_segment_size: 88
    .language:       OpenCL C
    .language_version:
      - 2
      - 0
    .max_flat_workgroup_size: 1024
    .name:           _ZL38rocblas_dot_kernel_gfx942_float_doubleIiLi1024E19rocblas_complex_numIfEPKPKS1_S1_EviT2_lT_lS6_lS7_lPT3_PT1_
    .private_segment_fixed_size: 0
    .sgpr_count:     4
    .sgpr_spill_count: 0
    .symbol:         _ZL38rocblas_dot_kernel_gfx942_float_doubleIiLi1024E19rocblas_complex_numIfEPKPKS1_S1_EviT2_lT_lS6_lS7_lPT3_PT1_.kd
    .uniform_work_group_size: 1
    .uses_dynamic_stack: false
    .vgpr_count:     0
    .vgpr_spill_count: 0
    .wavefront_size: 64
  - .agpr_count:     0
    .args:
      - .offset:         0
        .size:           4
        .value_kind:     by_value
      - .actual_access:  read_only
        .address_space:  global
        .offset:         8
        .size:           8
        .value_kind:     global_buffer
      - .offset:         16
        .size:           8
        .value_kind:     by_value
      - .offset:         24
        .size:           8
        .value_kind:     by_value
      - .actual_access:  read_only
        .address_space:  global
        .offset:         32
        .size:           8
        .value_kind:     global_buffer
      - .offset:         40
        .size:           8
        .value_kind:     by_value
      - .offset:         48
        .size:           8
        .value_kind:     by_value
      - .offset:         56
        .size:           4
        .value_kind:     by_value
      - .actual_access:  write_only
        .address_space:  global
        .offset:         64
        .size:           8
        .value_kind:     global_buffer
      - .actual_access:  write_only
        .address_space:  global
        .offset:         72
        .size:           8
        .value_kind:     global_buffer
      - .offset:         80
        .size:           4
        .value_kind:     hidden_block_count_x
      - .offset:         84
        .size:           4
        .value_kind:     hidden_block_count_y
      - .offset:         88
        .size:           4
        .value_kind:     hidden_block_count_z
      - .offset:         92
        .size:           2
        .value_kind:     hidden_group_size_x
      - .offset:         94
        .size:           2
        .value_kind:     hidden_group_size_y
      - .offset:         96
        .size:           2
        .value_kind:     hidden_group_size_z
      - .offset:         98
        .size:           2
        .value_kind:     hidden_remainder_x
      - .offset:         100
        .size:           2
        .value_kind:     hidden_remainder_y
      - .offset:         102
        .size:           2
        .value_kind:     hidden_remainder_z
      - .offset:         120
        .size:           8
        .value_kind:     hidden_global_offset_x
      - .offset:         128
        .size:           8
        .value_kind:     hidden_global_offset_y
      - .offset:         136
        .size:           8
        .value_kind:     hidden_global_offset_z
      - .offset:         144
        .size:           2
        .value_kind:     hidden_grid_dims
    .group_segment_fixed_size: 512
    .kernarg_segment_align: 8
    .kernarg_segment_size: 336
    .language:       OpenCL C
    .language_version:
      - 2
      - 0
    .max_flat_workgroup_size: 512
    .name:           _ZL23rocblas_dot_kernel_inc1ILb0ELi512ELi2ELb0E19rocblas_complex_numIfEPKPKS1_S1_EviT4_llS6_lliPT5_PT3_
    .private_segment_fixed_size: 0
    .sgpr_count:     24
    .sgpr_spill_count: 0
    .symbol:         _ZL23rocblas_dot_kernel_inc1ILb0ELi512ELi2ELb0E19rocblas_complex_numIfEPKPKS1_S1_EviT4_llS6_lliPT5_PT3_.kd
    .uniform_work_group_size: 1
    .uses_dynamic_stack: false
    .vgpr_count:     12
    .vgpr_spill_count: 0
    .wavefront_size: 64
  - .agpr_count:     0
    .args:
      - .offset:         0
        .size:           4
        .value_kind:     by_value
      - .actual_access:  read_only
        .address_space:  global
        .offset:         8
        .size:           8
        .value_kind:     global_buffer
      - .offset:         16
        .size:           8
        .value_kind:     by_value
      - .offset:         24
        .size:           4
        .value_kind:     by_value
      - .offset:         32
        .size:           8
        .value_kind:     by_value
      - .actual_access:  read_only
        .address_space:  global
        .offset:         40
        .size:           8
        .value_kind:     global_buffer
      - .offset:         48
        .size:           8
        .value_kind:     by_value
      - .offset:         56
        .size:           4
        .value_kind:     by_value
      - .offset:         64
        .size:           8
        .value_kind:     by_value
      - .offset:         72
        .size:           4
        .value_kind:     by_value
      - .actual_access:  write_only
        .address_space:  global
        .offset:         80
        .size:           8
        .value_kind:     global_buffer
      - .actual_access:  write_only
        .address_space:  global
        .offset:         88
        .size:           8
        .value_kind:     global_buffer
      - .offset:         96
        .size:           4
        .value_kind:     hidden_block_count_x
      - .offset:         100
        .size:           4
        .value_kind:     hidden_block_count_y
      - .offset:         104
        .size:           4
        .value_kind:     hidden_block_count_z
      - .offset:         108
        .size:           2
        .value_kind:     hidden_group_size_x
      - .offset:         110
        .size:           2
        .value_kind:     hidden_group_size_y
      - .offset:         112
        .size:           2
        .value_kind:     hidden_group_size_z
      - .offset:         114
        .size:           2
        .value_kind:     hidden_remainder_x
      - .offset:         116
        .size:           2
        .value_kind:     hidden_remainder_y
      - .offset:         118
        .size:           2
        .value_kind:     hidden_remainder_z
      - .offset:         136
        .size:           8
        .value_kind:     hidden_global_offset_x
      - .offset:         144
        .size:           8
        .value_kind:     hidden_global_offset_y
      - .offset:         152
        .size:           8
        .value_kind:     hidden_global_offset_z
      - .offset:         160
        .size:           2
        .value_kind:     hidden_grid_dims
    .group_segment_fixed_size: 512
    .kernarg_segment_align: 8
    .kernarg_segment_size: 352
    .language:       OpenCL C
    .language_version:
      - 2
      - 0
    .max_flat_workgroup_size: 512
    .name:           _ZL18rocblas_dot_kernelIiLb0ELi512ELi2ELb0E19rocblas_complex_numIfEPKPKS1_S1_EviT5_lT_lS6_lS7_liPT6_PT4_
    .private_segment_fixed_size: 0
    .sgpr_count:     28
    .sgpr_spill_count: 0
    .symbol:         _ZL18rocblas_dot_kernelIiLb0ELi512ELi2ELb0E19rocblas_complex_numIfEPKPKS1_S1_EviT5_lT_lS6_lS7_liPT6_PT4_.kd
    .uniform_work_group_size: 1
    .uses_dynamic_stack: false
    .vgpr_count:     12
    .vgpr_spill_count: 0
    .wavefront_size: 64
  - .agpr_count:     0
    .args:
      - .offset:         0
        .size:           4
        .value_kind:     by_value
      - .actual_access:  read_only
        .address_space:  global
        .offset:         8
        .size:           8
        .value_kind:     global_buffer
      - .offset:         16
        .size:           8
        .value_kind:     by_value
      - .offset:         24
        .size:           4
        .value_kind:     by_value
      - .offset:         32
        .size:           8
        .value_kind:     by_value
      - .offset:         40
        .size:           4
        .value_kind:     by_value
      - .actual_access:  write_only
        .address_space:  global
        .offset:         48
        .size:           8
        .value_kind:     global_buffer
      - .actual_access:  write_only
        .address_space:  global
        .offset:         56
        .size:           8
        .value_kind:     global_buffer
      - .offset:         64
        .size:           4
        .value_kind:     hidden_block_count_x
      - .offset:         68
        .size:           4
        .value_kind:     hidden_block_count_y
      - .offset:         72
        .size:           4
        .value_kind:     hidden_block_count_z
      - .offset:         76
        .size:           2
        .value_kind:     hidden_group_size_x
      - .offset:         78
        .size:           2
        .value_kind:     hidden_group_size_y
      - .offset:         80
        .size:           2
        .value_kind:     hidden_group_size_z
      - .offset:         82
        .size:           2
        .value_kind:     hidden_remainder_x
      - .offset:         84
        .size:           2
        .value_kind:     hidden_remainder_y
      - .offset:         86
        .size:           2
        .value_kind:     hidden_remainder_z
      - .offset:         104
        .size:           8
        .value_kind:     hidden_global_offset_x
      - .offset:         112
        .size:           8
        .value_kind:     hidden_global_offset_y
      - .offset:         120
        .size:           8
        .value_kind:     hidden_global_offset_z
      - .offset:         128
        .size:           2
        .value_kind:     hidden_grid_dims
    .group_segment_fixed_size: 512
    .kernarg_segment_align: 8
    .kernarg_segment_size: 320
    .language:       OpenCL C
    .language_version:
      - 2
      - 0
    .max_flat_workgroup_size: 512
    .name:           _ZL24rocblas_dot_kernel_magsqIiLb0ELi512ELi2ELb0E19rocblas_complex_numIfEPKPKS1_S1_EviT5_lT_liPT6_PT4_
    .private_segment_fixed_size: 0
    .sgpr_count:     20
    .sgpr_spill_count: 0
    .symbol:         _ZL24rocblas_dot_kernel_magsqIiLb0ELi512ELi2ELb0E19rocblas_complex_numIfEPKPKS1_S1_EviT5_lT_liPT6_PT4_.kd
    .uniform_work_group_size: 1
    .uses_dynamic_stack: false
    .vgpr_count:     11
    .vgpr_spill_count: 0
    .wavefront_size: 64
  - .agpr_count:     0
    .args:
      - .offset:         0
        .size:           4
        .value_kind:     by_value
      - .actual_access:  read_only
        .address_space:  global
        .offset:         8
        .size:           8
        .value_kind:     global_buffer
      - .offset:         16
        .size:           8
        .value_kind:     by_value
      - .offset:         24
        .size:           8
        .value_kind:     by_value
      - .offset:         32
        .size:           8
        .value_kind:     by_value
      - .actual_access:  read_only
        .address_space:  global
        .offset:         40
        .size:           8
        .value_kind:     global_buffer
      - .offset:         48
        .size:           8
        .value_kind:     by_value
      - .offset:         56
        .size:           8
        .value_kind:     by_value
      - .offset:         64
        .size:           8
        .value_kind:     by_value
      - .offset:         72
        .size:           4
        .value_kind:     by_value
      - .actual_access:  write_only
        .address_space:  global
        .offset:         80
        .size:           8
        .value_kind:     global_buffer
    .group_segment_fixed_size: 0
    .kernarg_segment_align: 8
    .kernarg_segment_size: 88
    .language:       OpenCL C
    .language_version:
      - 2
      - 0
    .max_flat_workgroup_size: 128
    .name:           _ZL28rocblas_dot_batched_4_kernelIlLi32ELi4ELb0E19rocblas_complex_numIfES1_PKPKS1_EviT5_lT_lS6_lS7_liPT4_
    .private_segment_fixed_size: 0
    .sgpr_count:     24
    .sgpr_spill_count: 0
    .symbol:         _ZL28rocblas_dot_batched_4_kernelIlLi32ELi4ELb0E19rocblas_complex_numIfES1_PKPKS1_EviT5_lT_lS6_lS7_liPT4_.kd
    .uniform_work_group_size: 1
    .uses_dynamic_stack: false
    .vgpr_count:     21
    .vgpr_spill_count: 0
    .wavefront_size: 64
  - .agpr_count:     0
    .args:
      - .offset:         0
        .size:           4
        .value_kind:     by_value
      - .actual_access:  read_only
        .address_space:  global
        .offset:         8
        .size:           8
        .value_kind:     global_buffer
      - .offset:         16
        .size:           8
        .value_kind:     by_value
      - .offset:         24
        .size:           8
        .value_kind:     by_value
      - .offset:         32
        .size:           8
        .value_kind:     by_value
      - .actual_access:  read_only
        .address_space:  global
        .offset:         40
        .size:           8
        .value_kind:     global_buffer
      - .offset:         48
        .size:           8
        .value_kind:     by_value
      - .offset:         56
        .size:           8
        .value_kind:     by_value
      - .offset:         64
        .size:           8
        .value_kind:     by_value
      - .offset:         72
        .size:           4
        .value_kind:     by_value
      - .actual_access:  write_only
        .address_space:  global
        .offset:         80
        .size:           8
        .value_kind:     global_buffer
    .group_segment_fixed_size: 0
    .kernarg_segment_align: 8
    .kernarg_segment_size: 88
    .language:       OpenCL C
    .language_version:
      - 2
      - 0
    .max_flat_workgroup_size: 256
    .name:           _ZL28rocblas_dot_batched_4_kernelIlLi64ELi4ELb0E19rocblas_complex_numIfES1_PKPKS1_EviT5_lT_lS6_lS7_liPT4_
    .private_segment_fixed_size: 0
    .sgpr_count:     24
    .sgpr_spill_count: 0
    .symbol:         _ZL28rocblas_dot_batched_4_kernelIlLi64ELi4ELb0E19rocblas_complex_numIfES1_PKPKS1_EviT5_lT_lS6_lS7_liPT4_.kd
    .uniform_work_group_size: 1
    .uses_dynamic_stack: false
    .vgpr_count:     21
    .vgpr_spill_count: 0
    .wavefront_size: 64
  - .agpr_count:     0
    .args:
      - .offset:         0
        .size:           4
        .value_kind:     by_value
      - .actual_access:  read_only
        .address_space:  global
        .offset:         8
        .size:           8
        .value_kind:     global_buffer
      - .offset:         16
        .size:           8
        .value_kind:     by_value
      - .offset:         24
        .size:           8
        .value_kind:     by_value
      - .offset:         32
        .size:           8
        .value_kind:     by_value
      - .actual_access:  read_only
        .address_space:  global
        .offset:         40
        .size:           8
        .value_kind:     global_buffer
      - .offset:         48
        .size:           8
        .value_kind:     by_value
      - .offset:         56
        .size:           8
        .value_kind:     by_value
      - .offset:         64
        .size:           8
        .value_kind:     by_value
      - .offset:         72
        .size:           4
        .value_kind:     by_value
      - .actual_access:  read_only
        .address_space:  global
        .offset:         80
        .size:           8
        .value_kind:     global_buffer
      - .actual_access:  write_only
        .address_space:  global
        .offset:         88
        .size:           8
        .value_kind:     global_buffer
      - .offset:         96
        .size:           4
        .value_kind:     hidden_block_count_x
      - .offset:         100
        .size:           4
        .value_kind:     hidden_block_count_y
      - .offset:         104
        .size:           4
        .value_kind:     hidden_block_count_z
      - .offset:         108
        .size:           2
        .value_kind:     hidden_group_size_x
      - .offset:         110
        .size:           2
        .value_kind:     hidden_group_size_y
      - .offset:         112
        .size:           2
        .value_kind:     hidden_group_size_z
      - .offset:         114
        .size:           2
        .value_kind:     hidden_remainder_x
      - .offset:         116
        .size:           2
        .value_kind:     hidden_remainder_y
      - .offset:         118
        .size:           2
        .value_kind:     hidden_remainder_z
      - .offset:         136
        .size:           8
        .value_kind:     hidden_global_offset_x
      - .offset:         144
        .size:           8
        .value_kind:     hidden_global_offset_y
      - .offset:         152
        .size:           8
        .value_kind:     hidden_global_offset_z
      - .offset:         160
        .size:           2
        .value_kind:     hidden_grid_dims
    .group_segment_fixed_size: 512
    .kernarg_segment_align: 8
    .kernarg_segment_size: 352
    .language:       OpenCL C
    .language_version:
      - 2
      - 0
    .max_flat_workgroup_size: 1024
    .name:           _ZL18rocblas_dot_kernelIlLb1ELi1024ELi32ELb0E19rocblas_complex_numIfEPKPKS1_S1_EviT5_lT_lS6_lS7_liPT6_PT4_
    .private_segment_fixed_size: 0
    .sgpr_count:     30
    .sgpr_spill_count: 0
    .symbol:         _ZL18rocblas_dot_kernelIlLb1ELi1024ELi32ELb0E19rocblas_complex_numIfEPKPKS1_S1_EviT5_lT_lS6_lS7_liPT6_PT4_.kd
    .uniform_work_group_size: 1
    .uses_dynamic_stack: false
    .vgpr_count:     18
    .vgpr_spill_count: 0
    .wavefront_size: 64
  - .agpr_count:     0
    .args:
      - .offset:         0
        .size:           4
        .value_kind:     by_value
      - .actual_access:  read_only
        .address_space:  global
        .offset:         8
        .size:           8
        .value_kind:     global_buffer
      - .offset:         16
        .size:           8
        .value_kind:     by_value
      - .offset:         24
        .size:           8
        .value_kind:     by_value
      - .offset:         32
        .size:           8
        .value_kind:     by_value
      - .offset:         40
        .size:           4
        .value_kind:     by_value
      - .actual_access:  read_only
        .address_space:  global
        .offset:         48
        .size:           8
        .value_kind:     global_buffer
      - .actual_access:  write_only
        .address_space:  global
        .offset:         56
        .size:           8
        .value_kind:     global_buffer
      - .offset:         64
        .size:           4
        .value_kind:     hidden_block_count_x
      - .offset:         68
        .size:           4
        .value_kind:     hidden_block_count_y
      - .offset:         72
        .size:           4
        .value_kind:     hidden_block_count_z
      - .offset:         76
        .size:           2
        .value_kind:     hidden_group_size_x
      - .offset:         78
        .size:           2
        .value_kind:     hidden_group_size_y
      - .offset:         80
        .size:           2
        .value_kind:     hidden_group_size_z
      - .offset:         82
        .size:           2
        .value_kind:     hidden_remainder_x
      - .offset:         84
        .size:           2
        .value_kind:     hidden_remainder_y
      - .offset:         86
        .size:           2
        .value_kind:     hidden_remainder_z
      - .offset:         104
        .size:           8
        .value_kind:     hidden_global_offset_x
      - .offset:         112
        .size:           8
        .value_kind:     hidden_global_offset_y
      - .offset:         120
        .size:           8
        .value_kind:     hidden_global_offset_z
      - .offset:         128
        .size:           2
        .value_kind:     hidden_grid_dims
    .group_segment_fixed_size: 512
    .kernarg_segment_align: 8
    .kernarg_segment_size: 320
    .language:       OpenCL C
    .language_version:
      - 2
      - 0
    .max_flat_workgroup_size: 1024
    .name:           _ZL24rocblas_dot_kernel_magsqIlLb1ELi1024ELi32ELb0E19rocblas_complex_numIfEPKPKS1_S1_EviT5_lT_liPT6_PT4_
    .private_segment_fixed_size: 0
    .sgpr_count:     24
    .sgpr_spill_count: 0
    .symbol:         _ZL24rocblas_dot_kernel_magsqIlLb1ELi1024ELi32ELb0E19rocblas_complex_numIfEPKPKS1_S1_EviT5_lT_liPT6_PT4_.kd
    .uniform_work_group_size: 1
    .uses_dynamic_stack: false
    .vgpr_count:     14
    .vgpr_spill_count: 0
    .wavefront_size: 64
  - .agpr_count:     0
    .args:
      - .offset:         0
        .size:           4
        .value_kind:     by_value
      - .actual_access:  read_only
        .address_space:  global
        .offset:         8
        .size:           8
        .value_kind:     global_buffer
      - .offset:         16
        .size:           8
        .value_kind:     by_value
      - .offset:         24
        .size:           8
        .value_kind:     by_value
      - .offset:         32
        .size:           8
        .value_kind:     by_value
      - .actual_access:  read_only
        .address_space:  global
        .offset:         40
        .size:           8
        .value_kind:     global_buffer
      - .offset:         48
        .size:           8
        .value_kind:     by_value
      - .offset:         56
        .size:           8
        .value_kind:     by_value
      - .offset:         64
        .size:           8
        .value_kind:     by_value
      - .actual_access:  read_only
        .address_space:  global
        .offset:         72
        .size:           8
        .value_kind:     global_buffer
      - .actual_access:  read_only
        .address_space:  global
        .offset:         80
        .size:           8
        .value_kind:     global_buffer
    .group_segment_fixed_size: 0
    .kernarg_segment_align: 8
    .kernarg_segment_size: 88
    .language:       OpenCL C
    .language_version:
      - 2
      - 0
    .max_flat_workgroup_size: 1024
    .name:           _ZL38rocblas_dot_kernel_gfx942_float_doubleIlLi1024E19rocblas_complex_numIfEPKPKS1_S1_EviT2_lT_lS6_lS7_lPT3_PT1_
    .private_segment_fixed_size: 0
    .sgpr_count:     4
    .sgpr_spill_count: 0
    .symbol:         _ZL38rocblas_dot_kernel_gfx942_float_doubleIlLi1024E19rocblas_complex_numIfEPKPKS1_S1_EviT2_lT_lS6_lS7_lPT3_PT1_.kd
    .uniform_work_group_size: 1
    .uses_dynamic_stack: false
    .vgpr_count:     0
    .vgpr_spill_count: 0
    .wavefront_size: 64
  - .agpr_count:     0
    .args:
      - .offset:         0
        .size:           4
        .value_kind:     by_value
      - .actual_access:  read_only
        .address_space:  global
        .offset:         8
        .size:           8
        .value_kind:     global_buffer
      - .offset:         16
        .size:           8
        .value_kind:     by_value
      - .offset:         24
        .size:           8
        .value_kind:     by_value
      - .offset:         32
        .size:           8
        .value_kind:     by_value
      - .actual_access:  read_only
        .address_space:  global
        .offset:         40
        .size:           8
        .value_kind:     global_buffer
      - .offset:         48
        .size:           8
        .value_kind:     by_value
      - .offset:         56
        .size:           8
        .value_kind:     by_value
      - .offset:         64
        .size:           8
        .value_kind:     by_value
      - .offset:         72
        .size:           4
        .value_kind:     by_value
      - .actual_access:  write_only
        .address_space:  global
        .offset:         80
        .size:           8
        .value_kind:     global_buffer
      - .actual_access:  write_only
        .address_space:  global
        .offset:         88
        .size:           8
        .value_kind:     global_buffer
      - .offset:         96
        .size:           4
        .value_kind:     hidden_block_count_x
      - .offset:         100
        .size:           4
        .value_kind:     hidden_block_count_y
      - .offset:         104
        .size:           4
        .value_kind:     hidden_block_count_z
      - .offset:         108
        .size:           2
        .value_kind:     hidden_group_size_x
      - .offset:         110
        .size:           2
        .value_kind:     hidden_group_size_y
      - .offset:         112
        .size:           2
        .value_kind:     hidden_group_size_z
      - .offset:         114
        .size:           2
        .value_kind:     hidden_remainder_x
      - .offset:         116
        .size:           2
        .value_kind:     hidden_remainder_y
      - .offset:         118
        .size:           2
        .value_kind:     hidden_remainder_z
      - .offset:         136
        .size:           8
        .value_kind:     hidden_global_offset_x
      - .offset:         144
        .size:           8
        .value_kind:     hidden_global_offset_y
      - .offset:         152
        .size:           8
        .value_kind:     hidden_global_offset_z
      - .offset:         160
        .size:           2
        .value_kind:     hidden_grid_dims
    .group_segment_fixed_size: 512
    .kernarg_segment_align: 8
    .kernarg_segment_size: 352
    .language:       OpenCL C
    .language_version:
      - 2
      - 0
    .max_flat_workgroup_size: 512
    .name:           _ZL18rocblas_dot_kernelIlLb0ELi512ELi2ELb0E19rocblas_complex_numIfEPKPKS1_S1_EviT5_lT_lS6_lS7_liPT6_PT4_
    .private_segment_fixed_size: 0
    .sgpr_count:     28
    .sgpr_spill_count: 0
    .symbol:         _ZL18rocblas_dot_kernelIlLb0ELi512ELi2ELb0E19rocblas_complex_numIfEPKPKS1_S1_EviT5_lT_lS6_lS7_liPT6_PT4_.kd
    .uniform_work_group_size: 1
    .uses_dynamic_stack: false
    .vgpr_count:     12
    .vgpr_spill_count: 0
    .wavefront_size: 64
  - .agpr_count:     0
    .args:
      - .offset:         0
        .size:           4
        .value_kind:     by_value
      - .actual_access:  read_only
        .address_space:  global
        .offset:         8
        .size:           8
        .value_kind:     global_buffer
      - .offset:         16
        .size:           8
        .value_kind:     by_value
      - .offset:         24
        .size:           8
        .value_kind:     by_value
      - .offset:         32
        .size:           8
        .value_kind:     by_value
      - .offset:         40
        .size:           4
        .value_kind:     by_value
      - .actual_access:  write_only
        .address_space:  global
        .offset:         48
        .size:           8
        .value_kind:     global_buffer
      - .actual_access:  write_only
        .address_space:  global
        .offset:         56
        .size:           8
        .value_kind:     global_buffer
      - .offset:         64
        .size:           4
        .value_kind:     hidden_block_count_x
      - .offset:         68
        .size:           4
        .value_kind:     hidden_block_count_y
      - .offset:         72
        .size:           4
        .value_kind:     hidden_block_count_z
      - .offset:         76
        .size:           2
        .value_kind:     hidden_group_size_x
      - .offset:         78
        .size:           2
        .value_kind:     hidden_group_size_y
      - .offset:         80
        .size:           2
        .value_kind:     hidden_group_size_z
      - .offset:         82
        .size:           2
        .value_kind:     hidden_remainder_x
      - .offset:         84
        .size:           2
        .value_kind:     hidden_remainder_y
      - .offset:         86
        .size:           2
        .value_kind:     hidden_remainder_z
      - .offset:         104
        .size:           8
        .value_kind:     hidden_global_offset_x
      - .offset:         112
        .size:           8
        .value_kind:     hidden_global_offset_y
      - .offset:         120
        .size:           8
        .value_kind:     hidden_global_offset_z
      - .offset:         128
        .size:           2
        .value_kind:     hidden_grid_dims
    .group_segment_fixed_size: 512
    .kernarg_segment_align: 8
    .kernarg_segment_size: 320
    .language:       OpenCL C
    .language_version:
      - 2
      - 0
    .max_flat_workgroup_size: 512
    .name:           _ZL24rocblas_dot_kernel_magsqIlLb0ELi512ELi2ELb0E19rocblas_complex_numIfEPKPKS1_S1_EviT5_lT_liPT6_PT4_
    .private_segment_fixed_size: 0
    .sgpr_count:     22
    .sgpr_spill_count: 0
    .symbol:         _ZL24rocblas_dot_kernel_magsqIlLb0ELi512ELi2ELb0E19rocblas_complex_numIfEPKPKS1_S1_EviT5_lT_liPT6_PT4_.kd
    .uniform_work_group_size: 1
    .uses_dynamic_stack: false
    .vgpr_count:     11
    .vgpr_spill_count: 0
    .wavefront_size: 64
  - .agpr_count:     0
    .args:
      - .offset:         0
        .size:           4
        .value_kind:     by_value
      - .actual_access:  read_only
        .address_space:  global
        .offset:         8
        .size:           8
        .value_kind:     global_buffer
      - .offset:         16
        .size:           8
        .value_kind:     by_value
      - .offset:         24
        .size:           4
        .value_kind:     by_value
      - .offset:         32
        .size:           8
        .value_kind:     by_value
      - .actual_access:  read_only
        .address_space:  global
        .offset:         40
        .size:           8
        .value_kind:     global_buffer
      - .offset:         48
        .size:           8
        .value_kind:     by_value
      - .offset:         56
        .size:           4
        .value_kind:     by_value
      - .offset:         64
        .size:           8
        .value_kind:     by_value
      - .offset:         72
        .size:           4
        .value_kind:     by_value
      - .actual_access:  write_only
        .address_space:  global
        .offset:         80
        .size:           8
        .value_kind:     global_buffer
    .group_segment_fixed_size: 0
    .kernarg_segment_align: 8
    .kernarg_segment_size: 88
    .language:       OpenCL C
    .language_version:
      - 2
      - 0
    .max_flat_workgroup_size: 128
    .name:           _ZL28rocblas_dot_batched_4_kernelIiLi32ELi4ELb0E19rocblas_complex_numIdES1_PKPKS1_EviT5_lT_lS6_lS7_liPT4_
    .private_segment_fixed_size: 0
    .sgpr_count:     24
    .sgpr_spill_count: 0
    .symbol:         _ZL28rocblas_dot_batched_4_kernelIiLi32ELi4ELb0E19rocblas_complex_numIdES1_PKPKS1_EviT5_lT_lS6_lS7_liPT4_.kd
    .uniform_work_group_size: 1
    .uses_dynamic_stack: false
    .vgpr_count:     24
    .vgpr_spill_count: 0
    .wavefront_size: 64
  - .agpr_count:     0
    .args:
      - .offset:         0
        .size:           4
        .value_kind:     by_value
      - .actual_access:  read_only
        .address_space:  global
        .offset:         8
        .size:           8
        .value_kind:     global_buffer
      - .offset:         16
        .size:           8
        .value_kind:     by_value
      - .offset:         24
        .size:           4
        .value_kind:     by_value
      - .offset:         32
        .size:           8
        .value_kind:     by_value
      - .actual_access:  read_only
        .address_space:  global
        .offset:         40
        .size:           8
        .value_kind:     global_buffer
      - .offset:         48
        .size:           8
        .value_kind:     by_value
      - .offset:         56
        .size:           4
        .value_kind:     by_value
      - .offset:         64
        .size:           8
        .value_kind:     by_value
      - .offset:         72
        .size:           4
        .value_kind:     by_value
      - .actual_access:  write_only
        .address_space:  global
        .offset:         80
        .size:           8
        .value_kind:     global_buffer
    .group_segment_fixed_size: 0
    .kernarg_segment_align: 8
    .kernarg_segment_size: 88
    .language:       OpenCL C
    .language_version:
      - 2
      - 0
    .max_flat_workgroup_size: 256
    .name:           _ZL28rocblas_dot_batched_4_kernelIiLi64ELi4ELb0E19rocblas_complex_numIdES1_PKPKS1_EviT5_lT_lS6_lS7_liPT4_
    .private_segment_fixed_size: 0
    .sgpr_count:     24
    .sgpr_spill_count: 0
    .symbol:         _ZL28rocblas_dot_batched_4_kernelIiLi64ELi4ELb0E19rocblas_complex_numIdES1_PKPKS1_EviT5_lT_lS6_lS7_liPT4_.kd
    .uniform_work_group_size: 1
    .uses_dynamic_stack: false
    .vgpr_count:     24
    .vgpr_spill_count: 0
    .wavefront_size: 64
  - .agpr_count:     0
    .args:
      - .offset:         0
        .size:           4
        .value_kind:     by_value
      - .actual_access:  read_only
        .address_space:  global
        .offset:         8
        .size:           8
        .value_kind:     global_buffer
      - .offset:         16
        .size:           8
        .value_kind:     by_value
      - .offset:         24
        .size:           8
        .value_kind:     by_value
      - .actual_access:  read_only
        .address_space:  global
        .offset:         32
        .size:           8
        .value_kind:     global_buffer
      - .offset:         40
        .size:           8
        .value_kind:     by_value
      - .offset:         48
        .size:           8
        .value_kind:     by_value
      - .offset:         56
        .size:           4
        .value_kind:     by_value
      - .actual_access:  read_only
        .address_space:  global
        .offset:         64
        .size:           8
        .value_kind:     global_buffer
      - .actual_access:  write_only
        .address_space:  global
        .offset:         72
        .size:           8
        .value_kind:     global_buffer
    .group_segment_fixed_size: 1024
    .kernarg_segment_align: 8
    .kernarg_segment_size: 80
    .language:       OpenCL C
    .language_version:
      - 2
      - 0
    .max_flat_workgroup_size: 1024
    .name:           _ZL26rocblas_dot_kernel_inc1by2ILb1ELi1024ELi32ELb0E19rocblas_complex_numIdEPKPKS1_S1_EviT4_llS6_lliPT5_PT3_
    .private_segment_fixed_size: 0
    .sgpr_count:     24
    .sgpr_spill_count: 0
    .symbol:         _ZL26rocblas_dot_kernel_inc1by2ILb1ELi1024ELi32ELb0E19rocblas_complex_numIdEPKPKS1_S1_EviT4_llS6_lliPT5_PT3_.kd
    .uniform_work_group_size: 1
    .uses_dynamic_stack: false
    .vgpr_count:     20
    .vgpr_spill_count: 0
    .wavefront_size: 64
  - .agpr_count:     0
    .args:
      - .offset:         0
        .size:           4
        .value_kind:     by_value
      - .actual_access:  read_only
        .address_space:  global
        .offset:         8
        .size:           8
        .value_kind:     global_buffer
      - .offset:         16
        .size:           8
        .value_kind:     by_value
      - .offset:         24
        .size:           4
        .value_kind:     by_value
      - .offset:         32
        .size:           8
        .value_kind:     by_value
      - .actual_access:  read_only
        .address_space:  global
        .offset:         40
        .size:           8
        .value_kind:     global_buffer
      - .offset:         48
        .size:           8
        .value_kind:     by_value
      - .offset:         56
        .size:           4
        .value_kind:     by_value
      - .offset:         64
        .size:           8
        .value_kind:     by_value
      - .offset:         72
        .size:           4
        .value_kind:     by_value
      - .actual_access:  read_only
        .address_space:  global
        .offset:         80
        .size:           8
        .value_kind:     global_buffer
      - .actual_access:  write_only
        .address_space:  global
        .offset:         88
        .size:           8
        .value_kind:     global_buffer
      - .offset:         96
        .size:           4
        .value_kind:     hidden_block_count_x
      - .offset:         100
        .size:           4
        .value_kind:     hidden_block_count_y
      - .offset:         104
        .size:           4
        .value_kind:     hidden_block_count_z
      - .offset:         108
        .size:           2
        .value_kind:     hidden_group_size_x
      - .offset:         110
        .size:           2
        .value_kind:     hidden_group_size_y
      - .offset:         112
        .size:           2
        .value_kind:     hidden_group_size_z
      - .offset:         114
        .size:           2
        .value_kind:     hidden_remainder_x
      - .offset:         116
        .size:           2
        .value_kind:     hidden_remainder_y
      - .offset:         118
        .size:           2
        .value_kind:     hidden_remainder_z
      - .offset:         136
        .size:           8
        .value_kind:     hidden_global_offset_x
      - .offset:         144
        .size:           8
        .value_kind:     hidden_global_offset_y
      - .offset:         152
        .size:           8
        .value_kind:     hidden_global_offset_z
      - .offset:         160
        .size:           2
        .value_kind:     hidden_grid_dims
    .group_segment_fixed_size: 1024
    .kernarg_segment_align: 8
    .kernarg_segment_size: 352
    .language:       OpenCL C
    .language_version:
      - 2
      - 0
    .max_flat_workgroup_size: 1024
    .name:           _ZL18rocblas_dot_kernelIiLb1ELi1024ELi32ELb0E19rocblas_complex_numIdEPKPKS1_S1_EviT5_lT_lS6_lS7_liPT6_PT4_
    .private_segment_fixed_size: 0
    .sgpr_count:     29
    .sgpr_spill_count: 0
    .symbol:         _ZL18rocblas_dot_kernelIiLb1ELi1024ELi32ELb0E19rocblas_complex_numIdEPKPKS1_S1_EviT5_lT_lS6_lS7_liPT6_PT4_.kd
    .uniform_work_group_size: 1
    .uses_dynamic_stack: false
    .vgpr_count:     22
    .vgpr_spill_count: 0
    .wavefront_size: 64
  - .agpr_count:     0
    .args:
      - .offset:         0
        .size:           4
        .value_kind:     by_value
      - .actual_access:  read_only
        .address_space:  global
        .offset:         8
        .size:           8
        .value_kind:     global_buffer
      - .offset:         16
        .size:           8
        .value_kind:     by_value
      - .offset:         24
        .size:           4
        .value_kind:     by_value
      - .offset:         32
        .size:           8
        .value_kind:     by_value
      - .offset:         40
        .size:           4
        .value_kind:     by_value
      - .actual_access:  read_only
        .address_space:  global
        .offset:         48
        .size:           8
        .value_kind:     global_buffer
      - .actual_access:  write_only
        .address_space:  global
        .offset:         56
        .size:           8
        .value_kind:     global_buffer
      - .offset:         64
        .size:           4
        .value_kind:     hidden_block_count_x
      - .offset:         68
        .size:           4
        .value_kind:     hidden_block_count_y
      - .offset:         72
        .size:           4
        .value_kind:     hidden_block_count_z
      - .offset:         76
        .size:           2
        .value_kind:     hidden_group_size_x
      - .offset:         78
        .size:           2
        .value_kind:     hidden_group_size_y
      - .offset:         80
        .size:           2
        .value_kind:     hidden_group_size_z
      - .offset:         82
        .size:           2
        .value_kind:     hidden_remainder_x
      - .offset:         84
        .size:           2
        .value_kind:     hidden_remainder_y
      - .offset:         86
        .size:           2
        .value_kind:     hidden_remainder_z
      - .offset:         104
        .size:           8
        .value_kind:     hidden_global_offset_x
      - .offset:         112
        .size:           8
        .value_kind:     hidden_global_offset_y
      - .offset:         120
        .size:           8
        .value_kind:     hidden_global_offset_z
      - .offset:         128
        .size:           2
        .value_kind:     hidden_grid_dims
    .group_segment_fixed_size: 1024
    .kernarg_segment_align: 8
    .kernarg_segment_size: 320
    .language:       OpenCL C
    .language_version:
      - 2
      - 0
    .max_flat_workgroup_size: 1024
    .name:           _ZL24rocblas_dot_kernel_magsqIiLb1ELi1024ELi32ELb0E19rocblas_complex_numIdEPKPKS1_S1_EviT5_lT_liPT6_PT4_
    .private_segment_fixed_size: 0
    .sgpr_count:     24
    .sgpr_spill_count: 0
    .symbol:         _ZL24rocblas_dot_kernel_magsqIiLb1ELi1024ELi32ELb0E19rocblas_complex_numIdEPKPKS1_S1_EviT5_lT_liPT6_PT4_.kd
    .uniform_work_group_size: 1
    .uses_dynamic_stack: false
    .vgpr_count:     16
    .vgpr_spill_count: 0
    .wavefront_size: 64
  - .agpr_count:     0
    .args:
      - .offset:         0
        .size:           4
        .value_kind:     by_value
      - .actual_access:  read_only
        .address_space:  global
        .offset:         8
        .size:           8
        .value_kind:     global_buffer
      - .offset:         16
        .size:           8
        .value_kind:     by_value
      - .offset:         24
        .size:           4
        .value_kind:     by_value
      - .offset:         32
        .size:           8
        .value_kind:     by_value
      - .actual_access:  read_only
        .address_space:  global
        .offset:         40
        .size:           8
        .value_kind:     global_buffer
      - .offset:         48
        .size:           8
        .value_kind:     by_value
      - .offset:         56
        .size:           4
        .value_kind:     by_value
      - .offset:         64
        .size:           8
        .value_kind:     by_value
      - .actual_access:  read_only
        .address_space:  global
        .offset:         72
        .size:           8
        .value_kind:     global_buffer
      - .actual_access:  read_only
        .address_space:  global
        .offset:         80
        .size:           8
        .value_kind:     global_buffer
    .group_segment_fixed_size: 0
    .kernarg_segment_align: 8
    .kernarg_segment_size: 88
    .language:       OpenCL C
    .language_version:
      - 2
      - 0
    .max_flat_workgroup_size: 1024
    .name:           _ZL38rocblas_dot_kernel_gfx942_float_doubleIiLi1024E19rocblas_complex_numIdEPKPKS1_S1_EviT2_lT_lS6_lS7_lPT3_PT1_
    .private_segment_fixed_size: 0
    .sgpr_count:     4
    .sgpr_spill_count: 0
    .symbol:         _ZL38rocblas_dot_kernel_gfx942_float_doubleIiLi1024E19rocblas_complex_numIdEPKPKS1_S1_EviT2_lT_lS6_lS7_lPT3_PT1_.kd
    .uniform_work_group_size: 1
    .uses_dynamic_stack: false
    .vgpr_count:     0
    .vgpr_spill_count: 0
    .wavefront_size: 64
  - .agpr_count:     0
    .args:
      - .offset:         0
        .size:           4
        .value_kind:     by_value
      - .actual_access:  read_only
        .address_space:  global
        .offset:         8
        .size:           8
        .value_kind:     global_buffer
      - .offset:         16
        .size:           8
        .value_kind:     by_value
      - .offset:         24
        .size:           8
        .value_kind:     by_value
      - .actual_access:  read_only
        .address_space:  global
        .offset:         32
        .size:           8
        .value_kind:     global_buffer
      - .offset:         40
        .size:           8
        .value_kind:     by_value
      - .offset:         48
        .size:           8
        .value_kind:     by_value
      - .offset:         56
        .size:           4
        .value_kind:     by_value
      - .actual_access:  write_only
        .address_space:  global
        .offset:         64
        .size:           8
        .value_kind:     global_buffer
      - .actual_access:  write_only
        .address_space:  global
        .offset:         72
        .size:           8
        .value_kind:     global_buffer
      - .offset:         80
        .size:           4
        .value_kind:     hidden_block_count_x
      - .offset:         84
        .size:           4
        .value_kind:     hidden_block_count_y
      - .offset:         88
        .size:           4
        .value_kind:     hidden_block_count_z
      - .offset:         92
        .size:           2
        .value_kind:     hidden_group_size_x
      - .offset:         94
        .size:           2
        .value_kind:     hidden_group_size_y
      - .offset:         96
        .size:           2
        .value_kind:     hidden_group_size_z
      - .offset:         98
        .size:           2
        .value_kind:     hidden_remainder_x
      - .offset:         100
        .size:           2
        .value_kind:     hidden_remainder_y
      - .offset:         102
        .size:           2
        .value_kind:     hidden_remainder_z
      - .offset:         120
        .size:           8
        .value_kind:     hidden_global_offset_x
      - .offset:         128
        .size:           8
        .value_kind:     hidden_global_offset_y
      - .offset:         136
        .size:           8
        .value_kind:     hidden_global_offset_z
      - .offset:         144
        .size:           2
        .value_kind:     hidden_grid_dims
    .group_segment_fixed_size: 1024
    .kernarg_segment_align: 8
    .kernarg_segment_size: 336
    .language:       OpenCL C
    .language_version:
      - 2
      - 0
    .max_flat_workgroup_size: 512
    .name:           _ZL23rocblas_dot_kernel_inc1ILb0ELi512ELi2ELb0E19rocblas_complex_numIdEPKPKS1_S1_EviT4_llS6_lliPT5_PT3_
    .private_segment_fixed_size: 0
    .sgpr_count:     26
    .sgpr_spill_count: 0
    .symbol:         _ZL23rocblas_dot_kernel_inc1ILb0ELi512ELi2ELb0E19rocblas_complex_numIdEPKPKS1_S1_EviT4_llS6_lliPT5_PT3_.kd
    .uniform_work_group_size: 1
    .uses_dynamic_stack: false
    .vgpr_count:     16
    .vgpr_spill_count: 0
    .wavefront_size: 64
  - .agpr_count:     0
    .args:
      - .offset:         0
        .size:           4
        .value_kind:     by_value
      - .actual_access:  read_only
        .address_space:  global
        .offset:         8
        .size:           8
        .value_kind:     global_buffer
      - .offset:         16
        .size:           8
        .value_kind:     by_value
      - .offset:         24
        .size:           4
        .value_kind:     by_value
      - .offset:         32
        .size:           8
        .value_kind:     by_value
      - .actual_access:  read_only
        .address_space:  global
        .offset:         40
        .size:           8
        .value_kind:     global_buffer
      - .offset:         48
        .size:           8
        .value_kind:     by_value
      - .offset:         56
        .size:           4
        .value_kind:     by_value
      - .offset:         64
        .size:           8
        .value_kind:     by_value
      - .offset:         72
        .size:           4
        .value_kind:     by_value
      - .actual_access:  write_only
        .address_space:  global
        .offset:         80
        .size:           8
        .value_kind:     global_buffer
      - .actual_access:  write_only
        .address_space:  global
        .offset:         88
        .size:           8
        .value_kind:     global_buffer
      - .offset:         96
        .size:           4
        .value_kind:     hidden_block_count_x
      - .offset:         100
        .size:           4
        .value_kind:     hidden_block_count_y
      - .offset:         104
        .size:           4
        .value_kind:     hidden_block_count_z
      - .offset:         108
        .size:           2
        .value_kind:     hidden_group_size_x
      - .offset:         110
        .size:           2
        .value_kind:     hidden_group_size_y
      - .offset:         112
        .size:           2
        .value_kind:     hidden_group_size_z
      - .offset:         114
        .size:           2
        .value_kind:     hidden_remainder_x
      - .offset:         116
        .size:           2
        .value_kind:     hidden_remainder_y
      - .offset:         118
        .size:           2
        .value_kind:     hidden_remainder_z
      - .offset:         136
        .size:           8
        .value_kind:     hidden_global_offset_x
      - .offset:         144
        .size:           8
        .value_kind:     hidden_global_offset_y
      - .offset:         152
        .size:           8
        .value_kind:     hidden_global_offset_z
      - .offset:         160
        .size:           2
        .value_kind:     hidden_grid_dims
    .group_segment_fixed_size: 1024
    .kernarg_segment_align: 8
    .kernarg_segment_size: 352
    .language:       OpenCL C
    .language_version:
      - 2
      - 0
    .max_flat_workgroup_size: 512
    .name:           _ZL18rocblas_dot_kernelIiLb0ELi512ELi2ELb0E19rocblas_complex_numIdEPKPKS1_S1_EviT5_lT_lS6_lS7_liPT6_PT4_
    .private_segment_fixed_size: 0
    .sgpr_count:     30
    .sgpr_spill_count: 0
    .symbol:         _ZL18rocblas_dot_kernelIiLb0ELi512ELi2ELb0E19rocblas_complex_numIdEPKPKS1_S1_EviT5_lT_lS6_lS7_liPT6_PT4_.kd
    .uniform_work_group_size: 1
    .uses_dynamic_stack: false
    .vgpr_count:     16
    .vgpr_spill_count: 0
    .wavefront_size: 64
  - .agpr_count:     0
    .args:
      - .offset:         0
        .size:           4
        .value_kind:     by_value
      - .actual_access:  read_only
        .address_space:  global
        .offset:         8
        .size:           8
        .value_kind:     global_buffer
      - .offset:         16
        .size:           8
        .value_kind:     by_value
      - .offset:         24
        .size:           4
        .value_kind:     by_value
      - .offset:         32
        .size:           8
        .value_kind:     by_value
      - .offset:         40
        .size:           4
        .value_kind:     by_value
      - .actual_access:  write_only
        .address_space:  global
        .offset:         48
        .size:           8
        .value_kind:     global_buffer
      - .actual_access:  write_only
        .address_space:  global
        .offset:         56
        .size:           8
        .value_kind:     global_buffer
      - .offset:         64
        .size:           4
        .value_kind:     hidden_block_count_x
      - .offset:         68
        .size:           4
        .value_kind:     hidden_block_count_y
      - .offset:         72
        .size:           4
        .value_kind:     hidden_block_count_z
      - .offset:         76
        .size:           2
        .value_kind:     hidden_group_size_x
      - .offset:         78
        .size:           2
        .value_kind:     hidden_group_size_y
      - .offset:         80
        .size:           2
        .value_kind:     hidden_group_size_z
      - .offset:         82
        .size:           2
        .value_kind:     hidden_remainder_x
      - .offset:         84
        .size:           2
        .value_kind:     hidden_remainder_y
      - .offset:         86
        .size:           2
        .value_kind:     hidden_remainder_z
      - .offset:         104
        .size:           8
        .value_kind:     hidden_global_offset_x
      - .offset:         112
        .size:           8
        .value_kind:     hidden_global_offset_y
      - .offset:         120
        .size:           8
        .value_kind:     hidden_global_offset_z
      - .offset:         128
        .size:           2
        .value_kind:     hidden_grid_dims
    .group_segment_fixed_size: 1024
    .kernarg_segment_align: 8
    .kernarg_segment_size: 320
    .language:       OpenCL C
    .language_version:
      - 2
      - 0
    .max_flat_workgroup_size: 512
    .name:           _ZL24rocblas_dot_kernel_magsqIiLb0ELi512ELi2ELb0E19rocblas_complex_numIdEPKPKS1_S1_EviT5_lT_liPT6_PT4_
    .private_segment_fixed_size: 0
    .sgpr_count:     20
    .sgpr_spill_count: 0
    .symbol:         _ZL24rocblas_dot_kernel_magsqIiLb0ELi512ELi2ELb0E19rocblas_complex_numIdEPKPKS1_S1_EviT5_lT_liPT6_PT4_.kd
    .uniform_work_group_size: 1
    .uses_dynamic_stack: false
    .vgpr_count:     15
    .vgpr_spill_count: 0
    .wavefront_size: 64
  - .agpr_count:     0
    .args:
      - .offset:         0
        .size:           4
        .value_kind:     by_value
      - .actual_access:  read_only
        .address_space:  global
        .offset:         8
        .size:           8
        .value_kind:     global_buffer
      - .offset:         16
        .size:           8
        .value_kind:     by_value
      - .offset:         24
        .size:           8
        .value_kind:     by_value
      - .offset:         32
        .size:           8
        .value_kind:     by_value
      - .actual_access:  read_only
        .address_space:  global
        .offset:         40
        .size:           8
        .value_kind:     global_buffer
      - .offset:         48
        .size:           8
        .value_kind:     by_value
      - .offset:         56
        .size:           8
        .value_kind:     by_value
      - .offset:         64
        .size:           8
        .value_kind:     by_value
      - .offset:         72
        .size:           4
        .value_kind:     by_value
      - .actual_access:  write_only
        .address_space:  global
        .offset:         80
        .size:           8
        .value_kind:     global_buffer
    .group_segment_fixed_size: 0
    .kernarg_segment_align: 8
    .kernarg_segment_size: 88
    .language:       OpenCL C
    .language_version:
      - 2
      - 0
    .max_flat_workgroup_size: 128
    .name:           _ZL28rocblas_dot_batched_4_kernelIlLi32ELi4ELb0E19rocblas_complex_numIdES1_PKPKS1_EviT5_lT_lS6_lS7_liPT4_
    .private_segment_fixed_size: 0
    .sgpr_count:     24
    .sgpr_spill_count: 0
    .symbol:         _ZL28rocblas_dot_batched_4_kernelIlLi32ELi4ELb0E19rocblas_complex_numIdES1_PKPKS1_EviT5_lT_lS6_lS7_liPT4_.kd
    .uniform_work_group_size: 1
    .uses_dynamic_stack: false
    .vgpr_count:     24
    .vgpr_spill_count: 0
    .wavefront_size: 64
  - .agpr_count:     0
    .args:
      - .offset:         0
        .size:           4
        .value_kind:     by_value
      - .actual_access:  read_only
        .address_space:  global
        .offset:         8
        .size:           8
        .value_kind:     global_buffer
      - .offset:         16
        .size:           8
        .value_kind:     by_value
      - .offset:         24
        .size:           8
        .value_kind:     by_value
      - .offset:         32
        .size:           8
        .value_kind:     by_value
      - .actual_access:  read_only
        .address_space:  global
        .offset:         40
        .size:           8
        .value_kind:     global_buffer
      - .offset:         48
        .size:           8
        .value_kind:     by_value
      - .offset:         56
        .size:           8
        .value_kind:     by_value
      - .offset:         64
        .size:           8
        .value_kind:     by_value
      - .offset:         72
        .size:           4
        .value_kind:     by_value
      - .actual_access:  write_only
        .address_space:  global
        .offset:         80
        .size:           8
        .value_kind:     global_buffer
    .group_segment_fixed_size: 0
    .kernarg_segment_align: 8
    .kernarg_segment_size: 88
    .language:       OpenCL C
    .language_version:
      - 2
      - 0
    .max_flat_workgroup_size: 256
    .name:           _ZL28rocblas_dot_batched_4_kernelIlLi64ELi4ELb0E19rocblas_complex_numIdES1_PKPKS1_EviT5_lT_lS6_lS7_liPT4_
    .private_segment_fixed_size: 0
    .sgpr_count:     24
    .sgpr_spill_count: 0
    .symbol:         _ZL28rocblas_dot_batched_4_kernelIlLi64ELi4ELb0E19rocblas_complex_numIdES1_PKPKS1_EviT5_lT_lS6_lS7_liPT4_.kd
    .uniform_work_group_size: 1
    .uses_dynamic_stack: false
    .vgpr_count:     24
    .vgpr_spill_count: 0
    .wavefront_size: 64
  - .agpr_count:     0
    .args:
      - .offset:         0
        .size:           4
        .value_kind:     by_value
      - .actual_access:  read_only
        .address_space:  global
        .offset:         8
        .size:           8
        .value_kind:     global_buffer
      - .offset:         16
        .size:           8
        .value_kind:     by_value
      - .offset:         24
        .size:           8
        .value_kind:     by_value
      - .offset:         32
        .size:           8
        .value_kind:     by_value
      - .actual_access:  read_only
        .address_space:  global
        .offset:         40
        .size:           8
        .value_kind:     global_buffer
      - .offset:         48
        .size:           8
        .value_kind:     by_value
      - .offset:         56
        .size:           8
        .value_kind:     by_value
      - .offset:         64
        .size:           8
        .value_kind:     by_value
      - .offset:         72
        .size:           4
        .value_kind:     by_value
      - .actual_access:  read_only
        .address_space:  global
        .offset:         80
        .size:           8
        .value_kind:     global_buffer
      - .actual_access:  write_only
        .address_space:  global
        .offset:         88
        .size:           8
        .value_kind:     global_buffer
      - .offset:         96
        .size:           4
        .value_kind:     hidden_block_count_x
      - .offset:         100
        .size:           4
        .value_kind:     hidden_block_count_y
      - .offset:         104
        .size:           4
        .value_kind:     hidden_block_count_z
      - .offset:         108
        .size:           2
        .value_kind:     hidden_group_size_x
      - .offset:         110
        .size:           2
        .value_kind:     hidden_group_size_y
      - .offset:         112
        .size:           2
        .value_kind:     hidden_group_size_z
      - .offset:         114
        .size:           2
        .value_kind:     hidden_remainder_x
      - .offset:         116
        .size:           2
        .value_kind:     hidden_remainder_y
      - .offset:         118
        .size:           2
        .value_kind:     hidden_remainder_z
      - .offset:         136
        .size:           8
        .value_kind:     hidden_global_offset_x
      - .offset:         144
        .size:           8
        .value_kind:     hidden_global_offset_y
      - .offset:         152
        .size:           8
        .value_kind:     hidden_global_offset_z
      - .offset:         160
        .size:           2
        .value_kind:     hidden_grid_dims
    .group_segment_fixed_size: 1024
    .kernarg_segment_align: 8
    .kernarg_segment_size: 352
    .language:       OpenCL C
    .language_version:
      - 2
      - 0
    .max_flat_workgroup_size: 1024
    .name:           _ZL18rocblas_dot_kernelIlLb1ELi1024ELi32ELb0E19rocblas_complex_numIdEPKPKS1_S1_EviT5_lT_lS6_lS7_liPT6_PT4_
    .private_segment_fixed_size: 0
    .sgpr_count:     30
    .sgpr_spill_count: 0
    .symbol:         _ZL18rocblas_dot_kernelIlLb1ELi1024ELi32ELb0E19rocblas_complex_numIdEPKPKS1_S1_EviT5_lT_lS6_lS7_liPT6_PT4_.kd
    .uniform_work_group_size: 1
    .uses_dynamic_stack: false
    .vgpr_count:     22
    .vgpr_spill_count: 0
    .wavefront_size: 64
  - .agpr_count:     0
    .args:
      - .offset:         0
        .size:           4
        .value_kind:     by_value
      - .actual_access:  read_only
        .address_space:  global
        .offset:         8
        .size:           8
        .value_kind:     global_buffer
      - .offset:         16
        .size:           8
        .value_kind:     by_value
      - .offset:         24
        .size:           8
        .value_kind:     by_value
      - .offset:         32
        .size:           8
        .value_kind:     by_value
      - .offset:         40
        .size:           4
        .value_kind:     by_value
      - .actual_access:  read_only
        .address_space:  global
        .offset:         48
        .size:           8
        .value_kind:     global_buffer
      - .actual_access:  write_only
        .address_space:  global
        .offset:         56
        .size:           8
        .value_kind:     global_buffer
      - .offset:         64
        .size:           4
        .value_kind:     hidden_block_count_x
      - .offset:         68
        .size:           4
        .value_kind:     hidden_block_count_y
      - .offset:         72
        .size:           4
        .value_kind:     hidden_block_count_z
      - .offset:         76
        .size:           2
        .value_kind:     hidden_group_size_x
      - .offset:         78
        .size:           2
        .value_kind:     hidden_group_size_y
      - .offset:         80
        .size:           2
        .value_kind:     hidden_group_size_z
      - .offset:         82
        .size:           2
        .value_kind:     hidden_remainder_x
      - .offset:         84
        .size:           2
        .value_kind:     hidden_remainder_y
      - .offset:         86
        .size:           2
        .value_kind:     hidden_remainder_z
      - .offset:         104
        .size:           8
        .value_kind:     hidden_global_offset_x
      - .offset:         112
        .size:           8
        .value_kind:     hidden_global_offset_y
      - .offset:         120
        .size:           8
        .value_kind:     hidden_global_offset_z
      - .offset:         128
        .size:           2
        .value_kind:     hidden_grid_dims
    .group_segment_fixed_size: 1024
    .kernarg_segment_align: 8
    .kernarg_segment_size: 320
    .language:       OpenCL C
    .language_version:
      - 2
      - 0
    .max_flat_workgroup_size: 1024
    .name:           _ZL24rocblas_dot_kernel_magsqIlLb1ELi1024ELi32ELb0E19rocblas_complex_numIdEPKPKS1_S1_EviT5_lT_liPT6_PT4_
    .private_segment_fixed_size: 0
    .sgpr_count:     24
    .sgpr_spill_count: 0
    .symbol:         _ZL24rocblas_dot_kernel_magsqIlLb1ELi1024ELi32ELb0E19rocblas_complex_numIdEPKPKS1_S1_EviT5_lT_liPT6_PT4_.kd
    .uniform_work_group_size: 1
    .uses_dynamic_stack: false
    .vgpr_count:     16
    .vgpr_spill_count: 0
    .wavefront_size: 64
  - .agpr_count:     0
    .args:
      - .offset:         0
        .size:           4
        .value_kind:     by_value
      - .actual_access:  read_only
        .address_space:  global
        .offset:         8
        .size:           8
        .value_kind:     global_buffer
      - .offset:         16
        .size:           8
        .value_kind:     by_value
      - .offset:         24
        .size:           8
        .value_kind:     by_value
      - .offset:         32
        .size:           8
        .value_kind:     by_value
      - .actual_access:  read_only
        .address_space:  global
        .offset:         40
        .size:           8
        .value_kind:     global_buffer
      - .offset:         48
        .size:           8
        .value_kind:     by_value
      - .offset:         56
        .size:           8
        .value_kind:     by_value
      - .offset:         64
        .size:           8
        .value_kind:     by_value
      - .actual_access:  read_only
        .address_space:  global
        .offset:         72
        .size:           8
        .value_kind:     global_buffer
      - .actual_access:  read_only
        .address_space:  global
        .offset:         80
        .size:           8
        .value_kind:     global_buffer
    .group_segment_fixed_size: 0
    .kernarg_segment_align: 8
    .kernarg_segment_size: 88
    .language:       OpenCL C
    .language_version:
      - 2
      - 0
    .max_flat_workgroup_size: 1024
    .name:           _ZL38rocblas_dot_kernel_gfx942_float_doubleIlLi1024E19rocblas_complex_numIdEPKPKS1_S1_EviT2_lT_lS6_lS7_lPT3_PT1_
    .private_segment_fixed_size: 0
    .sgpr_count:     4
    .sgpr_spill_count: 0
    .symbol:         _ZL38rocblas_dot_kernel_gfx942_float_doubleIlLi1024E19rocblas_complex_numIdEPKPKS1_S1_EviT2_lT_lS6_lS7_lPT3_PT1_.kd
    .uniform_work_group_size: 1
    .uses_dynamic_stack: false
    .vgpr_count:     0
    .vgpr_spill_count: 0
    .wavefront_size: 64
  - .agpr_count:     0
    .args:
      - .offset:         0
        .size:           4
        .value_kind:     by_value
      - .actual_access:  read_only
        .address_space:  global
        .offset:         8
        .size:           8
        .value_kind:     global_buffer
      - .offset:         16
        .size:           8
        .value_kind:     by_value
      - .offset:         24
        .size:           8
        .value_kind:     by_value
      - .offset:         32
        .size:           8
        .value_kind:     by_value
      - .actual_access:  read_only
        .address_space:  global
        .offset:         40
        .size:           8
        .value_kind:     global_buffer
      - .offset:         48
        .size:           8
        .value_kind:     by_value
      - .offset:         56
        .size:           8
        .value_kind:     by_value
      - .offset:         64
        .size:           8
        .value_kind:     by_value
      - .offset:         72
        .size:           4
        .value_kind:     by_value
      - .actual_access:  write_only
        .address_space:  global
        .offset:         80
        .size:           8
        .value_kind:     global_buffer
      - .actual_access:  write_only
        .address_space:  global
        .offset:         88
        .size:           8
        .value_kind:     global_buffer
      - .offset:         96
        .size:           4
        .value_kind:     hidden_block_count_x
      - .offset:         100
        .size:           4
        .value_kind:     hidden_block_count_y
      - .offset:         104
        .size:           4
        .value_kind:     hidden_block_count_z
      - .offset:         108
        .size:           2
        .value_kind:     hidden_group_size_x
      - .offset:         110
        .size:           2
        .value_kind:     hidden_group_size_y
      - .offset:         112
        .size:           2
        .value_kind:     hidden_group_size_z
      - .offset:         114
        .size:           2
        .value_kind:     hidden_remainder_x
      - .offset:         116
        .size:           2
        .value_kind:     hidden_remainder_y
      - .offset:         118
        .size:           2
        .value_kind:     hidden_remainder_z
      - .offset:         136
        .size:           8
        .value_kind:     hidden_global_offset_x
      - .offset:         144
        .size:           8
        .value_kind:     hidden_global_offset_y
      - .offset:         152
        .size:           8
        .value_kind:     hidden_global_offset_z
      - .offset:         160
        .size:           2
        .value_kind:     hidden_grid_dims
    .group_segment_fixed_size: 1024
    .kernarg_segment_align: 8
    .kernarg_segment_size: 352
    .language:       OpenCL C
    .language_version:
      - 2
      - 0
    .max_flat_workgroup_size: 512
    .name:           _ZL18rocblas_dot_kernelIlLb0ELi512ELi2ELb0E19rocblas_complex_numIdEPKPKS1_S1_EviT5_lT_lS6_lS7_liPT6_PT4_
    .private_segment_fixed_size: 0
    .sgpr_count:     28
    .sgpr_spill_count: 0
    .symbol:         _ZL18rocblas_dot_kernelIlLb0ELi512ELi2ELb0E19rocblas_complex_numIdEPKPKS1_S1_EviT5_lT_lS6_lS7_liPT6_PT4_.kd
    .uniform_work_group_size: 1
    .uses_dynamic_stack: false
    .vgpr_count:     16
    .vgpr_spill_count: 0
    .wavefront_size: 64
  - .agpr_count:     0
    .args:
      - .offset:         0
        .size:           4
        .value_kind:     by_value
      - .actual_access:  read_only
        .address_space:  global
        .offset:         8
        .size:           8
        .value_kind:     global_buffer
      - .offset:         16
        .size:           8
        .value_kind:     by_value
      - .offset:         24
        .size:           8
        .value_kind:     by_value
      - .offset:         32
        .size:           8
        .value_kind:     by_value
      - .offset:         40
        .size:           4
        .value_kind:     by_value
      - .actual_access:  write_only
        .address_space:  global
        .offset:         48
        .size:           8
        .value_kind:     global_buffer
      - .actual_access:  write_only
        .address_space:  global
        .offset:         56
        .size:           8
        .value_kind:     global_buffer
      - .offset:         64
        .size:           4
        .value_kind:     hidden_block_count_x
      - .offset:         68
        .size:           4
        .value_kind:     hidden_block_count_y
      - .offset:         72
        .size:           4
        .value_kind:     hidden_block_count_z
      - .offset:         76
        .size:           2
        .value_kind:     hidden_group_size_x
      - .offset:         78
        .size:           2
        .value_kind:     hidden_group_size_y
      - .offset:         80
        .size:           2
        .value_kind:     hidden_group_size_z
      - .offset:         82
        .size:           2
        .value_kind:     hidden_remainder_x
      - .offset:         84
        .size:           2
        .value_kind:     hidden_remainder_y
      - .offset:         86
        .size:           2
        .value_kind:     hidden_remainder_z
      - .offset:         104
        .size:           8
        .value_kind:     hidden_global_offset_x
      - .offset:         112
        .size:           8
        .value_kind:     hidden_global_offset_y
      - .offset:         120
        .size:           8
        .value_kind:     hidden_global_offset_z
      - .offset:         128
        .size:           2
        .value_kind:     hidden_grid_dims
    .group_segment_fixed_size: 1024
    .kernarg_segment_align: 8
    .kernarg_segment_size: 320
    .language:       OpenCL C
    .language_version:
      - 2
      - 0
    .max_flat_workgroup_size: 512
    .name:           _ZL24rocblas_dot_kernel_magsqIlLb0ELi512ELi2ELb0E19rocblas_complex_numIdEPKPKS1_S1_EviT5_lT_liPT6_PT4_
    .private_segment_fixed_size: 0
    .sgpr_count:     22
    .sgpr_spill_count: 0
    .symbol:         _ZL24rocblas_dot_kernel_magsqIlLb0ELi512ELi2ELb0E19rocblas_complex_numIdEPKPKS1_S1_EviT5_lT_liPT6_PT4_.kd
    .uniform_work_group_size: 1
    .uses_dynamic_stack: false
    .vgpr_count:     15
    .vgpr_spill_count: 0
    .wavefront_size: 64
  - .agpr_count:     0
    .args:
      - .offset:         0
        .size:           4
        .value_kind:     by_value
      - .actual_access:  read_only
        .address_space:  global
        .offset:         8
        .size:           8
        .value_kind:     global_buffer
      - .offset:         16
        .size:           8
        .value_kind:     by_value
      - .offset:         24
        .size:           4
        .value_kind:     by_value
      - .offset:         32
        .size:           8
        .value_kind:     by_value
      - .actual_access:  read_only
        .address_space:  global
        .offset:         40
        .size:           8
        .value_kind:     global_buffer
      - .offset:         48
        .size:           8
        .value_kind:     by_value
      - .offset:         56
        .size:           4
        .value_kind:     by_value
      - .offset:         64
        .size:           8
        .value_kind:     by_value
      - .offset:         72
        .size:           4
        .value_kind:     by_value
      - .actual_access:  write_only
        .address_space:  global
        .offset:         80
        .size:           8
        .value_kind:     global_buffer
    .group_segment_fixed_size: 0
    .kernarg_segment_align: 8
    .kernarg_segment_size: 88
    .language:       OpenCL C
    .language_version:
      - 2
      - 0
    .max_flat_workgroup_size: 128
    .name:           _ZL28rocblas_dot_batched_4_kernelIiLi32ELi4ELb1E19rocblas_complex_numIfES1_PKPKS1_EviT5_lT_lS6_lS7_liPT4_
    .private_segment_fixed_size: 0
    .sgpr_count:     22
    .sgpr_spill_count: 0
    .symbol:         _ZL28rocblas_dot_batched_4_kernelIiLi32ELi4ELb1E19rocblas_complex_numIfES1_PKPKS1_EviT5_lT_lS6_lS7_liPT4_.kd
    .uniform_work_group_size: 1
    .uses_dynamic_stack: false
    .vgpr_count:     20
    .vgpr_spill_count: 0
    .wavefront_size: 64
  - .agpr_count:     0
    .args:
      - .offset:         0
        .size:           4
        .value_kind:     by_value
      - .actual_access:  read_only
        .address_space:  global
        .offset:         8
        .size:           8
        .value_kind:     global_buffer
      - .offset:         16
        .size:           8
        .value_kind:     by_value
      - .offset:         24
        .size:           4
        .value_kind:     by_value
      - .offset:         32
        .size:           8
        .value_kind:     by_value
      - .actual_access:  read_only
        .address_space:  global
        .offset:         40
        .size:           8
        .value_kind:     global_buffer
      - .offset:         48
        .size:           8
        .value_kind:     by_value
      - .offset:         56
        .size:           4
        .value_kind:     by_value
      - .offset:         64
        .size:           8
        .value_kind:     by_value
      - .offset:         72
        .size:           4
        .value_kind:     by_value
      - .actual_access:  write_only
        .address_space:  global
        .offset:         80
        .size:           8
        .value_kind:     global_buffer
    .group_segment_fixed_size: 0
    .kernarg_segment_align: 8
    .kernarg_segment_size: 88
    .language:       OpenCL C
    .language_version:
      - 2
      - 0
    .max_flat_workgroup_size: 256
    .name:           _ZL28rocblas_dot_batched_4_kernelIiLi64ELi4ELb1E19rocblas_complex_numIfES1_PKPKS1_EviT5_lT_lS6_lS7_liPT4_
    .private_segment_fixed_size: 0
    .sgpr_count:     22
    .sgpr_spill_count: 0
    .symbol:         _ZL28rocblas_dot_batched_4_kernelIiLi64ELi4ELb1E19rocblas_complex_numIfES1_PKPKS1_EviT5_lT_lS6_lS7_liPT4_.kd
    .uniform_work_group_size: 1
    .uses_dynamic_stack: false
    .vgpr_count:     20
    .vgpr_spill_count: 0
    .wavefront_size: 64
  - .agpr_count:     0
    .args:
      - .offset:         0
        .size:           4
        .value_kind:     by_value
      - .actual_access:  read_only
        .address_space:  global
        .offset:         8
        .size:           8
        .value_kind:     global_buffer
      - .offset:         16
        .size:           8
        .value_kind:     by_value
      - .offset:         24
        .size:           8
        .value_kind:     by_value
      - .actual_access:  read_only
        .address_space:  global
        .offset:         32
        .size:           8
        .value_kind:     global_buffer
      - .offset:         40
        .size:           8
        .value_kind:     by_value
      - .offset:         48
        .size:           8
        .value_kind:     by_value
      - .offset:         56
        .size:           4
        .value_kind:     by_value
      - .actual_access:  read_only
        .address_space:  global
        .offset:         64
        .size:           8
        .value_kind:     global_buffer
      - .actual_access:  write_only
        .address_space:  global
        .offset:         72
        .size:           8
        .value_kind:     global_buffer
    .group_segment_fixed_size: 512
    .kernarg_segment_align: 8
    .kernarg_segment_size: 80
    .language:       OpenCL C
    .language_version:
      - 2
      - 0
    .max_flat_workgroup_size: 1024
    .name:           _ZL26rocblas_dot_kernel_inc1by2ILb1ELi1024ELi32ELb1E19rocblas_complex_numIfEPKPKS1_S1_EviT4_llS6_lliPT5_PT3_
    .private_segment_fixed_size: 0
    .sgpr_count:     24
    .sgpr_spill_count: 0
    .symbol:         _ZL26rocblas_dot_kernel_inc1by2ILb1ELi1024ELi32ELb1E19rocblas_complex_numIfEPKPKS1_S1_EviT4_llS6_lliPT5_PT3_.kd
    .uniform_work_group_size: 1
    .uses_dynamic_stack: false
    .vgpr_count:     16
    .vgpr_spill_count: 0
    .wavefront_size: 64
  - .agpr_count:     0
    .args:
      - .offset:         0
        .size:           4
        .value_kind:     by_value
      - .actual_access:  read_only
        .address_space:  global
        .offset:         8
        .size:           8
        .value_kind:     global_buffer
      - .offset:         16
        .size:           8
        .value_kind:     by_value
      - .offset:         24
        .size:           4
        .value_kind:     by_value
      - .offset:         32
        .size:           8
        .value_kind:     by_value
      - .actual_access:  read_only
        .address_space:  global
        .offset:         40
        .size:           8
        .value_kind:     global_buffer
      - .offset:         48
        .size:           8
        .value_kind:     by_value
      - .offset:         56
        .size:           4
        .value_kind:     by_value
      - .offset:         64
        .size:           8
        .value_kind:     by_value
      - .offset:         72
        .size:           4
        .value_kind:     by_value
      - .actual_access:  read_only
        .address_space:  global
        .offset:         80
        .size:           8
        .value_kind:     global_buffer
      - .actual_access:  write_only
        .address_space:  global
        .offset:         88
        .size:           8
        .value_kind:     global_buffer
      - .offset:         96
        .size:           4
        .value_kind:     hidden_block_count_x
      - .offset:         100
        .size:           4
        .value_kind:     hidden_block_count_y
      - .offset:         104
        .size:           4
        .value_kind:     hidden_block_count_z
      - .offset:         108
        .size:           2
        .value_kind:     hidden_group_size_x
      - .offset:         110
        .size:           2
        .value_kind:     hidden_group_size_y
      - .offset:         112
        .size:           2
        .value_kind:     hidden_group_size_z
      - .offset:         114
        .size:           2
        .value_kind:     hidden_remainder_x
      - .offset:         116
        .size:           2
        .value_kind:     hidden_remainder_y
      - .offset:         118
        .size:           2
        .value_kind:     hidden_remainder_z
      - .offset:         136
        .size:           8
        .value_kind:     hidden_global_offset_x
      - .offset:         144
        .size:           8
        .value_kind:     hidden_global_offset_y
      - .offset:         152
        .size:           8
        .value_kind:     hidden_global_offset_z
      - .offset:         160
        .size:           2
        .value_kind:     hidden_grid_dims
    .group_segment_fixed_size: 512
    .kernarg_segment_align: 8
    .kernarg_segment_size: 352
    .language:       OpenCL C
    .language_version:
      - 2
      - 0
    .max_flat_workgroup_size: 1024
    .name:           _ZL18rocblas_dot_kernelIiLb1ELi1024ELi32ELb1E19rocblas_complex_numIfEPKPKS1_S1_EviT5_lT_lS6_lS7_liPT6_PT4_
    .private_segment_fixed_size: 0
    .sgpr_count:     29
    .sgpr_spill_count: 0
    .symbol:         _ZL18rocblas_dot_kernelIiLb1ELi1024ELi32ELb1E19rocblas_complex_numIfEPKPKS1_S1_EviT5_lT_lS6_lS7_liPT6_PT4_.kd
    .uniform_work_group_size: 1
    .uses_dynamic_stack: false
    .vgpr_count:     18
    .vgpr_spill_count: 0
    .wavefront_size: 64
  - .agpr_count:     0
    .args:
      - .offset:         0
        .size:           4
        .value_kind:     by_value
      - .actual_access:  read_only
        .address_space:  global
        .offset:         8
        .size:           8
        .value_kind:     global_buffer
      - .offset:         16
        .size:           8
        .value_kind:     by_value
      - .offset:         24
        .size:           4
        .value_kind:     by_value
      - .offset:         32
        .size:           8
        .value_kind:     by_value
      - .offset:         40
        .size:           4
        .value_kind:     by_value
      - .actual_access:  read_only
        .address_space:  global
        .offset:         48
        .size:           8
        .value_kind:     global_buffer
      - .actual_access:  write_only
        .address_space:  global
        .offset:         56
        .size:           8
        .value_kind:     global_buffer
      - .offset:         64
        .size:           4
        .value_kind:     hidden_block_count_x
      - .offset:         68
        .size:           4
        .value_kind:     hidden_block_count_y
      - .offset:         72
        .size:           4
        .value_kind:     hidden_block_count_z
      - .offset:         76
        .size:           2
        .value_kind:     hidden_group_size_x
      - .offset:         78
        .size:           2
        .value_kind:     hidden_group_size_y
      - .offset:         80
        .size:           2
        .value_kind:     hidden_group_size_z
      - .offset:         82
        .size:           2
        .value_kind:     hidden_remainder_x
      - .offset:         84
        .size:           2
        .value_kind:     hidden_remainder_y
      - .offset:         86
        .size:           2
        .value_kind:     hidden_remainder_z
      - .offset:         104
        .size:           8
        .value_kind:     hidden_global_offset_x
      - .offset:         112
        .size:           8
        .value_kind:     hidden_global_offset_y
      - .offset:         120
        .size:           8
        .value_kind:     hidden_global_offset_z
      - .offset:         128
        .size:           2
        .value_kind:     hidden_grid_dims
    .group_segment_fixed_size: 512
    .kernarg_segment_align: 8
    .kernarg_segment_size: 320
    .language:       OpenCL C
    .language_version:
      - 2
      - 0
    .max_flat_workgroup_size: 1024
    .name:           _ZL24rocblas_dot_kernel_magsqIiLb1ELi1024ELi32ELb1E19rocblas_complex_numIfEPKPKS1_S1_EviT5_lT_liPT6_PT4_
    .private_segment_fixed_size: 0
    .sgpr_count:     24
    .sgpr_spill_count: 0
    .symbol:         _ZL24rocblas_dot_kernel_magsqIiLb1ELi1024ELi32ELb1E19rocblas_complex_numIfEPKPKS1_S1_EviT5_lT_liPT6_PT4_.kd
    .uniform_work_group_size: 1
    .uses_dynamic_stack: false
    .vgpr_count:     14
    .vgpr_spill_count: 0
    .wavefront_size: 64
  - .agpr_count:     0
    .args:
      - .offset:         0
        .size:           4
        .value_kind:     by_value
      - .actual_access:  read_only
        .address_space:  global
        .offset:         8
        .size:           8
        .value_kind:     global_buffer
      - .offset:         16
        .size:           8
        .value_kind:     by_value
      - .offset:         24
        .size:           8
        .value_kind:     by_value
      - .actual_access:  read_only
        .address_space:  global
        .offset:         32
        .size:           8
        .value_kind:     global_buffer
      - .offset:         40
        .size:           8
        .value_kind:     by_value
      - .offset:         48
        .size:           8
        .value_kind:     by_value
      - .offset:         56
        .size:           4
        .value_kind:     by_value
      - .actual_access:  write_only
        .address_space:  global
        .offset:         64
        .size:           8
        .value_kind:     global_buffer
      - .actual_access:  write_only
        .address_space:  global
        .offset:         72
        .size:           8
        .value_kind:     global_buffer
      - .offset:         80
        .size:           4
        .value_kind:     hidden_block_count_x
      - .offset:         84
        .size:           4
        .value_kind:     hidden_block_count_y
      - .offset:         88
        .size:           4
        .value_kind:     hidden_block_count_z
      - .offset:         92
        .size:           2
        .value_kind:     hidden_group_size_x
      - .offset:         94
        .size:           2
        .value_kind:     hidden_group_size_y
      - .offset:         96
        .size:           2
        .value_kind:     hidden_group_size_z
      - .offset:         98
        .size:           2
        .value_kind:     hidden_remainder_x
      - .offset:         100
        .size:           2
        .value_kind:     hidden_remainder_y
      - .offset:         102
        .size:           2
        .value_kind:     hidden_remainder_z
      - .offset:         120
        .size:           8
        .value_kind:     hidden_global_offset_x
      - .offset:         128
        .size:           8
        .value_kind:     hidden_global_offset_y
      - .offset:         136
        .size:           8
        .value_kind:     hidden_global_offset_z
      - .offset:         144
        .size:           2
        .value_kind:     hidden_grid_dims
    .group_segment_fixed_size: 512
    .kernarg_segment_align: 8
    .kernarg_segment_size: 336
    .language:       OpenCL C
    .language_version:
      - 2
      - 0
    .max_flat_workgroup_size: 512
    .name:           _ZL23rocblas_dot_kernel_inc1ILb0ELi512ELi2ELb1E19rocblas_complex_numIfEPKPKS1_S1_EviT4_llS6_lliPT5_PT3_
    .private_segment_fixed_size: 0
    .sgpr_count:     24
    .sgpr_spill_count: 0
    .symbol:         _ZL23rocblas_dot_kernel_inc1ILb0ELi512ELi2ELb1E19rocblas_complex_numIfEPKPKS1_S1_EviT4_llS6_lliPT5_PT3_.kd
    .uniform_work_group_size: 1
    .uses_dynamic_stack: false
    .vgpr_count:     12
    .vgpr_spill_count: 0
    .wavefront_size: 64
  - .agpr_count:     0
    .args:
      - .offset:         0
        .size:           4
        .value_kind:     by_value
      - .actual_access:  read_only
        .address_space:  global
        .offset:         8
        .size:           8
        .value_kind:     global_buffer
      - .offset:         16
        .size:           8
        .value_kind:     by_value
      - .offset:         24
        .size:           4
        .value_kind:     by_value
      - .offset:         32
        .size:           8
        .value_kind:     by_value
      - .actual_access:  read_only
        .address_space:  global
        .offset:         40
        .size:           8
        .value_kind:     global_buffer
      - .offset:         48
        .size:           8
        .value_kind:     by_value
      - .offset:         56
        .size:           4
        .value_kind:     by_value
      - .offset:         64
        .size:           8
        .value_kind:     by_value
      - .offset:         72
        .size:           4
        .value_kind:     by_value
      - .actual_access:  write_only
        .address_space:  global
        .offset:         80
        .size:           8
        .value_kind:     global_buffer
      - .actual_access:  write_only
        .address_space:  global
        .offset:         88
        .size:           8
        .value_kind:     global_buffer
      - .offset:         96
        .size:           4
        .value_kind:     hidden_block_count_x
      - .offset:         100
        .size:           4
        .value_kind:     hidden_block_count_y
      - .offset:         104
        .size:           4
        .value_kind:     hidden_block_count_z
      - .offset:         108
        .size:           2
        .value_kind:     hidden_group_size_x
      - .offset:         110
        .size:           2
        .value_kind:     hidden_group_size_y
      - .offset:         112
        .size:           2
        .value_kind:     hidden_group_size_z
      - .offset:         114
        .size:           2
        .value_kind:     hidden_remainder_x
      - .offset:         116
        .size:           2
        .value_kind:     hidden_remainder_y
      - .offset:         118
        .size:           2
        .value_kind:     hidden_remainder_z
      - .offset:         136
        .size:           8
        .value_kind:     hidden_global_offset_x
      - .offset:         144
        .size:           8
        .value_kind:     hidden_global_offset_y
      - .offset:         152
        .size:           8
        .value_kind:     hidden_global_offset_z
      - .offset:         160
        .size:           2
        .value_kind:     hidden_grid_dims
    .group_segment_fixed_size: 512
    .kernarg_segment_align: 8
    .kernarg_segment_size: 352
    .language:       OpenCL C
    .language_version:
      - 2
      - 0
    .max_flat_workgroup_size: 512
    .name:           _ZL18rocblas_dot_kernelIiLb0ELi512ELi2ELb1E19rocblas_complex_numIfEPKPKS1_S1_EviT5_lT_lS6_lS7_liPT6_PT4_
    .private_segment_fixed_size: 0
    .sgpr_count:     28
    .sgpr_spill_count: 0
    .symbol:         _ZL18rocblas_dot_kernelIiLb0ELi512ELi2ELb1E19rocblas_complex_numIfEPKPKS1_S1_EviT5_lT_lS6_lS7_liPT6_PT4_.kd
    .uniform_work_group_size: 1
    .uses_dynamic_stack: false
    .vgpr_count:     12
    .vgpr_spill_count: 0
    .wavefront_size: 64
  - .agpr_count:     0
    .args:
      - .offset:         0
        .size:           4
        .value_kind:     by_value
      - .actual_access:  read_only
        .address_space:  global
        .offset:         8
        .size:           8
        .value_kind:     global_buffer
      - .offset:         16
        .size:           8
        .value_kind:     by_value
      - .offset:         24
        .size:           4
        .value_kind:     by_value
      - .offset:         32
        .size:           8
        .value_kind:     by_value
      - .offset:         40
        .size:           4
        .value_kind:     by_value
      - .actual_access:  write_only
        .address_space:  global
        .offset:         48
        .size:           8
        .value_kind:     global_buffer
      - .actual_access:  write_only
        .address_space:  global
        .offset:         56
        .size:           8
        .value_kind:     global_buffer
      - .offset:         64
        .size:           4
        .value_kind:     hidden_block_count_x
      - .offset:         68
        .size:           4
        .value_kind:     hidden_block_count_y
      - .offset:         72
        .size:           4
        .value_kind:     hidden_block_count_z
      - .offset:         76
        .size:           2
        .value_kind:     hidden_group_size_x
      - .offset:         78
        .size:           2
        .value_kind:     hidden_group_size_y
      - .offset:         80
        .size:           2
        .value_kind:     hidden_group_size_z
      - .offset:         82
        .size:           2
        .value_kind:     hidden_remainder_x
      - .offset:         84
        .size:           2
        .value_kind:     hidden_remainder_y
      - .offset:         86
        .size:           2
        .value_kind:     hidden_remainder_z
      - .offset:         104
        .size:           8
        .value_kind:     hidden_global_offset_x
      - .offset:         112
        .size:           8
        .value_kind:     hidden_global_offset_y
      - .offset:         120
        .size:           8
        .value_kind:     hidden_global_offset_z
      - .offset:         128
        .size:           2
        .value_kind:     hidden_grid_dims
    .group_segment_fixed_size: 512
    .kernarg_segment_align: 8
    .kernarg_segment_size: 320
    .language:       OpenCL C
    .language_version:
      - 2
      - 0
    .max_flat_workgroup_size: 512
    .name:           _ZL24rocblas_dot_kernel_magsqIiLb0ELi512ELi2ELb1E19rocblas_complex_numIfEPKPKS1_S1_EviT5_lT_liPT6_PT4_
    .private_segment_fixed_size: 0
    .sgpr_count:     20
    .sgpr_spill_count: 0
    .symbol:         _ZL24rocblas_dot_kernel_magsqIiLb0ELi512ELi2ELb1E19rocblas_complex_numIfEPKPKS1_S1_EviT5_lT_liPT6_PT4_.kd
    .uniform_work_group_size: 1
    .uses_dynamic_stack: false
    .vgpr_count:     11
    .vgpr_spill_count: 0
    .wavefront_size: 64
  - .agpr_count:     0
    .args:
      - .offset:         0
        .size:           4
        .value_kind:     by_value
      - .actual_access:  read_only
        .address_space:  global
        .offset:         8
        .size:           8
        .value_kind:     global_buffer
      - .offset:         16
        .size:           8
        .value_kind:     by_value
      - .offset:         24
        .size:           8
        .value_kind:     by_value
      - .offset:         32
        .size:           8
        .value_kind:     by_value
      - .actual_access:  read_only
        .address_space:  global
        .offset:         40
        .size:           8
        .value_kind:     global_buffer
      - .offset:         48
        .size:           8
        .value_kind:     by_value
      - .offset:         56
        .size:           8
        .value_kind:     by_value
      - .offset:         64
        .size:           8
        .value_kind:     by_value
      - .offset:         72
        .size:           4
        .value_kind:     by_value
      - .actual_access:  write_only
        .address_space:  global
        .offset:         80
        .size:           8
        .value_kind:     global_buffer
    .group_segment_fixed_size: 0
    .kernarg_segment_align: 8
    .kernarg_segment_size: 88
    .language:       OpenCL C
    .language_version:
      - 2
      - 0
    .max_flat_workgroup_size: 128
    .name:           _ZL28rocblas_dot_batched_4_kernelIlLi32ELi4ELb1E19rocblas_complex_numIfES1_PKPKS1_EviT5_lT_lS6_lS7_liPT4_
    .private_segment_fixed_size: 0
    .sgpr_count:     24
    .sgpr_spill_count: 0
    .symbol:         _ZL28rocblas_dot_batched_4_kernelIlLi32ELi4ELb1E19rocblas_complex_numIfES1_PKPKS1_EviT5_lT_lS6_lS7_liPT4_.kd
    .uniform_work_group_size: 1
    .uses_dynamic_stack: false
    .vgpr_count:     21
    .vgpr_spill_count: 0
    .wavefront_size: 64
  - .agpr_count:     0
    .args:
      - .offset:         0
        .size:           4
        .value_kind:     by_value
      - .actual_access:  read_only
        .address_space:  global
        .offset:         8
        .size:           8
        .value_kind:     global_buffer
      - .offset:         16
        .size:           8
        .value_kind:     by_value
      - .offset:         24
        .size:           8
        .value_kind:     by_value
      - .offset:         32
        .size:           8
        .value_kind:     by_value
      - .actual_access:  read_only
        .address_space:  global
        .offset:         40
        .size:           8
        .value_kind:     global_buffer
      - .offset:         48
        .size:           8
        .value_kind:     by_value
      - .offset:         56
        .size:           8
        .value_kind:     by_value
      - .offset:         64
        .size:           8
        .value_kind:     by_value
      - .offset:         72
        .size:           4
        .value_kind:     by_value
      - .actual_access:  write_only
        .address_space:  global
        .offset:         80
        .size:           8
        .value_kind:     global_buffer
    .group_segment_fixed_size: 0
    .kernarg_segment_align: 8
    .kernarg_segment_size: 88
    .language:       OpenCL C
    .language_version:
      - 2
      - 0
    .max_flat_workgroup_size: 256
    .name:           _ZL28rocblas_dot_batched_4_kernelIlLi64ELi4ELb1E19rocblas_complex_numIfES1_PKPKS1_EviT5_lT_lS6_lS7_liPT4_
    .private_segment_fixed_size: 0
    .sgpr_count:     24
    .sgpr_spill_count: 0
    .symbol:         _ZL28rocblas_dot_batched_4_kernelIlLi64ELi4ELb1E19rocblas_complex_numIfES1_PKPKS1_EviT5_lT_lS6_lS7_liPT4_.kd
    .uniform_work_group_size: 1
    .uses_dynamic_stack: false
    .vgpr_count:     21
    .vgpr_spill_count: 0
    .wavefront_size: 64
  - .agpr_count:     0
    .args:
      - .offset:         0
        .size:           4
        .value_kind:     by_value
      - .actual_access:  read_only
        .address_space:  global
        .offset:         8
        .size:           8
        .value_kind:     global_buffer
      - .offset:         16
        .size:           8
        .value_kind:     by_value
      - .offset:         24
        .size:           8
        .value_kind:     by_value
      - .offset:         32
        .size:           8
        .value_kind:     by_value
      - .actual_access:  read_only
        .address_space:  global
        .offset:         40
        .size:           8
        .value_kind:     global_buffer
      - .offset:         48
        .size:           8
        .value_kind:     by_value
      - .offset:         56
        .size:           8
        .value_kind:     by_value
      - .offset:         64
        .size:           8
        .value_kind:     by_value
      - .offset:         72
        .size:           4
        .value_kind:     by_value
      - .actual_access:  read_only
        .address_space:  global
        .offset:         80
        .size:           8
        .value_kind:     global_buffer
      - .actual_access:  write_only
        .address_space:  global
        .offset:         88
        .size:           8
        .value_kind:     global_buffer
      - .offset:         96
        .size:           4
        .value_kind:     hidden_block_count_x
      - .offset:         100
        .size:           4
        .value_kind:     hidden_block_count_y
      - .offset:         104
        .size:           4
        .value_kind:     hidden_block_count_z
      - .offset:         108
        .size:           2
        .value_kind:     hidden_group_size_x
      - .offset:         110
        .size:           2
        .value_kind:     hidden_group_size_y
      - .offset:         112
        .size:           2
        .value_kind:     hidden_group_size_z
      - .offset:         114
        .size:           2
        .value_kind:     hidden_remainder_x
      - .offset:         116
        .size:           2
        .value_kind:     hidden_remainder_y
      - .offset:         118
        .size:           2
        .value_kind:     hidden_remainder_z
      - .offset:         136
        .size:           8
        .value_kind:     hidden_global_offset_x
      - .offset:         144
        .size:           8
        .value_kind:     hidden_global_offset_y
      - .offset:         152
        .size:           8
        .value_kind:     hidden_global_offset_z
      - .offset:         160
        .size:           2
        .value_kind:     hidden_grid_dims
    .group_segment_fixed_size: 512
    .kernarg_segment_align: 8
    .kernarg_segment_size: 352
    .language:       OpenCL C
    .language_version:
      - 2
      - 0
    .max_flat_workgroup_size: 1024
    .name:           _ZL18rocblas_dot_kernelIlLb1ELi1024ELi32ELb1E19rocblas_complex_numIfEPKPKS1_S1_EviT5_lT_lS6_lS7_liPT6_PT4_
    .private_segment_fixed_size: 0
    .sgpr_count:     30
    .sgpr_spill_count: 0
    .symbol:         _ZL18rocblas_dot_kernelIlLb1ELi1024ELi32ELb1E19rocblas_complex_numIfEPKPKS1_S1_EviT5_lT_lS6_lS7_liPT6_PT4_.kd
    .uniform_work_group_size: 1
    .uses_dynamic_stack: false
    .vgpr_count:     18
    .vgpr_spill_count: 0
    .wavefront_size: 64
  - .agpr_count:     0
    .args:
      - .offset:         0
        .size:           4
        .value_kind:     by_value
      - .actual_access:  read_only
        .address_space:  global
        .offset:         8
        .size:           8
        .value_kind:     global_buffer
      - .offset:         16
        .size:           8
        .value_kind:     by_value
      - .offset:         24
        .size:           8
        .value_kind:     by_value
      - .offset:         32
        .size:           8
        .value_kind:     by_value
      - .offset:         40
        .size:           4
        .value_kind:     by_value
      - .actual_access:  read_only
        .address_space:  global
        .offset:         48
        .size:           8
        .value_kind:     global_buffer
      - .actual_access:  write_only
        .address_space:  global
        .offset:         56
        .size:           8
        .value_kind:     global_buffer
      - .offset:         64
        .size:           4
        .value_kind:     hidden_block_count_x
      - .offset:         68
        .size:           4
        .value_kind:     hidden_block_count_y
      - .offset:         72
        .size:           4
        .value_kind:     hidden_block_count_z
      - .offset:         76
        .size:           2
        .value_kind:     hidden_group_size_x
      - .offset:         78
        .size:           2
        .value_kind:     hidden_group_size_y
      - .offset:         80
        .size:           2
        .value_kind:     hidden_group_size_z
      - .offset:         82
        .size:           2
        .value_kind:     hidden_remainder_x
      - .offset:         84
        .size:           2
        .value_kind:     hidden_remainder_y
      - .offset:         86
        .size:           2
        .value_kind:     hidden_remainder_z
      - .offset:         104
        .size:           8
        .value_kind:     hidden_global_offset_x
      - .offset:         112
        .size:           8
        .value_kind:     hidden_global_offset_y
      - .offset:         120
        .size:           8
        .value_kind:     hidden_global_offset_z
      - .offset:         128
        .size:           2
        .value_kind:     hidden_grid_dims
    .group_segment_fixed_size: 512
    .kernarg_segment_align: 8
    .kernarg_segment_size: 320
    .language:       OpenCL C
    .language_version:
      - 2
      - 0
    .max_flat_workgroup_size: 1024
    .name:           _ZL24rocblas_dot_kernel_magsqIlLb1ELi1024ELi32ELb1E19rocblas_complex_numIfEPKPKS1_S1_EviT5_lT_liPT6_PT4_
    .private_segment_fixed_size: 0
    .sgpr_count:     24
    .sgpr_spill_count: 0
    .symbol:         _ZL24rocblas_dot_kernel_magsqIlLb1ELi1024ELi32ELb1E19rocblas_complex_numIfEPKPKS1_S1_EviT5_lT_liPT6_PT4_.kd
    .uniform_work_group_size: 1
    .uses_dynamic_stack: false
    .vgpr_count:     14
    .vgpr_spill_count: 0
    .wavefront_size: 64
  - .agpr_count:     0
    .args:
      - .offset:         0
        .size:           4
        .value_kind:     by_value
      - .actual_access:  read_only
        .address_space:  global
        .offset:         8
        .size:           8
        .value_kind:     global_buffer
      - .offset:         16
        .size:           8
        .value_kind:     by_value
      - .offset:         24
        .size:           8
        .value_kind:     by_value
      - .offset:         32
        .size:           8
        .value_kind:     by_value
      - .actual_access:  read_only
        .address_space:  global
        .offset:         40
        .size:           8
        .value_kind:     global_buffer
      - .offset:         48
        .size:           8
        .value_kind:     by_value
      - .offset:         56
        .size:           8
        .value_kind:     by_value
      - .offset:         64
        .size:           8
        .value_kind:     by_value
      - .offset:         72
        .size:           4
        .value_kind:     by_value
      - .actual_access:  write_only
        .address_space:  global
        .offset:         80
        .size:           8
        .value_kind:     global_buffer
      - .actual_access:  write_only
        .address_space:  global
        .offset:         88
        .size:           8
        .value_kind:     global_buffer
      - .offset:         96
        .size:           4
        .value_kind:     hidden_block_count_x
      - .offset:         100
        .size:           4
        .value_kind:     hidden_block_count_y
      - .offset:         104
        .size:           4
        .value_kind:     hidden_block_count_z
      - .offset:         108
        .size:           2
        .value_kind:     hidden_group_size_x
      - .offset:         110
        .size:           2
        .value_kind:     hidden_group_size_y
      - .offset:         112
        .size:           2
        .value_kind:     hidden_group_size_z
      - .offset:         114
        .size:           2
        .value_kind:     hidden_remainder_x
      - .offset:         116
        .size:           2
        .value_kind:     hidden_remainder_y
      - .offset:         118
        .size:           2
        .value_kind:     hidden_remainder_z
      - .offset:         136
        .size:           8
        .value_kind:     hidden_global_offset_x
      - .offset:         144
        .size:           8
        .value_kind:     hidden_global_offset_y
      - .offset:         152
        .size:           8
        .value_kind:     hidden_global_offset_z
      - .offset:         160
        .size:           2
        .value_kind:     hidden_grid_dims
    .group_segment_fixed_size: 512
    .kernarg_segment_align: 8
    .kernarg_segment_size: 352
    .language:       OpenCL C
    .language_version:
      - 2
      - 0
    .max_flat_workgroup_size: 512
    .name:           _ZL18rocblas_dot_kernelIlLb0ELi512ELi2ELb1E19rocblas_complex_numIfEPKPKS1_S1_EviT5_lT_lS6_lS7_liPT6_PT4_
    .private_segment_fixed_size: 0
    .sgpr_count:     28
    .sgpr_spill_count: 0
    .symbol:         _ZL18rocblas_dot_kernelIlLb0ELi512ELi2ELb1E19rocblas_complex_numIfEPKPKS1_S1_EviT5_lT_lS6_lS7_liPT6_PT4_.kd
    .uniform_work_group_size: 1
    .uses_dynamic_stack: false
    .vgpr_count:     12
    .vgpr_spill_count: 0
    .wavefront_size: 64
  - .agpr_count:     0
    .args:
      - .offset:         0
        .size:           4
        .value_kind:     by_value
      - .actual_access:  read_only
        .address_space:  global
        .offset:         8
        .size:           8
        .value_kind:     global_buffer
      - .offset:         16
        .size:           8
        .value_kind:     by_value
      - .offset:         24
        .size:           8
        .value_kind:     by_value
      - .offset:         32
        .size:           8
        .value_kind:     by_value
      - .offset:         40
        .size:           4
        .value_kind:     by_value
      - .actual_access:  write_only
        .address_space:  global
        .offset:         48
        .size:           8
        .value_kind:     global_buffer
      - .actual_access:  write_only
        .address_space:  global
        .offset:         56
        .size:           8
        .value_kind:     global_buffer
      - .offset:         64
        .size:           4
        .value_kind:     hidden_block_count_x
      - .offset:         68
        .size:           4
        .value_kind:     hidden_block_count_y
      - .offset:         72
        .size:           4
        .value_kind:     hidden_block_count_z
      - .offset:         76
        .size:           2
        .value_kind:     hidden_group_size_x
      - .offset:         78
        .size:           2
        .value_kind:     hidden_group_size_y
      - .offset:         80
        .size:           2
        .value_kind:     hidden_group_size_z
      - .offset:         82
        .size:           2
        .value_kind:     hidden_remainder_x
      - .offset:         84
        .size:           2
        .value_kind:     hidden_remainder_y
      - .offset:         86
        .size:           2
        .value_kind:     hidden_remainder_z
      - .offset:         104
        .size:           8
        .value_kind:     hidden_global_offset_x
      - .offset:         112
        .size:           8
        .value_kind:     hidden_global_offset_y
      - .offset:         120
        .size:           8
        .value_kind:     hidden_global_offset_z
      - .offset:         128
        .size:           2
        .value_kind:     hidden_grid_dims
    .group_segment_fixed_size: 512
    .kernarg_segment_align: 8
    .kernarg_segment_size: 320
    .language:       OpenCL C
    .language_version:
      - 2
      - 0
    .max_flat_workgroup_size: 512
    .name:           _ZL24rocblas_dot_kernel_magsqIlLb0ELi512ELi2ELb1E19rocblas_complex_numIfEPKPKS1_S1_EviT5_lT_liPT6_PT4_
    .private_segment_fixed_size: 0
    .sgpr_count:     22
    .sgpr_spill_count: 0
    .symbol:         _ZL24rocblas_dot_kernel_magsqIlLb0ELi512ELi2ELb1E19rocblas_complex_numIfEPKPKS1_S1_EviT5_lT_liPT6_PT4_.kd
    .uniform_work_group_size: 1
    .uses_dynamic_stack: false
    .vgpr_count:     11
    .vgpr_spill_count: 0
    .wavefront_size: 64
  - .agpr_count:     0
    .args:
      - .offset:         0
        .size:           4
        .value_kind:     by_value
      - .actual_access:  read_only
        .address_space:  global
        .offset:         8
        .size:           8
        .value_kind:     global_buffer
      - .offset:         16
        .size:           8
        .value_kind:     by_value
      - .offset:         24
        .size:           4
        .value_kind:     by_value
      - .offset:         32
        .size:           8
        .value_kind:     by_value
      - .actual_access:  read_only
        .address_space:  global
        .offset:         40
        .size:           8
        .value_kind:     global_buffer
      - .offset:         48
        .size:           8
        .value_kind:     by_value
      - .offset:         56
        .size:           4
        .value_kind:     by_value
      - .offset:         64
        .size:           8
        .value_kind:     by_value
      - .offset:         72
        .size:           4
        .value_kind:     by_value
      - .actual_access:  write_only
        .address_space:  global
        .offset:         80
        .size:           8
        .value_kind:     global_buffer
    .group_segment_fixed_size: 0
    .kernarg_segment_align: 8
    .kernarg_segment_size: 88
    .language:       OpenCL C
    .language_version:
      - 2
      - 0
    .max_flat_workgroup_size: 128
    .name:           _ZL28rocblas_dot_batched_4_kernelIiLi32ELi4ELb1E19rocblas_complex_numIdES1_PKPKS1_EviT5_lT_lS6_lS7_liPT4_
    .private_segment_fixed_size: 0
    .sgpr_count:     24
    .sgpr_spill_count: 0
    .symbol:         _ZL28rocblas_dot_batched_4_kernelIiLi32ELi4ELb1E19rocblas_complex_numIdES1_PKPKS1_EviT5_lT_lS6_lS7_liPT4_.kd
    .uniform_work_group_size: 1
    .uses_dynamic_stack: false
    .vgpr_count:     24
    .vgpr_spill_count: 0
    .wavefront_size: 64
  - .agpr_count:     0
    .args:
      - .offset:         0
        .size:           4
        .value_kind:     by_value
      - .actual_access:  read_only
        .address_space:  global
        .offset:         8
        .size:           8
        .value_kind:     global_buffer
      - .offset:         16
        .size:           8
        .value_kind:     by_value
      - .offset:         24
        .size:           4
        .value_kind:     by_value
      - .offset:         32
        .size:           8
        .value_kind:     by_value
      - .actual_access:  read_only
        .address_space:  global
        .offset:         40
        .size:           8
        .value_kind:     global_buffer
      - .offset:         48
        .size:           8
        .value_kind:     by_value
      - .offset:         56
        .size:           4
        .value_kind:     by_value
      - .offset:         64
        .size:           8
        .value_kind:     by_value
      - .offset:         72
        .size:           4
        .value_kind:     by_value
      - .actual_access:  write_only
        .address_space:  global
        .offset:         80
        .size:           8
        .value_kind:     global_buffer
    .group_segment_fixed_size: 0
    .kernarg_segment_align: 8
    .kernarg_segment_size: 88
    .language:       OpenCL C
    .language_version:
      - 2
      - 0
    .max_flat_workgroup_size: 256
    .name:           _ZL28rocblas_dot_batched_4_kernelIiLi64ELi4ELb1E19rocblas_complex_numIdES1_PKPKS1_EviT5_lT_lS6_lS7_liPT4_
    .private_segment_fixed_size: 0
    .sgpr_count:     24
    .sgpr_spill_count: 0
    .symbol:         _ZL28rocblas_dot_batched_4_kernelIiLi64ELi4ELb1E19rocblas_complex_numIdES1_PKPKS1_EviT5_lT_lS6_lS7_liPT4_.kd
    .uniform_work_group_size: 1
    .uses_dynamic_stack: false
    .vgpr_count:     24
    .vgpr_spill_count: 0
    .wavefront_size: 64
  - .agpr_count:     0
    .args:
      - .offset:         0
        .size:           4
        .value_kind:     by_value
      - .actual_access:  read_only
        .address_space:  global
        .offset:         8
        .size:           8
        .value_kind:     global_buffer
      - .offset:         16
        .size:           8
        .value_kind:     by_value
      - .offset:         24
        .size:           8
        .value_kind:     by_value
      - .actual_access:  read_only
        .address_space:  global
        .offset:         32
        .size:           8
        .value_kind:     global_buffer
      - .offset:         40
        .size:           8
        .value_kind:     by_value
      - .offset:         48
        .size:           8
        .value_kind:     by_value
      - .offset:         56
        .size:           4
        .value_kind:     by_value
      - .actual_access:  read_only
        .address_space:  global
        .offset:         64
        .size:           8
        .value_kind:     global_buffer
      - .actual_access:  write_only
        .address_space:  global
        .offset:         72
        .size:           8
        .value_kind:     global_buffer
    .group_segment_fixed_size: 1024
    .kernarg_segment_align: 8
    .kernarg_segment_size: 80
    .language:       OpenCL C
    .language_version:
      - 2
      - 0
    .max_flat_workgroup_size: 1024
    .name:           _ZL26rocblas_dot_kernel_inc1by2ILb1ELi1024ELi32ELb1E19rocblas_complex_numIdEPKPKS1_S1_EviT4_llS6_lliPT5_PT3_
    .private_segment_fixed_size: 0
    .sgpr_count:     24
    .sgpr_spill_count: 0
    .symbol:         _ZL26rocblas_dot_kernel_inc1by2ILb1ELi1024ELi32ELb1E19rocblas_complex_numIdEPKPKS1_S1_EviT4_llS6_lliPT5_PT3_.kd
    .uniform_work_group_size: 1
    .uses_dynamic_stack: false
    .vgpr_count:     20
    .vgpr_spill_count: 0
    .wavefront_size: 64
  - .agpr_count:     0
    .args:
      - .offset:         0
        .size:           4
        .value_kind:     by_value
      - .actual_access:  read_only
        .address_space:  global
        .offset:         8
        .size:           8
        .value_kind:     global_buffer
      - .offset:         16
        .size:           8
        .value_kind:     by_value
      - .offset:         24
        .size:           4
        .value_kind:     by_value
      - .offset:         32
        .size:           8
        .value_kind:     by_value
      - .actual_access:  read_only
        .address_space:  global
        .offset:         40
        .size:           8
        .value_kind:     global_buffer
      - .offset:         48
        .size:           8
        .value_kind:     by_value
      - .offset:         56
        .size:           4
        .value_kind:     by_value
      - .offset:         64
        .size:           8
        .value_kind:     by_value
      - .offset:         72
        .size:           4
        .value_kind:     by_value
      - .actual_access:  read_only
        .address_space:  global
        .offset:         80
        .size:           8
        .value_kind:     global_buffer
      - .actual_access:  write_only
        .address_space:  global
        .offset:         88
        .size:           8
        .value_kind:     global_buffer
      - .offset:         96
        .size:           4
        .value_kind:     hidden_block_count_x
      - .offset:         100
        .size:           4
        .value_kind:     hidden_block_count_y
      - .offset:         104
        .size:           4
        .value_kind:     hidden_block_count_z
      - .offset:         108
        .size:           2
        .value_kind:     hidden_group_size_x
      - .offset:         110
        .size:           2
        .value_kind:     hidden_group_size_y
      - .offset:         112
        .size:           2
        .value_kind:     hidden_group_size_z
      - .offset:         114
        .size:           2
        .value_kind:     hidden_remainder_x
      - .offset:         116
        .size:           2
        .value_kind:     hidden_remainder_y
      - .offset:         118
        .size:           2
        .value_kind:     hidden_remainder_z
      - .offset:         136
        .size:           8
        .value_kind:     hidden_global_offset_x
      - .offset:         144
        .size:           8
        .value_kind:     hidden_global_offset_y
      - .offset:         152
        .size:           8
        .value_kind:     hidden_global_offset_z
      - .offset:         160
        .size:           2
        .value_kind:     hidden_grid_dims
    .group_segment_fixed_size: 1024
    .kernarg_segment_align: 8
    .kernarg_segment_size: 352
    .language:       OpenCL C
    .language_version:
      - 2
      - 0
    .max_flat_workgroup_size: 1024
    .name:           _ZL18rocblas_dot_kernelIiLb1ELi1024ELi32ELb1E19rocblas_complex_numIdEPKPKS1_S1_EviT5_lT_lS6_lS7_liPT6_PT4_
    .private_segment_fixed_size: 0
    .sgpr_count:     29
    .sgpr_spill_count: 0
    .symbol:         _ZL18rocblas_dot_kernelIiLb1ELi1024ELi32ELb1E19rocblas_complex_numIdEPKPKS1_S1_EviT5_lT_lS6_lS7_liPT6_PT4_.kd
    .uniform_work_group_size: 1
    .uses_dynamic_stack: false
    .vgpr_count:     22
    .vgpr_spill_count: 0
    .wavefront_size: 64
  - .agpr_count:     0
    .args:
      - .offset:         0
        .size:           4
        .value_kind:     by_value
      - .actual_access:  read_only
        .address_space:  global
        .offset:         8
        .size:           8
        .value_kind:     global_buffer
      - .offset:         16
        .size:           8
        .value_kind:     by_value
      - .offset:         24
        .size:           4
        .value_kind:     by_value
      - .offset:         32
        .size:           8
        .value_kind:     by_value
      - .offset:         40
        .size:           4
        .value_kind:     by_value
      - .actual_access:  read_only
        .address_space:  global
        .offset:         48
        .size:           8
        .value_kind:     global_buffer
      - .actual_access:  write_only
        .address_space:  global
        .offset:         56
        .size:           8
        .value_kind:     global_buffer
      - .offset:         64
        .size:           4
        .value_kind:     hidden_block_count_x
      - .offset:         68
        .size:           4
        .value_kind:     hidden_block_count_y
      - .offset:         72
        .size:           4
        .value_kind:     hidden_block_count_z
      - .offset:         76
        .size:           2
        .value_kind:     hidden_group_size_x
      - .offset:         78
        .size:           2
        .value_kind:     hidden_group_size_y
      - .offset:         80
        .size:           2
        .value_kind:     hidden_group_size_z
      - .offset:         82
        .size:           2
        .value_kind:     hidden_remainder_x
      - .offset:         84
        .size:           2
        .value_kind:     hidden_remainder_y
      - .offset:         86
        .size:           2
        .value_kind:     hidden_remainder_z
      - .offset:         104
        .size:           8
        .value_kind:     hidden_global_offset_x
      - .offset:         112
        .size:           8
        .value_kind:     hidden_global_offset_y
      - .offset:         120
        .size:           8
        .value_kind:     hidden_global_offset_z
      - .offset:         128
        .size:           2
        .value_kind:     hidden_grid_dims
    .group_segment_fixed_size: 1024
    .kernarg_segment_align: 8
    .kernarg_segment_size: 320
    .language:       OpenCL C
    .language_version:
      - 2
      - 0
    .max_flat_workgroup_size: 1024
    .name:           _ZL24rocblas_dot_kernel_magsqIiLb1ELi1024ELi32ELb1E19rocblas_complex_numIdEPKPKS1_S1_EviT5_lT_liPT6_PT4_
    .private_segment_fixed_size: 0
    .sgpr_count:     24
    .sgpr_spill_count: 0
    .symbol:         _ZL24rocblas_dot_kernel_magsqIiLb1ELi1024ELi32ELb1E19rocblas_complex_numIdEPKPKS1_S1_EviT5_lT_liPT6_PT4_.kd
    .uniform_work_group_size: 1
    .uses_dynamic_stack: false
    .vgpr_count:     18
    .vgpr_spill_count: 0
    .wavefront_size: 64
  - .agpr_count:     0
    .args:
      - .offset:         0
        .size:           4
        .value_kind:     by_value
      - .actual_access:  read_only
        .address_space:  global
        .offset:         8
        .size:           8
        .value_kind:     global_buffer
      - .offset:         16
        .size:           8
        .value_kind:     by_value
      - .offset:         24
        .size:           8
        .value_kind:     by_value
      - .actual_access:  read_only
        .address_space:  global
        .offset:         32
        .size:           8
        .value_kind:     global_buffer
      - .offset:         40
        .size:           8
        .value_kind:     by_value
      - .offset:         48
        .size:           8
        .value_kind:     by_value
      - .offset:         56
        .size:           4
        .value_kind:     by_value
      - .actual_access:  write_only
        .address_space:  global
        .offset:         64
        .size:           8
        .value_kind:     global_buffer
      - .actual_access:  write_only
        .address_space:  global
        .offset:         72
        .size:           8
        .value_kind:     global_buffer
      - .offset:         80
        .size:           4
        .value_kind:     hidden_block_count_x
      - .offset:         84
        .size:           4
        .value_kind:     hidden_block_count_y
      - .offset:         88
        .size:           4
        .value_kind:     hidden_block_count_z
      - .offset:         92
        .size:           2
        .value_kind:     hidden_group_size_x
      - .offset:         94
        .size:           2
        .value_kind:     hidden_group_size_y
      - .offset:         96
        .size:           2
        .value_kind:     hidden_group_size_z
      - .offset:         98
        .size:           2
        .value_kind:     hidden_remainder_x
      - .offset:         100
        .size:           2
        .value_kind:     hidden_remainder_y
      - .offset:         102
        .size:           2
        .value_kind:     hidden_remainder_z
      - .offset:         120
        .size:           8
        .value_kind:     hidden_global_offset_x
      - .offset:         128
        .size:           8
        .value_kind:     hidden_global_offset_y
      - .offset:         136
        .size:           8
        .value_kind:     hidden_global_offset_z
      - .offset:         144
        .size:           2
        .value_kind:     hidden_grid_dims
    .group_segment_fixed_size: 1024
    .kernarg_segment_align: 8
    .kernarg_segment_size: 336
    .language:       OpenCL C
    .language_version:
      - 2
      - 0
    .max_flat_workgroup_size: 512
    .name:           _ZL23rocblas_dot_kernel_inc1ILb0ELi512ELi2ELb1E19rocblas_complex_numIdEPKPKS1_S1_EviT4_llS6_lliPT5_PT3_
    .private_segment_fixed_size: 0
    .sgpr_count:     26
    .sgpr_spill_count: 0
    .symbol:         _ZL23rocblas_dot_kernel_inc1ILb0ELi512ELi2ELb1E19rocblas_complex_numIdEPKPKS1_S1_EviT4_llS6_lliPT5_PT3_.kd
    .uniform_work_group_size: 1
    .uses_dynamic_stack: false
    .vgpr_count:     16
    .vgpr_spill_count: 0
    .wavefront_size: 64
  - .agpr_count:     0
    .args:
      - .offset:         0
        .size:           4
        .value_kind:     by_value
      - .actual_access:  read_only
        .address_space:  global
        .offset:         8
        .size:           8
        .value_kind:     global_buffer
      - .offset:         16
        .size:           8
        .value_kind:     by_value
      - .offset:         24
        .size:           4
        .value_kind:     by_value
      - .offset:         32
        .size:           8
        .value_kind:     by_value
      - .actual_access:  read_only
        .address_space:  global
        .offset:         40
        .size:           8
        .value_kind:     global_buffer
      - .offset:         48
        .size:           8
        .value_kind:     by_value
      - .offset:         56
        .size:           4
        .value_kind:     by_value
      - .offset:         64
        .size:           8
        .value_kind:     by_value
      - .offset:         72
        .size:           4
        .value_kind:     by_value
      - .actual_access:  write_only
        .address_space:  global
        .offset:         80
        .size:           8
        .value_kind:     global_buffer
      - .actual_access:  write_only
        .address_space:  global
        .offset:         88
        .size:           8
        .value_kind:     global_buffer
      - .offset:         96
        .size:           4
        .value_kind:     hidden_block_count_x
      - .offset:         100
        .size:           4
        .value_kind:     hidden_block_count_y
      - .offset:         104
        .size:           4
        .value_kind:     hidden_block_count_z
      - .offset:         108
        .size:           2
        .value_kind:     hidden_group_size_x
      - .offset:         110
        .size:           2
        .value_kind:     hidden_group_size_y
      - .offset:         112
        .size:           2
        .value_kind:     hidden_group_size_z
      - .offset:         114
        .size:           2
        .value_kind:     hidden_remainder_x
      - .offset:         116
        .size:           2
        .value_kind:     hidden_remainder_y
      - .offset:         118
        .size:           2
        .value_kind:     hidden_remainder_z
      - .offset:         136
        .size:           8
        .value_kind:     hidden_global_offset_x
      - .offset:         144
        .size:           8
        .value_kind:     hidden_global_offset_y
      - .offset:         152
        .size:           8
        .value_kind:     hidden_global_offset_z
      - .offset:         160
        .size:           2
        .value_kind:     hidden_grid_dims
    .group_segment_fixed_size: 1024
    .kernarg_segment_align: 8
    .kernarg_segment_size: 352
    .language:       OpenCL C
    .language_version:
      - 2
      - 0
    .max_flat_workgroup_size: 512
    .name:           _ZL18rocblas_dot_kernelIiLb0ELi512ELi2ELb1E19rocblas_complex_numIdEPKPKS1_S1_EviT5_lT_lS6_lS7_liPT6_PT4_
    .private_segment_fixed_size: 0
    .sgpr_count:     30
    .sgpr_spill_count: 0
    .symbol:         _ZL18rocblas_dot_kernelIiLb0ELi512ELi2ELb1E19rocblas_complex_numIdEPKPKS1_S1_EviT5_lT_lS6_lS7_liPT6_PT4_.kd
    .uniform_work_group_size: 1
    .uses_dynamic_stack: false
    .vgpr_count:     16
    .vgpr_spill_count: 0
    .wavefront_size: 64
  - .agpr_count:     0
    .args:
      - .offset:         0
        .size:           4
        .value_kind:     by_value
      - .actual_access:  read_only
        .address_space:  global
        .offset:         8
        .size:           8
        .value_kind:     global_buffer
      - .offset:         16
        .size:           8
        .value_kind:     by_value
      - .offset:         24
        .size:           4
        .value_kind:     by_value
      - .offset:         32
        .size:           8
        .value_kind:     by_value
      - .offset:         40
        .size:           4
        .value_kind:     by_value
      - .actual_access:  write_only
        .address_space:  global
        .offset:         48
        .size:           8
        .value_kind:     global_buffer
      - .actual_access:  write_only
        .address_space:  global
        .offset:         56
        .size:           8
        .value_kind:     global_buffer
      - .offset:         64
        .size:           4
        .value_kind:     hidden_block_count_x
      - .offset:         68
        .size:           4
        .value_kind:     hidden_block_count_y
      - .offset:         72
        .size:           4
        .value_kind:     hidden_block_count_z
      - .offset:         76
        .size:           2
        .value_kind:     hidden_group_size_x
      - .offset:         78
        .size:           2
        .value_kind:     hidden_group_size_y
      - .offset:         80
        .size:           2
        .value_kind:     hidden_group_size_z
      - .offset:         82
        .size:           2
        .value_kind:     hidden_remainder_x
      - .offset:         84
        .size:           2
        .value_kind:     hidden_remainder_y
      - .offset:         86
        .size:           2
        .value_kind:     hidden_remainder_z
      - .offset:         104
        .size:           8
        .value_kind:     hidden_global_offset_x
      - .offset:         112
        .size:           8
        .value_kind:     hidden_global_offset_y
      - .offset:         120
        .size:           8
        .value_kind:     hidden_global_offset_z
      - .offset:         128
        .size:           2
        .value_kind:     hidden_grid_dims
    .group_segment_fixed_size: 1024
    .kernarg_segment_align: 8
    .kernarg_segment_size: 320
    .language:       OpenCL C
    .language_version:
      - 2
      - 0
    .max_flat_workgroup_size: 512
    .name:           _ZL24rocblas_dot_kernel_magsqIiLb0ELi512ELi2ELb1E19rocblas_complex_numIdEPKPKS1_S1_EviT5_lT_liPT6_PT4_
    .private_segment_fixed_size: 0
    .sgpr_count:     20
    .sgpr_spill_count: 0
    .symbol:         _ZL24rocblas_dot_kernel_magsqIiLb0ELi512ELi2ELb1E19rocblas_complex_numIdEPKPKS1_S1_EviT5_lT_liPT6_PT4_.kd
    .uniform_work_group_size: 1
    .uses_dynamic_stack: false
    .vgpr_count:     15
    .vgpr_spill_count: 0
    .wavefront_size: 64
  - .agpr_count:     0
    .args:
      - .offset:         0
        .size:           4
        .value_kind:     by_value
      - .actual_access:  read_only
        .address_space:  global
        .offset:         8
        .size:           8
        .value_kind:     global_buffer
      - .offset:         16
        .size:           8
        .value_kind:     by_value
      - .offset:         24
        .size:           8
        .value_kind:     by_value
      - .offset:         32
        .size:           8
        .value_kind:     by_value
      - .actual_access:  read_only
        .address_space:  global
        .offset:         40
        .size:           8
        .value_kind:     global_buffer
      - .offset:         48
        .size:           8
        .value_kind:     by_value
      - .offset:         56
        .size:           8
        .value_kind:     by_value
      - .offset:         64
        .size:           8
        .value_kind:     by_value
      - .offset:         72
        .size:           4
        .value_kind:     by_value
      - .actual_access:  write_only
        .address_space:  global
        .offset:         80
        .size:           8
        .value_kind:     global_buffer
    .group_segment_fixed_size: 0
    .kernarg_segment_align: 8
    .kernarg_segment_size: 88
    .language:       OpenCL C
    .language_version:
      - 2
      - 0
    .max_flat_workgroup_size: 128
    .name:           _ZL28rocblas_dot_batched_4_kernelIlLi32ELi4ELb1E19rocblas_complex_numIdES1_PKPKS1_EviT5_lT_lS6_lS7_liPT4_
    .private_segment_fixed_size: 0
    .sgpr_count:     24
    .sgpr_spill_count: 0
    .symbol:         _ZL28rocblas_dot_batched_4_kernelIlLi32ELi4ELb1E19rocblas_complex_numIdES1_PKPKS1_EviT5_lT_lS6_lS7_liPT4_.kd
    .uniform_work_group_size: 1
    .uses_dynamic_stack: false
    .vgpr_count:     24
    .vgpr_spill_count: 0
    .wavefront_size: 64
  - .agpr_count:     0
    .args:
      - .offset:         0
        .size:           4
        .value_kind:     by_value
      - .actual_access:  read_only
        .address_space:  global
        .offset:         8
        .size:           8
        .value_kind:     global_buffer
      - .offset:         16
        .size:           8
        .value_kind:     by_value
      - .offset:         24
        .size:           8
        .value_kind:     by_value
      - .offset:         32
        .size:           8
        .value_kind:     by_value
      - .actual_access:  read_only
        .address_space:  global
        .offset:         40
        .size:           8
        .value_kind:     global_buffer
      - .offset:         48
        .size:           8
        .value_kind:     by_value
      - .offset:         56
        .size:           8
        .value_kind:     by_value
      - .offset:         64
        .size:           8
        .value_kind:     by_value
      - .offset:         72
        .size:           4
        .value_kind:     by_value
      - .actual_access:  write_only
        .address_space:  global
        .offset:         80
        .size:           8
        .value_kind:     global_buffer
    .group_segment_fixed_size: 0
    .kernarg_segment_align: 8
    .kernarg_segment_size: 88
    .language:       OpenCL C
    .language_version:
      - 2
      - 0
    .max_flat_workgroup_size: 256
    .name:           _ZL28rocblas_dot_batched_4_kernelIlLi64ELi4ELb1E19rocblas_complex_numIdES1_PKPKS1_EviT5_lT_lS6_lS7_liPT4_
    .private_segment_fixed_size: 0
    .sgpr_count:     24
    .sgpr_spill_count: 0
    .symbol:         _ZL28rocblas_dot_batched_4_kernelIlLi64ELi4ELb1E19rocblas_complex_numIdES1_PKPKS1_EviT5_lT_lS6_lS7_liPT4_.kd
    .uniform_work_group_size: 1
    .uses_dynamic_stack: false
    .vgpr_count:     24
    .vgpr_spill_count: 0
    .wavefront_size: 64
  - .agpr_count:     0
    .args:
      - .offset:         0
        .size:           4
        .value_kind:     by_value
      - .actual_access:  read_only
        .address_space:  global
        .offset:         8
        .size:           8
        .value_kind:     global_buffer
      - .offset:         16
        .size:           8
        .value_kind:     by_value
      - .offset:         24
        .size:           8
        .value_kind:     by_value
      - .offset:         32
        .size:           8
        .value_kind:     by_value
      - .actual_access:  read_only
        .address_space:  global
        .offset:         40
        .size:           8
        .value_kind:     global_buffer
      - .offset:         48
        .size:           8
        .value_kind:     by_value
      - .offset:         56
        .size:           8
        .value_kind:     by_value
      - .offset:         64
        .size:           8
        .value_kind:     by_value
      - .offset:         72
        .size:           4
        .value_kind:     by_value
      - .actual_access:  read_only
        .address_space:  global
        .offset:         80
        .size:           8
        .value_kind:     global_buffer
      - .actual_access:  write_only
        .address_space:  global
        .offset:         88
        .size:           8
        .value_kind:     global_buffer
      - .offset:         96
        .size:           4
        .value_kind:     hidden_block_count_x
      - .offset:         100
        .size:           4
        .value_kind:     hidden_block_count_y
      - .offset:         104
        .size:           4
        .value_kind:     hidden_block_count_z
      - .offset:         108
        .size:           2
        .value_kind:     hidden_group_size_x
      - .offset:         110
        .size:           2
        .value_kind:     hidden_group_size_y
      - .offset:         112
        .size:           2
        .value_kind:     hidden_group_size_z
      - .offset:         114
        .size:           2
        .value_kind:     hidden_remainder_x
      - .offset:         116
        .size:           2
        .value_kind:     hidden_remainder_y
      - .offset:         118
        .size:           2
        .value_kind:     hidden_remainder_z
      - .offset:         136
        .size:           8
        .value_kind:     hidden_global_offset_x
      - .offset:         144
        .size:           8
        .value_kind:     hidden_global_offset_y
      - .offset:         152
        .size:           8
        .value_kind:     hidden_global_offset_z
      - .offset:         160
        .size:           2
        .value_kind:     hidden_grid_dims
    .group_segment_fixed_size: 1024
    .kernarg_segment_align: 8
    .kernarg_segment_size: 352
    .language:       OpenCL C
    .language_version:
      - 2
      - 0
    .max_flat_workgroup_size: 1024
    .name:           _ZL18rocblas_dot_kernelIlLb1ELi1024ELi32ELb1E19rocblas_complex_numIdEPKPKS1_S1_EviT5_lT_lS6_lS7_liPT6_PT4_
    .private_segment_fixed_size: 0
    .sgpr_count:     30
    .sgpr_spill_count: 0
    .symbol:         _ZL18rocblas_dot_kernelIlLb1ELi1024ELi32ELb1E19rocblas_complex_numIdEPKPKS1_S1_EviT5_lT_lS6_lS7_liPT6_PT4_.kd
    .uniform_work_group_size: 1
    .uses_dynamic_stack: false
    .vgpr_count:     22
    .vgpr_spill_count: 0
    .wavefront_size: 64
  - .agpr_count:     0
    .args:
      - .offset:         0
        .size:           4
        .value_kind:     by_value
      - .actual_access:  read_only
        .address_space:  global
        .offset:         8
        .size:           8
        .value_kind:     global_buffer
      - .offset:         16
        .size:           8
        .value_kind:     by_value
      - .offset:         24
        .size:           8
        .value_kind:     by_value
      - .offset:         32
        .size:           8
        .value_kind:     by_value
      - .offset:         40
        .size:           4
        .value_kind:     by_value
      - .actual_access:  read_only
        .address_space:  global
        .offset:         48
        .size:           8
        .value_kind:     global_buffer
      - .actual_access:  write_only
        .address_space:  global
        .offset:         56
        .size:           8
        .value_kind:     global_buffer
      - .offset:         64
        .size:           4
        .value_kind:     hidden_block_count_x
      - .offset:         68
        .size:           4
        .value_kind:     hidden_block_count_y
      - .offset:         72
        .size:           4
        .value_kind:     hidden_block_count_z
      - .offset:         76
        .size:           2
        .value_kind:     hidden_group_size_x
      - .offset:         78
        .size:           2
        .value_kind:     hidden_group_size_y
      - .offset:         80
        .size:           2
        .value_kind:     hidden_group_size_z
      - .offset:         82
        .size:           2
        .value_kind:     hidden_remainder_x
      - .offset:         84
        .size:           2
        .value_kind:     hidden_remainder_y
      - .offset:         86
        .size:           2
        .value_kind:     hidden_remainder_z
      - .offset:         104
        .size:           8
        .value_kind:     hidden_global_offset_x
      - .offset:         112
        .size:           8
        .value_kind:     hidden_global_offset_y
      - .offset:         120
        .size:           8
        .value_kind:     hidden_global_offset_z
      - .offset:         128
        .size:           2
        .value_kind:     hidden_grid_dims
    .group_segment_fixed_size: 1024
    .kernarg_segment_align: 8
    .kernarg_segment_size: 320
    .language:       OpenCL C
    .language_version:
      - 2
      - 0
    .max_flat_workgroup_size: 1024
    .name:           _ZL24rocblas_dot_kernel_magsqIlLb1ELi1024ELi32ELb1E19rocblas_complex_numIdEPKPKS1_S1_EviT5_lT_liPT6_PT4_
    .private_segment_fixed_size: 0
    .sgpr_count:     24
    .sgpr_spill_count: 0
    .symbol:         _ZL24rocblas_dot_kernel_magsqIlLb1ELi1024ELi32ELb1E19rocblas_complex_numIdEPKPKS1_S1_EviT5_lT_liPT6_PT4_.kd
    .uniform_work_group_size: 1
    .uses_dynamic_stack: false
    .vgpr_count:     18
    .vgpr_spill_count: 0
    .wavefront_size: 64
  - .agpr_count:     0
    .args:
      - .offset:         0
        .size:           4
        .value_kind:     by_value
      - .actual_access:  read_only
        .address_space:  global
        .offset:         8
        .size:           8
        .value_kind:     global_buffer
      - .offset:         16
        .size:           8
        .value_kind:     by_value
      - .offset:         24
        .size:           8
        .value_kind:     by_value
      - .offset:         32
        .size:           8
        .value_kind:     by_value
      - .actual_access:  read_only
        .address_space:  global
        .offset:         40
        .size:           8
        .value_kind:     global_buffer
      - .offset:         48
        .size:           8
        .value_kind:     by_value
      - .offset:         56
        .size:           8
        .value_kind:     by_value
      - .offset:         64
        .size:           8
        .value_kind:     by_value
      - .offset:         72
        .size:           4
        .value_kind:     by_value
      - .actual_access:  write_only
        .address_space:  global
        .offset:         80
        .size:           8
        .value_kind:     global_buffer
      - .actual_access:  write_only
        .address_space:  global
        .offset:         88
        .size:           8
        .value_kind:     global_buffer
      - .offset:         96
        .size:           4
        .value_kind:     hidden_block_count_x
      - .offset:         100
        .size:           4
        .value_kind:     hidden_block_count_y
      - .offset:         104
        .size:           4
        .value_kind:     hidden_block_count_z
      - .offset:         108
        .size:           2
        .value_kind:     hidden_group_size_x
      - .offset:         110
        .size:           2
        .value_kind:     hidden_group_size_y
      - .offset:         112
        .size:           2
        .value_kind:     hidden_group_size_z
      - .offset:         114
        .size:           2
        .value_kind:     hidden_remainder_x
      - .offset:         116
        .size:           2
        .value_kind:     hidden_remainder_y
      - .offset:         118
        .size:           2
        .value_kind:     hidden_remainder_z
      - .offset:         136
        .size:           8
        .value_kind:     hidden_global_offset_x
      - .offset:         144
        .size:           8
        .value_kind:     hidden_global_offset_y
      - .offset:         152
        .size:           8
        .value_kind:     hidden_global_offset_z
      - .offset:         160
        .size:           2
        .value_kind:     hidden_grid_dims
    .group_segment_fixed_size: 1024
    .kernarg_segment_align: 8
    .kernarg_segment_size: 352
    .language:       OpenCL C
    .language_version:
      - 2
      - 0
    .max_flat_workgroup_size: 512
    .name:           _ZL18rocblas_dot_kernelIlLb0ELi512ELi2ELb1E19rocblas_complex_numIdEPKPKS1_S1_EviT5_lT_lS6_lS7_liPT6_PT4_
    .private_segment_fixed_size: 0
    .sgpr_count:     28
    .sgpr_spill_count: 0
    .symbol:         _ZL18rocblas_dot_kernelIlLb0ELi512ELi2ELb1E19rocblas_complex_numIdEPKPKS1_S1_EviT5_lT_lS6_lS7_liPT6_PT4_.kd
    .uniform_work_group_size: 1
    .uses_dynamic_stack: false
    .vgpr_count:     16
    .vgpr_spill_count: 0
    .wavefront_size: 64
  - .agpr_count:     0
    .args:
      - .offset:         0
        .size:           4
        .value_kind:     by_value
      - .actual_access:  read_only
        .address_space:  global
        .offset:         8
        .size:           8
        .value_kind:     global_buffer
      - .offset:         16
        .size:           8
        .value_kind:     by_value
      - .offset:         24
        .size:           8
        .value_kind:     by_value
      - .offset:         32
        .size:           8
        .value_kind:     by_value
      - .offset:         40
        .size:           4
        .value_kind:     by_value
      - .actual_access:  write_only
        .address_space:  global
        .offset:         48
        .size:           8
        .value_kind:     global_buffer
      - .actual_access:  write_only
        .address_space:  global
        .offset:         56
        .size:           8
        .value_kind:     global_buffer
      - .offset:         64
        .size:           4
        .value_kind:     hidden_block_count_x
      - .offset:         68
        .size:           4
        .value_kind:     hidden_block_count_y
      - .offset:         72
        .size:           4
        .value_kind:     hidden_block_count_z
      - .offset:         76
        .size:           2
        .value_kind:     hidden_group_size_x
      - .offset:         78
        .size:           2
        .value_kind:     hidden_group_size_y
      - .offset:         80
        .size:           2
        .value_kind:     hidden_group_size_z
      - .offset:         82
        .size:           2
        .value_kind:     hidden_remainder_x
      - .offset:         84
        .size:           2
        .value_kind:     hidden_remainder_y
      - .offset:         86
        .size:           2
        .value_kind:     hidden_remainder_z
      - .offset:         104
        .size:           8
        .value_kind:     hidden_global_offset_x
      - .offset:         112
        .size:           8
        .value_kind:     hidden_global_offset_y
      - .offset:         120
        .size:           8
        .value_kind:     hidden_global_offset_z
      - .offset:         128
        .size:           2
        .value_kind:     hidden_grid_dims
    .group_segment_fixed_size: 1024
    .kernarg_segment_align: 8
    .kernarg_segment_size: 320
    .language:       OpenCL C
    .language_version:
      - 2
      - 0
    .max_flat_workgroup_size: 512
    .name:           _ZL24rocblas_dot_kernel_magsqIlLb0ELi512ELi2ELb1E19rocblas_complex_numIdEPKPKS1_S1_EviT5_lT_liPT6_PT4_
    .private_segment_fixed_size: 0
    .sgpr_count:     22
    .sgpr_spill_count: 0
    .symbol:         _ZL24rocblas_dot_kernel_magsqIlLb0ELi512ELi2ELb1E19rocblas_complex_numIdEPKPKS1_S1_EviT5_lT_liPT6_PT4_.kd
    .uniform_work_group_size: 1
    .uses_dynamic_stack: false
    .vgpr_count:     15
    .vgpr_spill_count: 0
    .wavefront_size: 64
  - .agpr_count:     0
    .args:
      - .offset:         0
        .size:           4
        .value_kind:     by_value
      - .actual_access:  read_only
        .address_space:  global
        .offset:         8
        .size:           8
        .value_kind:     global_buffer
      - .offset:         16
        .size:           8
        .value_kind:     by_value
      - .offset:         24
        .size:           8
        .value_kind:     by_value
      - .offset:         32
        .size:           8
        .value_kind:     by_value
      - .actual_access:  read_only
        .address_space:  global
        .offset:         40
        .size:           8
        .value_kind:     global_buffer
      - .offset:         48
        .size:           8
        .value_kind:     by_value
      - .offset:         56
        .size:           8
        .value_kind:     by_value
      - .offset:         64
        .size:           8
        .value_kind:     by_value
      - .offset:         72
        .size:           4
        .value_kind:     by_value
      - .actual_access:  write_only
        .address_space:  global
        .offset:         80
        .size:           8
        .value_kind:     global_buffer
    .group_segment_fixed_size: 0
    .kernarg_segment_align: 8
    .kernarg_segment_size: 88
    .language:       OpenCL C
    .language_version:
      - 2
      - 0
    .max_flat_workgroup_size: 128
    .name:           _ZL28rocblas_dot_batched_4_kernelIlLi32ELi4ELb1EffPKDF16_EviT5_lT_lS2_lS3_liPT4_
    .private_segment_fixed_size: 0
    .sgpr_count:     28
    .sgpr_spill_count: 0
    .symbol:         _ZL28rocblas_dot_batched_4_kernelIlLi32ELi4ELb1EffPKDF16_EviT5_lT_lS2_lS3_liPT4_.kd
    .uniform_work_group_size: 1
    .uses_dynamic_stack: false
    .vgpr_count:     13
    .vgpr_spill_count: 0
    .wavefront_size: 64
  - .agpr_count:     0
    .args:
      - .offset:         0
        .size:           4
        .value_kind:     by_value
      - .actual_access:  read_only
        .address_space:  global
        .offset:         8
        .size:           8
        .value_kind:     global_buffer
      - .offset:         16
        .size:           8
        .value_kind:     by_value
      - .offset:         24
        .size:           8
        .value_kind:     by_value
      - .offset:         32
        .size:           8
        .value_kind:     by_value
      - .actual_access:  read_only
        .address_space:  global
        .offset:         40
        .size:           8
        .value_kind:     global_buffer
      - .offset:         48
        .size:           8
        .value_kind:     by_value
      - .offset:         56
        .size:           8
        .value_kind:     by_value
      - .offset:         64
        .size:           8
        .value_kind:     by_value
      - .offset:         72
        .size:           4
        .value_kind:     by_value
      - .actual_access:  write_only
        .address_space:  global
        .offset:         80
        .size:           8
        .value_kind:     global_buffer
    .group_segment_fixed_size: 0
    .kernarg_segment_align: 8
    .kernarg_segment_size: 88
    .language:       OpenCL C
    .language_version:
      - 2
      - 0
    .max_flat_workgroup_size: 256
    .name:           _ZL28rocblas_dot_batched_4_kernelIlLi64ELi4ELb1EffPKDF16_EviT5_lT_lS2_lS3_liPT4_
    .private_segment_fixed_size: 0
    .sgpr_count:     28
    .sgpr_spill_count: 0
    .symbol:         _ZL28rocblas_dot_batched_4_kernelIlLi64ELi4ELb1EffPKDF16_EviT5_lT_lS2_lS3_liPT4_.kd
    .uniform_work_group_size: 1
    .uses_dynamic_stack: false
    .vgpr_count:     13
    .vgpr_spill_count: 0
    .wavefront_size: 64
  - .agpr_count:     0
    .args:
      - .offset:         0
        .size:           4
        .value_kind:     by_value
      - .actual_access:  read_only
        .address_space:  global
        .offset:         8
        .size:           8
        .value_kind:     global_buffer
      - .offset:         16
        .size:           8
        .value_kind:     by_value
      - .offset:         24
        .size:           8
        .value_kind:     by_value
      - .actual_access:  read_only
        .address_space:  global
        .offset:         32
        .size:           8
        .value_kind:     global_buffer
      - .offset:         40
        .size:           8
        .value_kind:     by_value
      - .offset:         48
        .size:           8
        .value_kind:     by_value
      - .offset:         56
        .size:           4
        .value_kind:     by_value
      - .actual_access:  read_only
        .address_space:  global
        .offset:         64
        .size:           8
        .value_kind:     global_buffer
      - .actual_access:  write_only
        .address_space:  global
        .offset:         72
        .size:           8
        .value_kind:     global_buffer
    .group_segment_fixed_size: 256
    .kernarg_segment_align: 8
    .kernarg_segment_size: 80
    .language:       OpenCL C
    .language_version:
      - 2
      - 0
    .max_flat_workgroup_size: 1024
    .name:           _ZL26rocblas_dot_kernel_inc1by2ILb1ELi1024ELi32ELb1EfPKDF16_fEviT4_llS2_lliPT5_PT3_
    .private_segment_fixed_size: 0
    .sgpr_count:     32
    .sgpr_spill_count: 0
    .symbol:         _ZL26rocblas_dot_kernel_inc1by2ILb1ELi1024ELi32ELb1EfPKDF16_fEviT4_llS2_lliPT5_PT3_.kd
    .uniform_work_group_size: 1
    .uses_dynamic_stack: false
    .vgpr_count:     12
    .vgpr_spill_count: 0
    .wavefront_size: 64
  - .agpr_count:     0
    .args:
      - .offset:         0
        .size:           4
        .value_kind:     by_value
      - .actual_access:  read_only
        .address_space:  global
        .offset:         8
        .size:           8
        .value_kind:     global_buffer
      - .offset:         16
        .size:           8
        .value_kind:     by_value
      - .offset:         24
        .size:           8
        .value_kind:     by_value
      - .offset:         32
        .size:           8
        .value_kind:     by_value
      - .actual_access:  read_only
        .address_space:  global
        .offset:         40
        .size:           8
        .value_kind:     global_buffer
      - .offset:         48
        .size:           8
        .value_kind:     by_value
      - .offset:         56
        .size:           8
        .value_kind:     by_value
      - .offset:         64
        .size:           8
        .value_kind:     by_value
      - .offset:         72
        .size:           4
        .value_kind:     by_value
      - .actual_access:  read_only
        .address_space:  global
        .offset:         80
        .size:           8
        .value_kind:     global_buffer
      - .actual_access:  write_only
        .address_space:  global
        .offset:         88
        .size:           8
        .value_kind:     global_buffer
      - .offset:         96
        .size:           4
        .value_kind:     hidden_block_count_x
      - .offset:         100
        .size:           4
        .value_kind:     hidden_block_count_y
      - .offset:         104
        .size:           4
        .value_kind:     hidden_block_count_z
      - .offset:         108
        .size:           2
        .value_kind:     hidden_group_size_x
      - .offset:         110
        .size:           2
        .value_kind:     hidden_group_size_y
      - .offset:         112
        .size:           2
        .value_kind:     hidden_group_size_z
      - .offset:         114
        .size:           2
        .value_kind:     hidden_remainder_x
      - .offset:         116
        .size:           2
        .value_kind:     hidden_remainder_y
      - .offset:         118
        .size:           2
        .value_kind:     hidden_remainder_z
      - .offset:         136
        .size:           8
        .value_kind:     hidden_global_offset_x
      - .offset:         144
        .size:           8
        .value_kind:     hidden_global_offset_y
      - .offset:         152
        .size:           8
        .value_kind:     hidden_global_offset_z
      - .offset:         160
        .size:           2
        .value_kind:     hidden_grid_dims
    .group_segment_fixed_size: 256
    .kernarg_segment_align: 8
    .kernarg_segment_size: 352
    .language:       OpenCL C
    .language_version:
      - 2
      - 0
    .max_flat_workgroup_size: 1024
    .name:           _ZL18rocblas_dot_kernelIlLb1ELi1024ELi32ELb1EfPKDF16_fEviT5_lT_lS2_lS3_liPT6_PT4_
    .private_segment_fixed_size: 0
    .sgpr_count:     30
    .sgpr_spill_count: 0
    .symbol:         _ZL18rocblas_dot_kernelIlLb1ELi1024ELi32ELb1EfPKDF16_fEviT5_lT_lS2_lS3_liPT6_PT4_.kd
    .uniform_work_group_size: 1
    .uses_dynamic_stack: false
    .vgpr_count:     11
    .vgpr_spill_count: 0
    .wavefront_size: 64
  - .agpr_count:     0
    .args:
      - .offset:         0
        .size:           4
        .value_kind:     by_value
      - .actual_access:  read_only
        .address_space:  global
        .offset:         8
        .size:           8
        .value_kind:     global_buffer
      - .offset:         16
        .size:           8
        .value_kind:     by_value
      - .offset:         24
        .size:           8
        .value_kind:     by_value
      - .offset:         32
        .size:           8
        .value_kind:     by_value
      - .offset:         40
        .size:           4
        .value_kind:     by_value
      - .actual_access:  read_only
        .address_space:  global
        .offset:         48
        .size:           8
        .value_kind:     global_buffer
      - .actual_access:  write_only
        .address_space:  global
        .offset:         56
        .size:           8
        .value_kind:     global_buffer
      - .offset:         64
        .size:           4
        .value_kind:     hidden_block_count_x
      - .offset:         68
        .size:           4
        .value_kind:     hidden_block_count_y
      - .offset:         72
        .size:           4
        .value_kind:     hidden_block_count_z
      - .offset:         76
        .size:           2
        .value_kind:     hidden_group_size_x
      - .offset:         78
        .size:           2
        .value_kind:     hidden_group_size_y
      - .offset:         80
        .size:           2
        .value_kind:     hidden_group_size_z
      - .offset:         82
        .size:           2
        .value_kind:     hidden_remainder_x
      - .offset:         84
        .size:           2
        .value_kind:     hidden_remainder_y
      - .offset:         86
        .size:           2
        .value_kind:     hidden_remainder_z
      - .offset:         104
        .size:           8
        .value_kind:     hidden_global_offset_x
      - .offset:         112
        .size:           8
        .value_kind:     hidden_global_offset_y
      - .offset:         120
        .size:           8
        .value_kind:     hidden_global_offset_z
      - .offset:         128
        .size:           2
        .value_kind:     hidden_grid_dims
    .group_segment_fixed_size: 256
    .kernarg_segment_align: 8
    .kernarg_segment_size: 320
    .language:       OpenCL C
    .language_version:
      - 2
      - 0
    .max_flat_workgroup_size: 1024
    .name:           _ZL24rocblas_dot_kernel_magsqIlLb1ELi1024ELi32ELb1EfPKDF16_fEviT5_lT_liPT6_PT4_
    .private_segment_fixed_size: 0
    .sgpr_count:     24
    .sgpr_spill_count: 0
    .symbol:         _ZL24rocblas_dot_kernel_magsqIlLb1ELi1024ELi32ELb1EfPKDF16_fEviT5_lT_liPT6_PT4_.kd
    .uniform_work_group_size: 1
    .uses_dynamic_stack: false
    .vgpr_count:     10
    .vgpr_spill_count: 0
    .wavefront_size: 64
  - .agpr_count:     0
    .args:
      - .offset:         0
        .size:           4
        .value_kind:     by_value
      - .actual_access:  read_only
        .address_space:  global
        .offset:         8
        .size:           8
        .value_kind:     global_buffer
      - .offset:         16
        .size:           8
        .value_kind:     by_value
      - .offset:         24
        .size:           8
        .value_kind:     by_value
      - .offset:         32
        .size:           8
        .value_kind:     by_value
      - .actual_access:  read_only
        .address_space:  global
        .offset:         40
        .size:           8
        .value_kind:     global_buffer
      - .offset:         48
        .size:           8
        .value_kind:     by_value
      - .offset:         56
        .size:           8
        .value_kind:     by_value
      - .offset:         64
        .size:           8
        .value_kind:     by_value
      - .actual_access:  read_only
        .address_space:  global
        .offset:         72
        .size:           8
        .value_kind:     global_buffer
      - .actual_access:  read_only
        .address_space:  global
        .offset:         80
        .size:           8
        .value_kind:     global_buffer
    .group_segment_fixed_size: 0
    .kernarg_segment_align: 8
    .kernarg_segment_size: 88
    .language:       OpenCL C
    .language_version:
      - 2
      - 0
    .max_flat_workgroup_size: 1024
    .name:           _ZL38rocblas_dot_kernel_gfx942_float_doubleIlLi1024EfPKDF16_fEviT2_lT_lS2_lS3_lPT3_PT1_
    .private_segment_fixed_size: 0
    .sgpr_count:     4
    .sgpr_spill_count: 0
    .symbol:         _ZL38rocblas_dot_kernel_gfx942_float_doubleIlLi1024EfPKDF16_fEviT2_lT_lS2_lS3_lPT3_PT1_.kd
    .uniform_work_group_size: 1
    .uses_dynamic_stack: false
    .vgpr_count:     0
    .vgpr_spill_count: 0
    .wavefront_size: 64
  - .agpr_count:     0
    .args:
      - .offset:         0
        .size:           4
        .value_kind:     by_value
      - .actual_access:  read_only
        .address_space:  global
        .offset:         8
        .size:           8
        .value_kind:     global_buffer
      - .actual_access:  write_only
        .address_space:  global
        .offset:         16
        .size:           8
        .value_kind:     global_buffer
    .group_segment_fixed_size: 256
    .kernarg_segment_align: 8
    .kernarg_segment_size: 24
    .language:       OpenCL C
    .language_version:
      - 2
      - 0
    .max_flat_workgroup_size: 1024
    .name:           _ZL30rocblas_reduction_kernel_part2ILi1024ELi4E25rocblas_finalize_identityffEviPT2_PT3_
    .private_segment_fixed_size: 0
    .sgpr_count:     18
    .sgpr_spill_count: 0
    .symbol:         _ZL30rocblas_reduction_kernel_part2ILi1024ELi4E25rocblas_finalize_identityffEviPT2_PT3_.kd
    .uniform_work_group_size: 1
    .uses_dynamic_stack: false
    .vgpr_count:     10
    .vgpr_spill_count: 0
    .wavefront_size: 64
  - .agpr_count:     0
    .args:
      - .offset:         0
        .size:           4
        .value_kind:     by_value
      - .actual_access:  read_only
        .address_space:  global
        .offset:         8
        .size:           8
        .value_kind:     global_buffer
      - .offset:         16
        .size:           8
        .value_kind:     by_value
      - .offset:         24
        .size:           8
        .value_kind:     by_value
      - .actual_access:  read_only
        .address_space:  global
        .offset:         32
        .size:           8
        .value_kind:     global_buffer
      - .offset:         40
        .size:           8
        .value_kind:     by_value
      - .offset:         48
        .size:           8
        .value_kind:     by_value
      - .offset:         56
        .size:           4
        .value_kind:     by_value
      - .actual_access:  write_only
        .address_space:  global
        .offset:         64
        .size:           8
        .value_kind:     global_buffer
      - .actual_access:  write_only
        .address_space:  global
        .offset:         72
        .size:           8
        .value_kind:     global_buffer
      - .offset:         80
        .size:           4
        .value_kind:     hidden_block_count_x
      - .offset:         84
        .size:           4
        .value_kind:     hidden_block_count_y
      - .offset:         88
        .size:           4
        .value_kind:     hidden_block_count_z
      - .offset:         92
        .size:           2
        .value_kind:     hidden_group_size_x
      - .offset:         94
        .size:           2
        .value_kind:     hidden_group_size_y
      - .offset:         96
        .size:           2
        .value_kind:     hidden_group_size_z
      - .offset:         98
        .size:           2
        .value_kind:     hidden_remainder_x
      - .offset:         100
        .size:           2
        .value_kind:     hidden_remainder_y
      - .offset:         102
        .size:           2
        .value_kind:     hidden_remainder_z
      - .offset:         120
        .size:           8
        .value_kind:     hidden_global_offset_x
      - .offset:         128
        .size:           8
        .value_kind:     hidden_global_offset_y
      - .offset:         136
        .size:           8
        .value_kind:     hidden_global_offset_z
      - .offset:         144
        .size:           2
        .value_kind:     hidden_grid_dims
    .group_segment_fixed_size: 256
    .kernarg_segment_align: 8
    .kernarg_segment_size: 336
    .language:       OpenCL C
    .language_version:
      - 2
      - 0
    .max_flat_workgroup_size: 512
    .name:           _ZL23rocblas_dot_kernel_inc1ILb0ELi512ELi4ELb1EfPKDF16_fEviT4_llS2_lliPT5_PT3_
    .private_segment_fixed_size: 0
    .sgpr_count:     32
    .sgpr_spill_count: 0
    .symbol:         _ZL23rocblas_dot_kernel_inc1ILb0ELi512ELi4ELb1EfPKDF16_fEviT4_llS2_lliPT5_PT3_.kd
    .uniform_work_group_size: 1
    .uses_dynamic_stack: false
    .vgpr_count:     14
    .vgpr_spill_count: 0
    .wavefront_size: 64
  - .agpr_count:     0
    .args:
      - .offset:         0
        .size:           4
        .value_kind:     by_value
      - .actual_access:  read_only
        .address_space:  global
        .offset:         8
        .size:           8
        .value_kind:     global_buffer
      - .offset:         16
        .size:           8
        .value_kind:     by_value
      - .offset:         24
        .size:           8
        .value_kind:     by_value
      - .offset:         32
        .size:           8
        .value_kind:     by_value
      - .actual_access:  read_only
        .address_space:  global
        .offset:         40
        .size:           8
        .value_kind:     global_buffer
      - .offset:         48
        .size:           8
        .value_kind:     by_value
      - .offset:         56
        .size:           8
        .value_kind:     by_value
      - .offset:         64
        .size:           8
        .value_kind:     by_value
      - .offset:         72
        .size:           4
        .value_kind:     by_value
      - .actual_access:  write_only
        .address_space:  global
        .offset:         80
        .size:           8
        .value_kind:     global_buffer
      - .actual_access:  write_only
        .address_space:  global
        .offset:         88
        .size:           8
        .value_kind:     global_buffer
      - .offset:         96
        .size:           4
        .value_kind:     hidden_block_count_x
      - .offset:         100
        .size:           4
        .value_kind:     hidden_block_count_y
      - .offset:         104
        .size:           4
        .value_kind:     hidden_block_count_z
      - .offset:         108
        .size:           2
        .value_kind:     hidden_group_size_x
      - .offset:         110
        .size:           2
        .value_kind:     hidden_group_size_y
      - .offset:         112
        .size:           2
        .value_kind:     hidden_group_size_z
      - .offset:         114
        .size:           2
        .value_kind:     hidden_remainder_x
      - .offset:         116
        .size:           2
        .value_kind:     hidden_remainder_y
      - .offset:         118
        .size:           2
        .value_kind:     hidden_remainder_z
      - .offset:         136
        .size:           8
        .value_kind:     hidden_global_offset_x
      - .offset:         144
        .size:           8
        .value_kind:     hidden_global_offset_y
      - .offset:         152
        .size:           8
        .value_kind:     hidden_global_offset_z
      - .offset:         160
        .size:           2
        .value_kind:     hidden_grid_dims
    .group_segment_fixed_size: 256
    .kernarg_segment_align: 8
    .kernarg_segment_size: 352
    .language:       OpenCL C
    .language_version:
      - 2
      - 0
    .max_flat_workgroup_size: 512
    .name:           _ZL18rocblas_dot_kernelIlLb0ELi512ELi4ELb1EfPKDF16_fEviT5_lT_lS2_lS3_liPT6_PT4_
    .private_segment_fixed_size: 0
    .sgpr_count:     34
    .sgpr_spill_count: 0
    .symbol:         _ZL18rocblas_dot_kernelIlLb0ELi512ELi4ELb1EfPKDF16_fEviT5_lT_lS2_lS3_liPT6_PT4_.kd
    .uniform_work_group_size: 1
    .uses_dynamic_stack: false
    .vgpr_count:     11
    .vgpr_spill_count: 0
    .wavefront_size: 64
  - .agpr_count:     0
    .args:
      - .offset:         0
        .size:           4
        .value_kind:     by_value
      - .actual_access:  read_only
        .address_space:  global
        .offset:         8
        .size:           8
        .value_kind:     global_buffer
      - .offset:         16
        .size:           8
        .value_kind:     by_value
      - .offset:         24
        .size:           8
        .value_kind:     by_value
      - .offset:         32
        .size:           8
        .value_kind:     by_value
      - .offset:         40
        .size:           4
        .value_kind:     by_value
      - .actual_access:  write_only
        .address_space:  global
        .offset:         48
        .size:           8
        .value_kind:     global_buffer
      - .actual_access:  write_only
        .address_space:  global
        .offset:         56
        .size:           8
        .value_kind:     global_buffer
      - .offset:         64
        .size:           4
        .value_kind:     hidden_block_count_x
      - .offset:         68
        .size:           4
        .value_kind:     hidden_block_count_y
      - .offset:         72
        .size:           4
        .value_kind:     hidden_block_count_z
      - .offset:         76
        .size:           2
        .value_kind:     hidden_group_size_x
      - .offset:         78
        .size:           2
        .value_kind:     hidden_group_size_y
      - .offset:         80
        .size:           2
        .value_kind:     hidden_group_size_z
      - .offset:         82
        .size:           2
        .value_kind:     hidden_remainder_x
      - .offset:         84
        .size:           2
        .value_kind:     hidden_remainder_y
      - .offset:         86
        .size:           2
        .value_kind:     hidden_remainder_z
      - .offset:         104
        .size:           8
        .value_kind:     hidden_global_offset_x
      - .offset:         112
        .size:           8
        .value_kind:     hidden_global_offset_y
      - .offset:         120
        .size:           8
        .value_kind:     hidden_global_offset_z
      - .offset:         128
        .size:           2
        .value_kind:     hidden_grid_dims
    .group_segment_fixed_size: 256
    .kernarg_segment_align: 8
    .kernarg_segment_size: 320
    .language:       OpenCL C
    .language_version:
      - 2
      - 0
    .max_flat_workgroup_size: 512
    .name:           _ZL24rocblas_dot_kernel_magsqIlLb0ELi512ELi4ELb1EfPKDF16_fEviT5_lT_liPT6_PT4_
    .private_segment_fixed_size: 0
    .sgpr_count:     28
    .sgpr_spill_count: 0
    .symbol:         _ZL24rocblas_dot_kernel_magsqIlLb0ELi512ELi4ELb1EfPKDF16_fEviT5_lT_liPT6_PT4_.kd
    .uniform_work_group_size: 1
    .uses_dynamic_stack: false
    .vgpr_count:     9
    .vgpr_spill_count: 0
    .wavefront_size: 64
  - .agpr_count:     0
    .args:
      - .offset:         0
        .size:           4
        .value_kind:     by_value
      - .actual_access:  read_only
        .address_space:  global
        .offset:         8
        .size:           8
        .value_kind:     global_buffer
      - .actual_access:  write_only
        .address_space:  global
        .offset:         16
        .size:           8
        .value_kind:     global_buffer
    .group_segment_fixed_size: 256
    .kernarg_segment_align: 8
    .kernarg_segment_size: 24
    .language:       OpenCL C
    .language_version:
      - 2
      - 0
    .max_flat_workgroup_size: 512
    .name:           _ZL30rocblas_reduction_kernel_part2ILi512ELi4E25rocblas_finalize_identityffEviPT2_PT3_
    .private_segment_fixed_size: 0
    .sgpr_count:     18
    .sgpr_spill_count: 0
    .symbol:         _ZL30rocblas_reduction_kernel_part2ILi512ELi4E25rocblas_finalize_identityffEviPT2_PT3_.kd
    .uniform_work_group_size: 1
    .uses_dynamic_stack: false
    .vgpr_count:     10
    .vgpr_spill_count: 0
    .wavefront_size: 64
  - .agpr_count:     0
    .args:
      - .offset:         0
        .size:           4
        .value_kind:     by_value
      - .actual_access:  read_only
        .address_space:  global
        .offset:         8
        .size:           8
        .value_kind:     global_buffer
      - .offset:         16
        .size:           8
        .value_kind:     by_value
      - .offset:         24
        .size:           8
        .value_kind:     by_value
      - .offset:         32
        .size:           8
        .value_kind:     by_value
      - .actual_access:  read_only
        .address_space:  global
        .offset:         40
        .size:           8
        .value_kind:     global_buffer
      - .offset:         48
        .size:           8
        .value_kind:     by_value
      - .offset:         56
        .size:           8
        .value_kind:     by_value
      - .offset:         64
        .size:           8
        .value_kind:     by_value
      - .offset:         72
        .size:           4
        .value_kind:     by_value
      - .actual_access:  write_only
        .address_space:  global
        .offset:         80
        .size:           8
        .value_kind:     global_buffer
    .group_segment_fixed_size: 0
    .kernarg_segment_align: 8
    .kernarg_segment_size: 88
    .language:       OpenCL C
    .language_version:
      - 2
      - 0
    .max_flat_workgroup_size: 128
    .name:           _ZL28rocblas_dot_batched_4_kernelIlLi32ELi4ELb1EffPKPKDF16_EviT5_lT_lS4_lS5_liPT4_
    .private_segment_fixed_size: 0
    .sgpr_count:     24
    .sgpr_spill_count: 0
    .symbol:         _ZL28rocblas_dot_batched_4_kernelIlLi32ELi4ELb1EffPKPKDF16_EviT5_lT_lS4_lS5_liPT4_.kd
    .uniform_work_group_size: 1
    .uses_dynamic_stack: false
    .vgpr_count:     20
    .vgpr_spill_count: 0
    .wavefront_size: 64
  - .agpr_count:     0
    .args:
      - .offset:         0
        .size:           4
        .value_kind:     by_value
      - .actual_access:  read_only
        .address_space:  global
        .offset:         8
        .size:           8
        .value_kind:     global_buffer
      - .offset:         16
        .size:           8
        .value_kind:     by_value
      - .offset:         24
        .size:           8
        .value_kind:     by_value
      - .offset:         32
        .size:           8
        .value_kind:     by_value
      - .actual_access:  read_only
        .address_space:  global
        .offset:         40
        .size:           8
        .value_kind:     global_buffer
      - .offset:         48
        .size:           8
        .value_kind:     by_value
      - .offset:         56
        .size:           8
        .value_kind:     by_value
      - .offset:         64
        .size:           8
        .value_kind:     by_value
      - .offset:         72
        .size:           4
        .value_kind:     by_value
      - .actual_access:  write_only
        .address_space:  global
        .offset:         80
        .size:           8
        .value_kind:     global_buffer
    .group_segment_fixed_size: 0
    .kernarg_segment_align: 8
    .kernarg_segment_size: 88
    .language:       OpenCL C
    .language_version:
      - 2
      - 0
    .max_flat_workgroup_size: 256
    .name:           _ZL28rocblas_dot_batched_4_kernelIlLi64ELi4ELb1EffPKPKDF16_EviT5_lT_lS4_lS5_liPT4_
    .private_segment_fixed_size: 0
    .sgpr_count:     24
    .sgpr_spill_count: 0
    .symbol:         _ZL28rocblas_dot_batched_4_kernelIlLi64ELi4ELb1EffPKPKDF16_EviT5_lT_lS4_lS5_liPT4_.kd
    .uniform_work_group_size: 1
    .uses_dynamic_stack: false
    .vgpr_count:     20
    .vgpr_spill_count: 0
    .wavefront_size: 64
  - .agpr_count:     0
    .args:
      - .offset:         0
        .size:           4
        .value_kind:     by_value
      - .actual_access:  read_only
        .address_space:  global
        .offset:         8
        .size:           8
        .value_kind:     global_buffer
      - .offset:         16
        .size:           8
        .value_kind:     by_value
      - .offset:         24
        .size:           8
        .value_kind:     by_value
      - .actual_access:  read_only
        .address_space:  global
        .offset:         32
        .size:           8
        .value_kind:     global_buffer
      - .offset:         40
        .size:           8
        .value_kind:     by_value
      - .offset:         48
        .size:           8
        .value_kind:     by_value
      - .offset:         56
        .size:           4
        .value_kind:     by_value
      - .actual_access:  read_only
        .address_space:  global
        .offset:         64
        .size:           8
        .value_kind:     global_buffer
      - .actual_access:  write_only
        .address_space:  global
        .offset:         72
        .size:           8
        .value_kind:     global_buffer
    .group_segment_fixed_size: 256
    .kernarg_segment_align: 8
    .kernarg_segment_size: 80
    .language:       OpenCL C
    .language_version:
      - 2
      - 0
    .max_flat_workgroup_size: 1024
    .name:           _ZL26rocblas_dot_kernel_inc1by2ILb1ELi1024ELi32ELb1EfPKPKDF16_fEviT4_llS4_lliPT5_PT3_
    .private_segment_fixed_size: 0
    .sgpr_count:     28
    .sgpr_spill_count: 0
    .symbol:         _ZL26rocblas_dot_kernel_inc1by2ILb1ELi1024ELi32ELb1EfPKPKDF16_fEviT4_llS4_lliPT5_PT3_.kd
    .uniform_work_group_size: 1
    .uses_dynamic_stack: false
    .vgpr_count:     12
    .vgpr_spill_count: 0
    .wavefront_size: 64
  - .agpr_count:     0
    .args:
      - .offset:         0
        .size:           4
        .value_kind:     by_value
      - .actual_access:  read_only
        .address_space:  global
        .offset:         8
        .size:           8
        .value_kind:     global_buffer
      - .offset:         16
        .size:           8
        .value_kind:     by_value
      - .offset:         24
        .size:           8
        .value_kind:     by_value
      - .offset:         32
        .size:           8
        .value_kind:     by_value
      - .actual_access:  read_only
        .address_space:  global
        .offset:         40
        .size:           8
        .value_kind:     global_buffer
      - .offset:         48
        .size:           8
        .value_kind:     by_value
      - .offset:         56
        .size:           8
        .value_kind:     by_value
      - .offset:         64
        .size:           8
        .value_kind:     by_value
      - .offset:         72
        .size:           4
        .value_kind:     by_value
      - .actual_access:  read_only
        .address_space:  global
        .offset:         80
        .size:           8
        .value_kind:     global_buffer
      - .actual_access:  write_only
        .address_space:  global
        .offset:         88
        .size:           8
        .value_kind:     global_buffer
      - .offset:         96
        .size:           4
        .value_kind:     hidden_block_count_x
      - .offset:         100
        .size:           4
        .value_kind:     hidden_block_count_y
      - .offset:         104
        .size:           4
        .value_kind:     hidden_block_count_z
      - .offset:         108
        .size:           2
        .value_kind:     hidden_group_size_x
      - .offset:         110
        .size:           2
        .value_kind:     hidden_group_size_y
      - .offset:         112
        .size:           2
        .value_kind:     hidden_group_size_z
      - .offset:         114
        .size:           2
        .value_kind:     hidden_remainder_x
      - .offset:         116
        .size:           2
        .value_kind:     hidden_remainder_y
      - .offset:         118
        .size:           2
        .value_kind:     hidden_remainder_z
      - .offset:         136
        .size:           8
        .value_kind:     hidden_global_offset_x
      - .offset:         144
        .size:           8
        .value_kind:     hidden_global_offset_y
      - .offset:         152
        .size:           8
        .value_kind:     hidden_global_offset_z
      - .offset:         160
        .size:           2
        .value_kind:     hidden_grid_dims
    .group_segment_fixed_size: 256
    .kernarg_segment_align: 8
    .kernarg_segment_size: 352
    .language:       OpenCL C
    .language_version:
      - 2
      - 0
    .max_flat_workgroup_size: 1024
    .name:           _ZL18rocblas_dot_kernelIlLb1ELi1024ELi32ELb1EfPKPKDF16_fEviT5_lT_lS4_lS5_liPT6_PT4_
    .private_segment_fixed_size: 0
    .sgpr_count:     30
    .sgpr_spill_count: 0
    .symbol:         _ZL18rocblas_dot_kernelIlLb1ELi1024ELi32ELb1EfPKPKDF16_fEviT5_lT_lS4_lS5_liPT6_PT4_.kd
    .uniform_work_group_size: 1
    .uses_dynamic_stack: false
    .vgpr_count:     11
    .vgpr_spill_count: 0
    .wavefront_size: 64
  - .agpr_count:     0
    .args:
      - .offset:         0
        .size:           4
        .value_kind:     by_value
      - .actual_access:  read_only
        .address_space:  global
        .offset:         8
        .size:           8
        .value_kind:     global_buffer
      - .offset:         16
        .size:           8
        .value_kind:     by_value
      - .offset:         24
        .size:           8
        .value_kind:     by_value
      - .offset:         32
        .size:           8
        .value_kind:     by_value
      - .offset:         40
        .size:           4
        .value_kind:     by_value
      - .actual_access:  read_only
        .address_space:  global
        .offset:         48
        .size:           8
        .value_kind:     global_buffer
      - .actual_access:  write_only
        .address_space:  global
        .offset:         56
        .size:           8
        .value_kind:     global_buffer
      - .offset:         64
        .size:           4
        .value_kind:     hidden_block_count_x
      - .offset:         68
        .size:           4
        .value_kind:     hidden_block_count_y
      - .offset:         72
        .size:           4
        .value_kind:     hidden_block_count_z
      - .offset:         76
        .size:           2
        .value_kind:     hidden_group_size_x
      - .offset:         78
        .size:           2
        .value_kind:     hidden_group_size_y
      - .offset:         80
        .size:           2
        .value_kind:     hidden_group_size_z
      - .offset:         82
        .size:           2
        .value_kind:     hidden_remainder_x
      - .offset:         84
        .size:           2
        .value_kind:     hidden_remainder_y
      - .offset:         86
        .size:           2
        .value_kind:     hidden_remainder_z
      - .offset:         104
        .size:           8
        .value_kind:     hidden_global_offset_x
      - .offset:         112
        .size:           8
        .value_kind:     hidden_global_offset_y
      - .offset:         120
        .size:           8
        .value_kind:     hidden_global_offset_z
      - .offset:         128
        .size:           2
        .value_kind:     hidden_grid_dims
    .group_segment_fixed_size: 256
    .kernarg_segment_align: 8
    .kernarg_segment_size: 320
    .language:       OpenCL C
    .language_version:
      - 2
      - 0
    .max_flat_workgroup_size: 1024
    .name:           _ZL24rocblas_dot_kernel_magsqIlLb1ELi1024ELi32ELb1EfPKPKDF16_fEviT5_lT_liPT6_PT4_
    .private_segment_fixed_size: 0
    .sgpr_count:     24
    .sgpr_spill_count: 0
    .symbol:         _ZL24rocblas_dot_kernel_magsqIlLb1ELi1024ELi32ELb1EfPKPKDF16_fEviT5_lT_liPT6_PT4_.kd
    .uniform_work_group_size: 1
    .uses_dynamic_stack: false
    .vgpr_count:     10
    .vgpr_spill_count: 0
    .wavefront_size: 64
  - .agpr_count:     0
    .args:
      - .offset:         0
        .size:           4
        .value_kind:     by_value
      - .actual_access:  read_only
        .address_space:  global
        .offset:         8
        .size:           8
        .value_kind:     global_buffer
      - .offset:         16
        .size:           8
        .value_kind:     by_value
      - .offset:         24
        .size:           8
        .value_kind:     by_value
      - .offset:         32
        .size:           8
        .value_kind:     by_value
      - .actual_access:  read_only
        .address_space:  global
        .offset:         40
        .size:           8
        .value_kind:     global_buffer
      - .offset:         48
        .size:           8
        .value_kind:     by_value
      - .offset:         56
        .size:           8
        .value_kind:     by_value
      - .offset:         64
        .size:           8
        .value_kind:     by_value
      - .actual_access:  read_only
        .address_space:  global
        .offset:         72
        .size:           8
        .value_kind:     global_buffer
      - .actual_access:  read_only
        .address_space:  global
        .offset:         80
        .size:           8
        .value_kind:     global_buffer
    .group_segment_fixed_size: 0
    .kernarg_segment_align: 8
    .kernarg_segment_size: 88
    .language:       OpenCL C
    .language_version:
      - 2
      - 0
    .max_flat_workgroup_size: 1024
    .name:           _ZL38rocblas_dot_kernel_gfx942_float_doubleIlLi1024EfPKPKDF16_fEviT2_lT_lS4_lS5_lPT3_PT1_
    .private_segment_fixed_size: 0
    .sgpr_count:     4
    .sgpr_spill_count: 0
    .symbol:         _ZL38rocblas_dot_kernel_gfx942_float_doubleIlLi1024EfPKPKDF16_fEviT2_lT_lS4_lS5_lPT3_PT1_.kd
    .uniform_work_group_size: 1
    .uses_dynamic_stack: false
    .vgpr_count:     0
    .vgpr_spill_count: 0
    .wavefront_size: 64
  - .agpr_count:     0
    .args:
      - .offset:         0
        .size:           4
        .value_kind:     by_value
      - .actual_access:  read_only
        .address_space:  global
        .offset:         8
        .size:           8
        .value_kind:     global_buffer
      - .offset:         16
        .size:           8
        .value_kind:     by_value
      - .offset:         24
        .size:           8
        .value_kind:     by_value
      - .actual_access:  read_only
        .address_space:  global
        .offset:         32
        .size:           8
        .value_kind:     global_buffer
      - .offset:         40
        .size:           8
        .value_kind:     by_value
      - .offset:         48
        .size:           8
        .value_kind:     by_value
      - .offset:         56
        .size:           4
        .value_kind:     by_value
      - .actual_access:  write_only
        .address_space:  global
        .offset:         64
        .size:           8
        .value_kind:     global_buffer
      - .actual_access:  write_only
        .address_space:  global
        .offset:         72
        .size:           8
        .value_kind:     global_buffer
      - .offset:         80
        .size:           4
        .value_kind:     hidden_block_count_x
      - .offset:         84
        .size:           4
        .value_kind:     hidden_block_count_y
      - .offset:         88
        .size:           4
        .value_kind:     hidden_block_count_z
      - .offset:         92
        .size:           2
        .value_kind:     hidden_group_size_x
      - .offset:         94
        .size:           2
        .value_kind:     hidden_group_size_y
      - .offset:         96
        .size:           2
        .value_kind:     hidden_group_size_z
      - .offset:         98
        .size:           2
        .value_kind:     hidden_remainder_x
      - .offset:         100
        .size:           2
        .value_kind:     hidden_remainder_y
      - .offset:         102
        .size:           2
        .value_kind:     hidden_remainder_z
      - .offset:         120
        .size:           8
        .value_kind:     hidden_global_offset_x
      - .offset:         128
        .size:           8
        .value_kind:     hidden_global_offset_y
      - .offset:         136
        .size:           8
        .value_kind:     hidden_global_offset_z
      - .offset:         144
        .size:           2
        .value_kind:     hidden_grid_dims
    .group_segment_fixed_size: 256
    .kernarg_segment_align: 8
    .kernarg_segment_size: 336
    .language:       OpenCL C
    .language_version:
      - 2
      - 0
    .max_flat_workgroup_size: 512
    .name:           _ZL23rocblas_dot_kernel_inc1ILb0ELi512ELi4ELb1EfPKPKDF16_fEviT4_llS4_lliPT5_PT3_
    .private_segment_fixed_size: 0
    .sgpr_count:     32
    .sgpr_spill_count: 0
    .symbol:         _ZL23rocblas_dot_kernel_inc1ILb0ELi512ELi4ELb1EfPKPKDF16_fEviT4_llS4_lliPT5_PT3_.kd
    .uniform_work_group_size: 1
    .uses_dynamic_stack: false
    .vgpr_count:     14
    .vgpr_spill_count: 0
    .wavefront_size: 64
  - .agpr_count:     0
    .args:
      - .offset:         0
        .size:           4
        .value_kind:     by_value
      - .actual_access:  read_only
        .address_space:  global
        .offset:         8
        .size:           8
        .value_kind:     global_buffer
      - .offset:         16
        .size:           8
        .value_kind:     by_value
      - .offset:         24
        .size:           8
        .value_kind:     by_value
      - .offset:         32
        .size:           8
        .value_kind:     by_value
      - .actual_access:  read_only
        .address_space:  global
        .offset:         40
        .size:           8
        .value_kind:     global_buffer
      - .offset:         48
        .size:           8
        .value_kind:     by_value
      - .offset:         56
        .size:           8
        .value_kind:     by_value
      - .offset:         64
        .size:           8
        .value_kind:     by_value
      - .offset:         72
        .size:           4
        .value_kind:     by_value
      - .actual_access:  write_only
        .address_space:  global
        .offset:         80
        .size:           8
        .value_kind:     global_buffer
      - .actual_access:  write_only
        .address_space:  global
        .offset:         88
        .size:           8
        .value_kind:     global_buffer
      - .offset:         96
        .size:           4
        .value_kind:     hidden_block_count_x
      - .offset:         100
        .size:           4
        .value_kind:     hidden_block_count_y
      - .offset:         104
        .size:           4
        .value_kind:     hidden_block_count_z
      - .offset:         108
        .size:           2
        .value_kind:     hidden_group_size_x
      - .offset:         110
        .size:           2
        .value_kind:     hidden_group_size_y
      - .offset:         112
        .size:           2
        .value_kind:     hidden_group_size_z
      - .offset:         114
        .size:           2
        .value_kind:     hidden_remainder_x
      - .offset:         116
        .size:           2
        .value_kind:     hidden_remainder_y
      - .offset:         118
        .size:           2
        .value_kind:     hidden_remainder_z
      - .offset:         136
        .size:           8
        .value_kind:     hidden_global_offset_x
      - .offset:         144
        .size:           8
        .value_kind:     hidden_global_offset_y
      - .offset:         152
        .size:           8
        .value_kind:     hidden_global_offset_z
      - .offset:         160
        .size:           2
        .value_kind:     hidden_grid_dims
    .group_segment_fixed_size: 256
    .kernarg_segment_align: 8
    .kernarg_segment_size: 352
    .language:       OpenCL C
    .language_version:
      - 2
      - 0
    .max_flat_workgroup_size: 512
    .name:           _ZL18rocblas_dot_kernelIlLb0ELi512ELi4ELb1EfPKPKDF16_fEviT5_lT_lS4_lS5_liPT6_PT4_
    .private_segment_fixed_size: 0
    .sgpr_count:     30
    .sgpr_spill_count: 0
    .symbol:         _ZL18rocblas_dot_kernelIlLb0ELi512ELi4ELb1EfPKPKDF16_fEviT5_lT_lS4_lS5_liPT6_PT4_.kd
    .uniform_work_group_size: 1
    .uses_dynamic_stack: false
    .vgpr_count:     11
    .vgpr_spill_count: 0
    .wavefront_size: 64
  - .agpr_count:     0
    .args:
      - .offset:         0
        .size:           4
        .value_kind:     by_value
      - .actual_access:  read_only
        .address_space:  global
        .offset:         8
        .size:           8
        .value_kind:     global_buffer
      - .offset:         16
        .size:           8
        .value_kind:     by_value
      - .offset:         24
        .size:           8
        .value_kind:     by_value
      - .offset:         32
        .size:           8
        .value_kind:     by_value
      - .offset:         40
        .size:           4
        .value_kind:     by_value
      - .actual_access:  write_only
        .address_space:  global
        .offset:         48
        .size:           8
        .value_kind:     global_buffer
      - .actual_access:  write_only
        .address_space:  global
        .offset:         56
        .size:           8
        .value_kind:     global_buffer
      - .offset:         64
        .size:           4
        .value_kind:     hidden_block_count_x
      - .offset:         68
        .size:           4
        .value_kind:     hidden_block_count_y
      - .offset:         72
        .size:           4
        .value_kind:     hidden_block_count_z
      - .offset:         76
        .size:           2
        .value_kind:     hidden_group_size_x
      - .offset:         78
        .size:           2
        .value_kind:     hidden_group_size_y
      - .offset:         80
        .size:           2
        .value_kind:     hidden_group_size_z
      - .offset:         82
        .size:           2
        .value_kind:     hidden_remainder_x
      - .offset:         84
        .size:           2
        .value_kind:     hidden_remainder_y
      - .offset:         86
        .size:           2
        .value_kind:     hidden_remainder_z
      - .offset:         104
        .size:           8
        .value_kind:     hidden_global_offset_x
      - .offset:         112
        .size:           8
        .value_kind:     hidden_global_offset_y
      - .offset:         120
        .size:           8
        .value_kind:     hidden_global_offset_z
      - .offset:         128
        .size:           2
        .value_kind:     hidden_grid_dims
    .group_segment_fixed_size: 256
    .kernarg_segment_align: 8
    .kernarg_segment_size: 320
    .language:       OpenCL C
    .language_version:
      - 2
      - 0
    .max_flat_workgroup_size: 512
    .name:           _ZL24rocblas_dot_kernel_magsqIlLb0ELi512ELi4ELb1EfPKPKDF16_fEviT5_lT_liPT6_PT4_
    .private_segment_fixed_size: 0
    .sgpr_count:     28
    .sgpr_spill_count: 0
    .symbol:         _ZL24rocblas_dot_kernel_magsqIlLb0ELi512ELi4ELb1EfPKPKDF16_fEviT5_lT_liPT6_PT4_.kd
    .uniform_work_group_size: 1
    .uses_dynamic_stack: false
    .vgpr_count:     9
    .vgpr_spill_count: 0
    .wavefront_size: 64
  - .agpr_count:     0
    .args:
      - .offset:         0
        .size:           4
        .value_kind:     by_value
      - .actual_access:  read_only
        .address_space:  global
        .offset:         8
        .size:           8
        .value_kind:     global_buffer
      - .offset:         16
        .size:           8
        .value_kind:     by_value
      - .offset:         24
        .size:           8
        .value_kind:     by_value
      - .offset:         32
        .size:           8
        .value_kind:     by_value
      - .actual_access:  read_only
        .address_space:  global
        .offset:         40
        .size:           8
        .value_kind:     global_buffer
      - .offset:         48
        .size:           8
        .value_kind:     by_value
      - .offset:         56
        .size:           8
        .value_kind:     by_value
      - .offset:         64
        .size:           8
        .value_kind:     by_value
      - .offset:         72
        .size:           4
        .value_kind:     by_value
      - .actual_access:  write_only
        .address_space:  global
        .offset:         80
        .size:           8
        .value_kind:     global_buffer
    .group_segment_fixed_size: 0
    .kernarg_segment_align: 8
    .kernarg_segment_size: 88
    .language:       OpenCL C
    .language_version:
      - 2
      - 0
    .max_flat_workgroup_size: 128
    .name:           _ZL28rocblas_dot_batched_4_kernelIlLi32ELi4ELb1EDF16_fPKDF16_EviT5_lT_lS2_lS3_liPT4_
    .private_segment_fixed_size: 0
    .sgpr_count:     28
    .sgpr_spill_count: 0
    .symbol:         _ZL28rocblas_dot_batched_4_kernelIlLi32ELi4ELb1EDF16_fPKDF16_EviT5_lT_lS2_lS3_liPT4_.kd
    .uniform_work_group_size: 1
    .uses_dynamic_stack: false
    .vgpr_count:     13
    .vgpr_spill_count: 0
    .wavefront_size: 64
  - .agpr_count:     0
    .args:
      - .offset:         0
        .size:           4
        .value_kind:     by_value
      - .actual_access:  read_only
        .address_space:  global
        .offset:         8
        .size:           8
        .value_kind:     global_buffer
      - .offset:         16
        .size:           8
        .value_kind:     by_value
      - .offset:         24
        .size:           8
        .value_kind:     by_value
      - .offset:         32
        .size:           8
        .value_kind:     by_value
      - .actual_access:  read_only
        .address_space:  global
        .offset:         40
        .size:           8
        .value_kind:     global_buffer
      - .offset:         48
        .size:           8
        .value_kind:     by_value
      - .offset:         56
        .size:           8
        .value_kind:     by_value
      - .offset:         64
        .size:           8
        .value_kind:     by_value
      - .offset:         72
        .size:           4
        .value_kind:     by_value
      - .actual_access:  write_only
        .address_space:  global
        .offset:         80
        .size:           8
        .value_kind:     global_buffer
    .group_segment_fixed_size: 0
    .kernarg_segment_align: 8
    .kernarg_segment_size: 88
    .language:       OpenCL C
    .language_version:
      - 2
      - 0
    .max_flat_workgroup_size: 256
    .name:           _ZL28rocblas_dot_batched_4_kernelIlLi64ELi4ELb1EDF16_fPKDF16_EviT5_lT_lS2_lS3_liPT4_
    .private_segment_fixed_size: 0
    .sgpr_count:     28
    .sgpr_spill_count: 0
    .symbol:         _ZL28rocblas_dot_batched_4_kernelIlLi64ELi4ELb1EDF16_fPKDF16_EviT5_lT_lS2_lS3_liPT4_.kd
    .uniform_work_group_size: 1
    .uses_dynamic_stack: false
    .vgpr_count:     13
    .vgpr_spill_count: 0
    .wavefront_size: 64
  - .agpr_count:     0
    .args:
      - .offset:         0
        .size:           4
        .value_kind:     by_value
      - .actual_access:  read_only
        .address_space:  global
        .offset:         8
        .size:           8
        .value_kind:     global_buffer
      - .offset:         16
        .size:           8
        .value_kind:     by_value
      - .offset:         24
        .size:           8
        .value_kind:     by_value
      - .actual_access:  read_only
        .address_space:  global
        .offset:         32
        .size:           8
        .value_kind:     global_buffer
      - .offset:         40
        .size:           8
        .value_kind:     by_value
      - .offset:         48
        .size:           8
        .value_kind:     by_value
      - .offset:         56
        .size:           4
        .value_kind:     by_value
      - .actual_access:  read_only
        .address_space:  global
        .offset:         64
        .size:           8
        .value_kind:     global_buffer
      - .actual_access:  write_only
        .address_space:  global
        .offset:         72
        .size:           8
        .value_kind:     global_buffer
    .group_segment_fixed_size: 128
    .kernarg_segment_align: 8
    .kernarg_segment_size: 80
    .language:       OpenCL C
    .language_version:
      - 2
      - 0
    .max_flat_workgroup_size: 1024
    .name:           _ZL26rocblas_dot_kernel_inc1by2ILb1ELi1024ELi32ELb1EfPKDF16_DF16_EviT4_llS2_lliPT5_PT3_
    .private_segment_fixed_size: 0
    .sgpr_count:     32
    .sgpr_spill_count: 0
    .symbol:         _ZL26rocblas_dot_kernel_inc1by2ILb1ELi1024ELi32ELb1EfPKDF16_DF16_EviT4_llS2_lliPT5_PT3_.kd
    .uniform_work_group_size: 1
    .uses_dynamic_stack: false
    .vgpr_count:     11
    .vgpr_spill_count: 0
    .wavefront_size: 64
  - .agpr_count:     0
    .args:
      - .offset:         0
        .size:           4
        .value_kind:     by_value
      - .actual_access:  read_only
        .address_space:  global
        .offset:         8
        .size:           8
        .value_kind:     global_buffer
      - .offset:         16
        .size:           8
        .value_kind:     by_value
      - .offset:         24
        .size:           8
        .value_kind:     by_value
      - .offset:         32
        .size:           8
        .value_kind:     by_value
      - .actual_access:  read_only
        .address_space:  global
        .offset:         40
        .size:           8
        .value_kind:     global_buffer
      - .offset:         48
        .size:           8
        .value_kind:     by_value
      - .offset:         56
        .size:           8
        .value_kind:     by_value
      - .offset:         64
        .size:           8
        .value_kind:     by_value
      - .offset:         72
        .size:           4
        .value_kind:     by_value
      - .actual_access:  read_only
        .address_space:  global
        .offset:         80
        .size:           8
        .value_kind:     global_buffer
      - .actual_access:  write_only
        .address_space:  global
        .offset:         88
        .size:           8
        .value_kind:     global_buffer
      - .offset:         96
        .size:           4
        .value_kind:     hidden_block_count_x
      - .offset:         100
        .size:           4
        .value_kind:     hidden_block_count_y
      - .offset:         104
        .size:           4
        .value_kind:     hidden_block_count_z
      - .offset:         108
        .size:           2
        .value_kind:     hidden_group_size_x
      - .offset:         110
        .size:           2
        .value_kind:     hidden_group_size_y
      - .offset:         112
        .size:           2
        .value_kind:     hidden_group_size_z
      - .offset:         114
        .size:           2
        .value_kind:     hidden_remainder_x
      - .offset:         116
        .size:           2
        .value_kind:     hidden_remainder_y
      - .offset:         118
        .size:           2
        .value_kind:     hidden_remainder_z
      - .offset:         136
        .size:           8
        .value_kind:     hidden_global_offset_x
      - .offset:         144
        .size:           8
        .value_kind:     hidden_global_offset_y
      - .offset:         152
        .size:           8
        .value_kind:     hidden_global_offset_z
      - .offset:         160
        .size:           2
        .value_kind:     hidden_grid_dims
    .group_segment_fixed_size: 128
    .kernarg_segment_align: 8
    .kernarg_segment_size: 352
    .language:       OpenCL C
    .language_version:
      - 2
      - 0
    .max_flat_workgroup_size: 1024
    .name:           _ZL18rocblas_dot_kernelIlLb1ELi1024ELi32ELb1EfPKDF16_DF16_EviT5_lT_lS2_lS3_liPT6_PT4_
    .private_segment_fixed_size: 0
    .sgpr_count:     30
    .sgpr_spill_count: 0
    .symbol:         _ZL18rocblas_dot_kernelIlLb1ELi1024ELi32ELb1EfPKDF16_DF16_EviT5_lT_lS2_lS3_liPT6_PT4_.kd
    .uniform_work_group_size: 1
    .uses_dynamic_stack: false
    .vgpr_count:     11
    .vgpr_spill_count: 0
    .wavefront_size: 64
  - .agpr_count:     0
    .args:
      - .offset:         0
        .size:           4
        .value_kind:     by_value
      - .actual_access:  read_only
        .address_space:  global
        .offset:         8
        .size:           8
        .value_kind:     global_buffer
      - .offset:         16
        .size:           8
        .value_kind:     by_value
      - .offset:         24
        .size:           8
        .value_kind:     by_value
      - .offset:         32
        .size:           8
        .value_kind:     by_value
      - .offset:         40
        .size:           4
        .value_kind:     by_value
      - .actual_access:  read_only
        .address_space:  global
        .offset:         48
        .size:           8
        .value_kind:     global_buffer
      - .actual_access:  write_only
        .address_space:  global
        .offset:         56
        .size:           8
        .value_kind:     global_buffer
      - .offset:         64
        .size:           4
        .value_kind:     hidden_block_count_x
      - .offset:         68
        .size:           4
        .value_kind:     hidden_block_count_y
      - .offset:         72
        .size:           4
        .value_kind:     hidden_block_count_z
      - .offset:         76
        .size:           2
        .value_kind:     hidden_group_size_x
      - .offset:         78
        .size:           2
        .value_kind:     hidden_group_size_y
      - .offset:         80
        .size:           2
        .value_kind:     hidden_group_size_z
      - .offset:         82
        .size:           2
        .value_kind:     hidden_remainder_x
      - .offset:         84
        .size:           2
        .value_kind:     hidden_remainder_y
      - .offset:         86
        .size:           2
        .value_kind:     hidden_remainder_z
      - .offset:         104
        .size:           8
        .value_kind:     hidden_global_offset_x
      - .offset:         112
        .size:           8
        .value_kind:     hidden_global_offset_y
      - .offset:         120
        .size:           8
        .value_kind:     hidden_global_offset_z
      - .offset:         128
        .size:           2
        .value_kind:     hidden_grid_dims
    .group_segment_fixed_size: 128
    .kernarg_segment_align: 8
    .kernarg_segment_size: 320
    .language:       OpenCL C
    .language_version:
      - 2
      - 0
    .max_flat_workgroup_size: 1024
    .name:           _ZL24rocblas_dot_kernel_magsqIlLb1ELi1024ELi32ELb1EfPKDF16_DF16_EviT5_lT_liPT6_PT4_
    .private_segment_fixed_size: 0
    .sgpr_count:     24
    .sgpr_spill_count: 0
    .symbol:         _ZL24rocblas_dot_kernel_magsqIlLb1ELi1024ELi32ELb1EfPKDF16_DF16_EviT5_lT_liPT6_PT4_.kd
    .uniform_work_group_size: 1
    .uses_dynamic_stack: false
    .vgpr_count:     10
    .vgpr_spill_count: 0
    .wavefront_size: 64
  - .agpr_count:     0
    .args:
      - .offset:         0
        .size:           4
        .value_kind:     by_value
      - .actual_access:  read_only
        .address_space:  global
        .offset:         8
        .size:           8
        .value_kind:     global_buffer
      - .offset:         16
        .size:           8
        .value_kind:     by_value
      - .offset:         24
        .size:           8
        .value_kind:     by_value
      - .offset:         32
        .size:           8
        .value_kind:     by_value
      - .actual_access:  read_only
        .address_space:  global
        .offset:         40
        .size:           8
        .value_kind:     global_buffer
      - .offset:         48
        .size:           8
        .value_kind:     by_value
      - .offset:         56
        .size:           8
        .value_kind:     by_value
      - .offset:         64
        .size:           8
        .value_kind:     by_value
      - .actual_access:  read_only
        .address_space:  global
        .offset:         72
        .size:           8
        .value_kind:     global_buffer
      - .actual_access:  read_only
        .address_space:  global
        .offset:         80
        .size:           8
        .value_kind:     global_buffer
    .group_segment_fixed_size: 0
    .kernarg_segment_align: 8
    .kernarg_segment_size: 88
    .language:       OpenCL C
    .language_version:
      - 2
      - 0
    .max_flat_workgroup_size: 1024
    .name:           _ZL38rocblas_dot_kernel_gfx942_float_doubleIlLi1024EfPKDF16_DF16_EviT2_lT_lS2_lS3_lPT3_PT1_
    .private_segment_fixed_size: 0
    .sgpr_count:     4
    .sgpr_spill_count: 0
    .symbol:         _ZL38rocblas_dot_kernel_gfx942_float_doubleIlLi1024EfPKDF16_DF16_EviT2_lT_lS2_lS3_lPT3_PT1_.kd
    .uniform_work_group_size: 1
    .uses_dynamic_stack: false
    .vgpr_count:     0
    .vgpr_spill_count: 0
    .wavefront_size: 64
  - .agpr_count:     0
    .args:
      - .offset:         0
        .size:           4
        .value_kind:     by_value
      - .actual_access:  read_only
        .address_space:  global
        .offset:         8
        .size:           8
        .value_kind:     global_buffer
      - .actual_access:  write_only
        .address_space:  global
        .offset:         16
        .size:           8
        .value_kind:     global_buffer
    .group_segment_fixed_size: 128
    .kernarg_segment_align: 8
    .kernarg_segment_size: 24
    .language:       OpenCL C
    .language_version:
      - 2
      - 0
    .max_flat_workgroup_size: 1024
    .name:           _ZL30rocblas_reduction_kernel_part2ILi1024ELi4E25rocblas_finalize_identityDF16_fEviPT2_PT3_
    .private_segment_fixed_size: 0
    .sgpr_count:     18
    .sgpr_spill_count: 0
    .symbol:         _ZL30rocblas_reduction_kernel_part2ILi1024ELi4E25rocblas_finalize_identityDF16_fEviPT2_PT3_.kd
    .uniform_work_group_size: 1
    .uses_dynamic_stack: false
    .vgpr_count:     11
    .vgpr_spill_count: 0
    .wavefront_size: 64
  - .agpr_count:     0
    .args:
      - .offset:         0
        .size:           4
        .value_kind:     by_value
      - .actual_access:  read_only
        .address_space:  global
        .offset:         8
        .size:           8
        .value_kind:     global_buffer
      - .offset:         16
        .size:           8
        .value_kind:     by_value
      - .offset:         24
        .size:           8
        .value_kind:     by_value
      - .actual_access:  read_only
        .address_space:  global
        .offset:         32
        .size:           8
        .value_kind:     global_buffer
      - .offset:         40
        .size:           8
        .value_kind:     by_value
      - .offset:         48
        .size:           8
        .value_kind:     by_value
      - .offset:         56
        .size:           4
        .value_kind:     by_value
      - .actual_access:  write_only
        .address_space:  global
        .offset:         64
        .size:           8
        .value_kind:     global_buffer
      - .actual_access:  write_only
        .address_space:  global
        .offset:         72
        .size:           8
        .value_kind:     global_buffer
      - .offset:         80
        .size:           4
        .value_kind:     hidden_block_count_x
      - .offset:         84
        .size:           4
        .value_kind:     hidden_block_count_y
      - .offset:         88
        .size:           4
        .value_kind:     hidden_block_count_z
      - .offset:         92
        .size:           2
        .value_kind:     hidden_group_size_x
      - .offset:         94
        .size:           2
        .value_kind:     hidden_group_size_y
      - .offset:         96
        .size:           2
        .value_kind:     hidden_group_size_z
      - .offset:         98
        .size:           2
        .value_kind:     hidden_remainder_x
      - .offset:         100
        .size:           2
        .value_kind:     hidden_remainder_y
      - .offset:         102
        .size:           2
        .value_kind:     hidden_remainder_z
      - .offset:         120
        .size:           8
        .value_kind:     hidden_global_offset_x
      - .offset:         128
        .size:           8
        .value_kind:     hidden_global_offset_y
      - .offset:         136
        .size:           8
        .value_kind:     hidden_global_offset_z
      - .offset:         144
        .size:           2
        .value_kind:     hidden_grid_dims
    .group_segment_fixed_size: 128
    .kernarg_segment_align: 8
    .kernarg_segment_size: 336
    .language:       OpenCL C
    .language_version:
      - 2
      - 0
    .max_flat_workgroup_size: 512
    .name:           _ZL23rocblas_dot_kernel_inc1ILb0ELi512ELi4ELb1EfPKDF16_DF16_EviT4_llS2_lliPT5_PT3_
    .private_segment_fixed_size: 0
    .sgpr_count:     32
    .sgpr_spill_count: 0
    .symbol:         _ZL23rocblas_dot_kernel_inc1ILb0ELi512ELi4ELb1EfPKDF16_DF16_EviT4_llS2_lliPT5_PT3_.kd
    .uniform_work_group_size: 1
    .uses_dynamic_stack: false
    .vgpr_count:     14
    .vgpr_spill_count: 0
    .wavefront_size: 64
  - .agpr_count:     0
    .args:
      - .offset:         0
        .size:           4
        .value_kind:     by_value
      - .actual_access:  read_only
        .address_space:  global
        .offset:         8
        .size:           8
        .value_kind:     global_buffer
      - .offset:         16
        .size:           8
        .value_kind:     by_value
      - .offset:         24
        .size:           8
        .value_kind:     by_value
      - .offset:         32
        .size:           8
        .value_kind:     by_value
      - .actual_access:  read_only
        .address_space:  global
        .offset:         40
        .size:           8
        .value_kind:     global_buffer
      - .offset:         48
        .size:           8
        .value_kind:     by_value
      - .offset:         56
        .size:           8
        .value_kind:     by_value
      - .offset:         64
        .size:           8
        .value_kind:     by_value
      - .offset:         72
        .size:           4
        .value_kind:     by_value
      - .actual_access:  write_only
        .address_space:  global
        .offset:         80
        .size:           8
        .value_kind:     global_buffer
      - .actual_access:  write_only
        .address_space:  global
        .offset:         88
        .size:           8
        .value_kind:     global_buffer
      - .offset:         96
        .size:           4
        .value_kind:     hidden_block_count_x
      - .offset:         100
        .size:           4
        .value_kind:     hidden_block_count_y
      - .offset:         104
        .size:           4
        .value_kind:     hidden_block_count_z
      - .offset:         108
        .size:           2
        .value_kind:     hidden_group_size_x
      - .offset:         110
        .size:           2
        .value_kind:     hidden_group_size_y
      - .offset:         112
        .size:           2
        .value_kind:     hidden_group_size_z
      - .offset:         114
        .size:           2
        .value_kind:     hidden_remainder_x
      - .offset:         116
        .size:           2
        .value_kind:     hidden_remainder_y
      - .offset:         118
        .size:           2
        .value_kind:     hidden_remainder_z
      - .offset:         136
        .size:           8
        .value_kind:     hidden_global_offset_x
      - .offset:         144
        .size:           8
        .value_kind:     hidden_global_offset_y
      - .offset:         152
        .size:           8
        .value_kind:     hidden_global_offset_z
      - .offset:         160
        .size:           2
        .value_kind:     hidden_grid_dims
    .group_segment_fixed_size: 128
    .kernarg_segment_align: 8
    .kernarg_segment_size: 352
    .language:       OpenCL C
    .language_version:
      - 2
      - 0
    .max_flat_workgroup_size: 512
    .name:           _ZL18rocblas_dot_kernelIlLb0ELi512ELi4ELb1EfPKDF16_DF16_EviT5_lT_lS2_lS3_liPT6_PT4_
    .private_segment_fixed_size: 0
    .sgpr_count:     34
    .sgpr_spill_count: 0
    .symbol:         _ZL18rocblas_dot_kernelIlLb0ELi512ELi4ELb1EfPKDF16_DF16_EviT5_lT_lS2_lS3_liPT6_PT4_.kd
    .uniform_work_group_size: 1
    .uses_dynamic_stack: false
    .vgpr_count:     11
    .vgpr_spill_count: 0
    .wavefront_size: 64
  - .agpr_count:     0
    .args:
      - .offset:         0
        .size:           4
        .value_kind:     by_value
      - .actual_access:  read_only
        .address_space:  global
        .offset:         8
        .size:           8
        .value_kind:     global_buffer
      - .offset:         16
        .size:           8
        .value_kind:     by_value
      - .offset:         24
        .size:           8
        .value_kind:     by_value
      - .offset:         32
        .size:           8
        .value_kind:     by_value
      - .offset:         40
        .size:           4
        .value_kind:     by_value
      - .actual_access:  write_only
        .address_space:  global
        .offset:         48
        .size:           8
        .value_kind:     global_buffer
      - .actual_access:  write_only
        .address_space:  global
        .offset:         56
        .size:           8
        .value_kind:     global_buffer
      - .offset:         64
        .size:           4
        .value_kind:     hidden_block_count_x
      - .offset:         68
        .size:           4
        .value_kind:     hidden_block_count_y
      - .offset:         72
        .size:           4
        .value_kind:     hidden_block_count_z
      - .offset:         76
        .size:           2
        .value_kind:     hidden_group_size_x
      - .offset:         78
        .size:           2
        .value_kind:     hidden_group_size_y
      - .offset:         80
        .size:           2
        .value_kind:     hidden_group_size_z
      - .offset:         82
        .size:           2
        .value_kind:     hidden_remainder_x
      - .offset:         84
        .size:           2
        .value_kind:     hidden_remainder_y
      - .offset:         86
        .size:           2
        .value_kind:     hidden_remainder_z
      - .offset:         104
        .size:           8
        .value_kind:     hidden_global_offset_x
      - .offset:         112
        .size:           8
        .value_kind:     hidden_global_offset_y
      - .offset:         120
        .size:           8
        .value_kind:     hidden_global_offset_z
      - .offset:         128
        .size:           2
        .value_kind:     hidden_grid_dims
    .group_segment_fixed_size: 128
    .kernarg_segment_align: 8
    .kernarg_segment_size: 320
    .language:       OpenCL C
    .language_version:
      - 2
      - 0
    .max_flat_workgroup_size: 512
    .name:           _ZL24rocblas_dot_kernel_magsqIlLb0ELi512ELi4ELb1EfPKDF16_DF16_EviT5_lT_liPT6_PT4_
    .private_segment_fixed_size: 0
    .sgpr_count:     28
    .sgpr_spill_count: 0
    .symbol:         _ZL24rocblas_dot_kernel_magsqIlLb0ELi512ELi4ELb1EfPKDF16_DF16_EviT5_lT_liPT6_PT4_.kd
    .uniform_work_group_size: 1
    .uses_dynamic_stack: false
    .vgpr_count:     10
    .vgpr_spill_count: 0
    .wavefront_size: 64
  - .agpr_count:     0
    .args:
      - .offset:         0
        .size:           4
        .value_kind:     by_value
      - .actual_access:  read_only
        .address_space:  global
        .offset:         8
        .size:           8
        .value_kind:     global_buffer
      - .actual_access:  write_only
        .address_space:  global
        .offset:         16
        .size:           8
        .value_kind:     global_buffer
    .group_segment_fixed_size: 128
    .kernarg_segment_align: 8
    .kernarg_segment_size: 24
    .language:       OpenCL C
    .language_version:
      - 2
      - 0
    .max_flat_workgroup_size: 512
    .name:           _ZL30rocblas_reduction_kernel_part2ILi512ELi4E25rocblas_finalize_identityDF16_fEviPT2_PT3_
    .private_segment_fixed_size: 0
    .sgpr_count:     18
    .sgpr_spill_count: 0
    .symbol:         _ZL30rocblas_reduction_kernel_part2ILi512ELi4E25rocblas_finalize_identityDF16_fEviPT2_PT3_.kd
    .uniform_work_group_size: 1
    .uses_dynamic_stack: false
    .vgpr_count:     9
    .vgpr_spill_count: 0
    .wavefront_size: 64
  - .agpr_count:     0
    .args:
      - .offset:         0
        .size:           4
        .value_kind:     by_value
      - .actual_access:  read_only
        .address_space:  global
        .offset:         8
        .size:           8
        .value_kind:     global_buffer
      - .offset:         16
        .size:           8
        .value_kind:     by_value
      - .offset:         24
        .size:           8
        .value_kind:     by_value
      - .offset:         32
        .size:           8
        .value_kind:     by_value
      - .actual_access:  read_only
        .address_space:  global
        .offset:         40
        .size:           8
        .value_kind:     global_buffer
      - .offset:         48
        .size:           8
        .value_kind:     by_value
      - .offset:         56
        .size:           8
        .value_kind:     by_value
      - .offset:         64
        .size:           8
        .value_kind:     by_value
      - .offset:         72
        .size:           4
        .value_kind:     by_value
      - .actual_access:  write_only
        .address_space:  global
        .offset:         80
        .size:           8
        .value_kind:     global_buffer
    .group_segment_fixed_size: 0
    .kernarg_segment_align: 8
    .kernarg_segment_size: 88
    .language:       OpenCL C
    .language_version:
      - 2
      - 0
    .max_flat_workgroup_size: 128
    .name:           _ZL28rocblas_dot_batched_4_kernelIlLi32ELi4ELb1EDF16_fPKPKDF16_EviT5_lT_lS4_lS5_liPT4_
    .private_segment_fixed_size: 0
    .sgpr_count:     24
    .sgpr_spill_count: 0
    .symbol:         _ZL28rocblas_dot_batched_4_kernelIlLi32ELi4ELb1EDF16_fPKPKDF16_EviT5_lT_lS4_lS5_liPT4_.kd
    .uniform_work_group_size: 1
    .uses_dynamic_stack: false
    .vgpr_count:     20
    .vgpr_spill_count: 0
    .wavefront_size: 64
  - .agpr_count:     0
    .args:
      - .offset:         0
        .size:           4
        .value_kind:     by_value
      - .actual_access:  read_only
        .address_space:  global
        .offset:         8
        .size:           8
        .value_kind:     global_buffer
      - .offset:         16
        .size:           8
        .value_kind:     by_value
      - .offset:         24
        .size:           8
        .value_kind:     by_value
      - .offset:         32
        .size:           8
        .value_kind:     by_value
      - .actual_access:  read_only
        .address_space:  global
        .offset:         40
        .size:           8
        .value_kind:     global_buffer
      - .offset:         48
        .size:           8
        .value_kind:     by_value
      - .offset:         56
        .size:           8
        .value_kind:     by_value
      - .offset:         64
        .size:           8
        .value_kind:     by_value
      - .offset:         72
        .size:           4
        .value_kind:     by_value
      - .actual_access:  write_only
        .address_space:  global
        .offset:         80
        .size:           8
        .value_kind:     global_buffer
    .group_segment_fixed_size: 0
    .kernarg_segment_align: 8
    .kernarg_segment_size: 88
    .language:       OpenCL C
    .language_version:
      - 2
      - 0
    .max_flat_workgroup_size: 256
    .name:           _ZL28rocblas_dot_batched_4_kernelIlLi64ELi4ELb1EDF16_fPKPKDF16_EviT5_lT_lS4_lS5_liPT4_
    .private_segment_fixed_size: 0
    .sgpr_count:     24
    .sgpr_spill_count: 0
    .symbol:         _ZL28rocblas_dot_batched_4_kernelIlLi64ELi4ELb1EDF16_fPKPKDF16_EviT5_lT_lS4_lS5_liPT4_.kd
    .uniform_work_group_size: 1
    .uses_dynamic_stack: false
    .vgpr_count:     20
    .vgpr_spill_count: 0
    .wavefront_size: 64
  - .agpr_count:     0
    .args:
      - .offset:         0
        .size:           4
        .value_kind:     by_value
      - .actual_access:  read_only
        .address_space:  global
        .offset:         8
        .size:           8
        .value_kind:     global_buffer
      - .offset:         16
        .size:           8
        .value_kind:     by_value
      - .offset:         24
        .size:           8
        .value_kind:     by_value
      - .actual_access:  read_only
        .address_space:  global
        .offset:         32
        .size:           8
        .value_kind:     global_buffer
      - .offset:         40
        .size:           8
        .value_kind:     by_value
      - .offset:         48
        .size:           8
        .value_kind:     by_value
      - .offset:         56
        .size:           4
        .value_kind:     by_value
      - .actual_access:  read_only
        .address_space:  global
        .offset:         64
        .size:           8
        .value_kind:     global_buffer
      - .actual_access:  write_only
        .address_space:  global
        .offset:         72
        .size:           8
        .value_kind:     global_buffer
    .group_segment_fixed_size: 128
    .kernarg_segment_align: 8
    .kernarg_segment_size: 80
    .language:       OpenCL C
    .language_version:
      - 2
      - 0
    .max_flat_workgroup_size: 1024
    .name:           _ZL26rocblas_dot_kernel_inc1by2ILb1ELi1024ELi32ELb1EfPKPKDF16_DF16_EviT4_llS4_lliPT5_PT3_
    .private_segment_fixed_size: 0
    .sgpr_count:     28
    .sgpr_spill_count: 0
    .symbol:         _ZL26rocblas_dot_kernel_inc1by2ILb1ELi1024ELi32ELb1EfPKPKDF16_DF16_EviT4_llS4_lliPT5_PT3_.kd
    .uniform_work_group_size: 1
    .uses_dynamic_stack: false
    .vgpr_count:     11
    .vgpr_spill_count: 0
    .wavefront_size: 64
  - .agpr_count:     0
    .args:
      - .offset:         0
        .size:           4
        .value_kind:     by_value
      - .actual_access:  read_only
        .address_space:  global
        .offset:         8
        .size:           8
        .value_kind:     global_buffer
      - .offset:         16
        .size:           8
        .value_kind:     by_value
      - .offset:         24
        .size:           8
        .value_kind:     by_value
      - .offset:         32
        .size:           8
        .value_kind:     by_value
      - .actual_access:  read_only
        .address_space:  global
        .offset:         40
        .size:           8
        .value_kind:     global_buffer
      - .offset:         48
        .size:           8
        .value_kind:     by_value
      - .offset:         56
        .size:           8
        .value_kind:     by_value
      - .offset:         64
        .size:           8
        .value_kind:     by_value
      - .offset:         72
        .size:           4
        .value_kind:     by_value
      - .actual_access:  read_only
        .address_space:  global
        .offset:         80
        .size:           8
        .value_kind:     global_buffer
      - .actual_access:  write_only
        .address_space:  global
        .offset:         88
        .size:           8
        .value_kind:     global_buffer
      - .offset:         96
        .size:           4
        .value_kind:     hidden_block_count_x
      - .offset:         100
        .size:           4
        .value_kind:     hidden_block_count_y
      - .offset:         104
        .size:           4
        .value_kind:     hidden_block_count_z
      - .offset:         108
        .size:           2
        .value_kind:     hidden_group_size_x
      - .offset:         110
        .size:           2
        .value_kind:     hidden_group_size_y
      - .offset:         112
        .size:           2
        .value_kind:     hidden_group_size_z
      - .offset:         114
        .size:           2
        .value_kind:     hidden_remainder_x
      - .offset:         116
        .size:           2
        .value_kind:     hidden_remainder_y
      - .offset:         118
        .size:           2
        .value_kind:     hidden_remainder_z
      - .offset:         136
        .size:           8
        .value_kind:     hidden_global_offset_x
      - .offset:         144
        .size:           8
        .value_kind:     hidden_global_offset_y
      - .offset:         152
        .size:           8
        .value_kind:     hidden_global_offset_z
      - .offset:         160
        .size:           2
        .value_kind:     hidden_grid_dims
    .group_segment_fixed_size: 128
    .kernarg_segment_align: 8
    .kernarg_segment_size: 352
    .language:       OpenCL C
    .language_version:
      - 2
      - 0
    .max_flat_workgroup_size: 1024
    .name:           _ZL18rocblas_dot_kernelIlLb1ELi1024ELi32ELb1EfPKPKDF16_DF16_EviT5_lT_lS4_lS5_liPT6_PT4_
    .private_segment_fixed_size: 0
    .sgpr_count:     30
    .sgpr_spill_count: 0
    .symbol:         _ZL18rocblas_dot_kernelIlLb1ELi1024ELi32ELb1EfPKPKDF16_DF16_EviT5_lT_lS4_lS5_liPT6_PT4_.kd
    .uniform_work_group_size: 1
    .uses_dynamic_stack: false
    .vgpr_count:     11
    .vgpr_spill_count: 0
    .wavefront_size: 64
  - .agpr_count:     0
    .args:
      - .offset:         0
        .size:           4
        .value_kind:     by_value
      - .actual_access:  read_only
        .address_space:  global
        .offset:         8
        .size:           8
        .value_kind:     global_buffer
      - .offset:         16
        .size:           8
        .value_kind:     by_value
      - .offset:         24
        .size:           8
        .value_kind:     by_value
      - .offset:         32
        .size:           8
        .value_kind:     by_value
      - .offset:         40
        .size:           4
        .value_kind:     by_value
      - .actual_access:  read_only
        .address_space:  global
        .offset:         48
        .size:           8
        .value_kind:     global_buffer
      - .actual_access:  write_only
        .address_space:  global
        .offset:         56
        .size:           8
        .value_kind:     global_buffer
      - .offset:         64
        .size:           4
        .value_kind:     hidden_block_count_x
      - .offset:         68
        .size:           4
        .value_kind:     hidden_block_count_y
      - .offset:         72
        .size:           4
        .value_kind:     hidden_block_count_z
      - .offset:         76
        .size:           2
        .value_kind:     hidden_group_size_x
      - .offset:         78
        .size:           2
        .value_kind:     hidden_group_size_y
      - .offset:         80
        .size:           2
        .value_kind:     hidden_group_size_z
      - .offset:         82
        .size:           2
        .value_kind:     hidden_remainder_x
      - .offset:         84
        .size:           2
        .value_kind:     hidden_remainder_y
      - .offset:         86
        .size:           2
        .value_kind:     hidden_remainder_z
      - .offset:         104
        .size:           8
        .value_kind:     hidden_global_offset_x
      - .offset:         112
        .size:           8
        .value_kind:     hidden_global_offset_y
      - .offset:         120
        .size:           8
        .value_kind:     hidden_global_offset_z
      - .offset:         128
        .size:           2
        .value_kind:     hidden_grid_dims
    .group_segment_fixed_size: 128
    .kernarg_segment_align: 8
    .kernarg_segment_size: 320
    .language:       OpenCL C
    .language_version:
      - 2
      - 0
    .max_flat_workgroup_size: 1024
    .name:           _ZL24rocblas_dot_kernel_magsqIlLb1ELi1024ELi32ELb1EfPKPKDF16_DF16_EviT5_lT_liPT6_PT4_
    .private_segment_fixed_size: 0
    .sgpr_count:     24
    .sgpr_spill_count: 0
    .symbol:         _ZL24rocblas_dot_kernel_magsqIlLb1ELi1024ELi32ELb1EfPKPKDF16_DF16_EviT5_lT_liPT6_PT4_.kd
    .uniform_work_group_size: 1
    .uses_dynamic_stack: false
    .vgpr_count:     10
    .vgpr_spill_count: 0
    .wavefront_size: 64
  - .agpr_count:     0
    .args:
      - .offset:         0
        .size:           4
        .value_kind:     by_value
      - .actual_access:  read_only
        .address_space:  global
        .offset:         8
        .size:           8
        .value_kind:     global_buffer
      - .offset:         16
        .size:           8
        .value_kind:     by_value
      - .offset:         24
        .size:           8
        .value_kind:     by_value
      - .offset:         32
        .size:           8
        .value_kind:     by_value
      - .actual_access:  read_only
        .address_space:  global
        .offset:         40
        .size:           8
        .value_kind:     global_buffer
      - .offset:         48
        .size:           8
        .value_kind:     by_value
      - .offset:         56
        .size:           8
        .value_kind:     by_value
      - .offset:         64
        .size:           8
        .value_kind:     by_value
      - .actual_access:  read_only
        .address_space:  global
        .offset:         72
        .size:           8
        .value_kind:     global_buffer
      - .actual_access:  read_only
        .address_space:  global
        .offset:         80
        .size:           8
        .value_kind:     global_buffer
    .group_segment_fixed_size: 0
    .kernarg_segment_align: 8
    .kernarg_segment_size: 88
    .language:       OpenCL C
    .language_version:
      - 2
      - 0
    .max_flat_workgroup_size: 1024
    .name:           _ZL38rocblas_dot_kernel_gfx942_float_doubleIlLi1024EfPKPKDF16_DF16_EviT2_lT_lS4_lS5_lPT3_PT1_
    .private_segment_fixed_size: 0
    .sgpr_count:     4
    .sgpr_spill_count: 0
    .symbol:         _ZL38rocblas_dot_kernel_gfx942_float_doubleIlLi1024EfPKPKDF16_DF16_EviT2_lT_lS4_lS5_lPT3_PT1_.kd
    .uniform_work_group_size: 1
    .uses_dynamic_stack: false
    .vgpr_count:     0
    .vgpr_spill_count: 0
    .wavefront_size: 64
  - .agpr_count:     0
    .args:
      - .offset:         0
        .size:           4
        .value_kind:     by_value
      - .actual_access:  read_only
        .address_space:  global
        .offset:         8
        .size:           8
        .value_kind:     global_buffer
      - .offset:         16
        .size:           8
        .value_kind:     by_value
      - .offset:         24
        .size:           8
        .value_kind:     by_value
      - .actual_access:  read_only
        .address_space:  global
        .offset:         32
        .size:           8
        .value_kind:     global_buffer
      - .offset:         40
        .size:           8
        .value_kind:     by_value
      - .offset:         48
        .size:           8
        .value_kind:     by_value
      - .offset:         56
        .size:           4
        .value_kind:     by_value
      - .actual_access:  write_only
        .address_space:  global
        .offset:         64
        .size:           8
        .value_kind:     global_buffer
      - .actual_access:  write_only
        .address_space:  global
        .offset:         72
        .size:           8
        .value_kind:     global_buffer
      - .offset:         80
        .size:           4
        .value_kind:     hidden_block_count_x
      - .offset:         84
        .size:           4
        .value_kind:     hidden_block_count_y
      - .offset:         88
        .size:           4
        .value_kind:     hidden_block_count_z
      - .offset:         92
        .size:           2
        .value_kind:     hidden_group_size_x
      - .offset:         94
        .size:           2
        .value_kind:     hidden_group_size_y
      - .offset:         96
        .size:           2
        .value_kind:     hidden_group_size_z
      - .offset:         98
        .size:           2
        .value_kind:     hidden_remainder_x
      - .offset:         100
        .size:           2
        .value_kind:     hidden_remainder_y
      - .offset:         102
        .size:           2
        .value_kind:     hidden_remainder_z
      - .offset:         120
        .size:           8
        .value_kind:     hidden_global_offset_x
      - .offset:         128
        .size:           8
        .value_kind:     hidden_global_offset_y
      - .offset:         136
        .size:           8
        .value_kind:     hidden_global_offset_z
      - .offset:         144
        .size:           2
        .value_kind:     hidden_grid_dims
    .group_segment_fixed_size: 128
    .kernarg_segment_align: 8
    .kernarg_segment_size: 336
    .language:       OpenCL C
    .language_version:
      - 2
      - 0
    .max_flat_workgroup_size: 512
    .name:           _ZL23rocblas_dot_kernel_inc1ILb0ELi512ELi4ELb1EfPKPKDF16_DF16_EviT4_llS4_lliPT5_PT3_
    .private_segment_fixed_size: 0
    .sgpr_count:     32
    .sgpr_spill_count: 0
    .symbol:         _ZL23rocblas_dot_kernel_inc1ILb0ELi512ELi4ELb1EfPKPKDF16_DF16_EviT4_llS4_lliPT5_PT3_.kd
    .uniform_work_group_size: 1
    .uses_dynamic_stack: false
    .vgpr_count:     14
    .vgpr_spill_count: 0
    .wavefront_size: 64
  - .agpr_count:     0
    .args:
      - .offset:         0
        .size:           4
        .value_kind:     by_value
      - .actual_access:  read_only
        .address_space:  global
        .offset:         8
        .size:           8
        .value_kind:     global_buffer
      - .offset:         16
        .size:           8
        .value_kind:     by_value
      - .offset:         24
        .size:           8
        .value_kind:     by_value
      - .offset:         32
        .size:           8
        .value_kind:     by_value
      - .actual_access:  read_only
        .address_space:  global
        .offset:         40
        .size:           8
        .value_kind:     global_buffer
      - .offset:         48
        .size:           8
        .value_kind:     by_value
      - .offset:         56
        .size:           8
        .value_kind:     by_value
      - .offset:         64
        .size:           8
        .value_kind:     by_value
      - .offset:         72
        .size:           4
        .value_kind:     by_value
      - .actual_access:  write_only
        .address_space:  global
        .offset:         80
        .size:           8
        .value_kind:     global_buffer
      - .actual_access:  write_only
        .address_space:  global
        .offset:         88
        .size:           8
        .value_kind:     global_buffer
      - .offset:         96
        .size:           4
        .value_kind:     hidden_block_count_x
      - .offset:         100
        .size:           4
        .value_kind:     hidden_block_count_y
      - .offset:         104
        .size:           4
        .value_kind:     hidden_block_count_z
      - .offset:         108
        .size:           2
        .value_kind:     hidden_group_size_x
      - .offset:         110
        .size:           2
        .value_kind:     hidden_group_size_y
      - .offset:         112
        .size:           2
        .value_kind:     hidden_group_size_z
      - .offset:         114
        .size:           2
        .value_kind:     hidden_remainder_x
      - .offset:         116
        .size:           2
        .value_kind:     hidden_remainder_y
      - .offset:         118
        .size:           2
        .value_kind:     hidden_remainder_z
      - .offset:         136
        .size:           8
        .value_kind:     hidden_global_offset_x
      - .offset:         144
        .size:           8
        .value_kind:     hidden_global_offset_y
      - .offset:         152
        .size:           8
        .value_kind:     hidden_global_offset_z
      - .offset:         160
        .size:           2
        .value_kind:     hidden_grid_dims
    .group_segment_fixed_size: 128
    .kernarg_segment_align: 8
    .kernarg_segment_size: 352
    .language:       OpenCL C
    .language_version:
      - 2
      - 0
    .max_flat_workgroup_size: 512
    .name:           _ZL18rocblas_dot_kernelIlLb0ELi512ELi4ELb1EfPKPKDF16_DF16_EviT5_lT_lS4_lS5_liPT6_PT4_
    .private_segment_fixed_size: 0
    .sgpr_count:     30
    .sgpr_spill_count: 0
    .symbol:         _ZL18rocblas_dot_kernelIlLb0ELi512ELi4ELb1EfPKPKDF16_DF16_EviT5_lT_lS4_lS5_liPT6_PT4_.kd
    .uniform_work_group_size: 1
    .uses_dynamic_stack: false
    .vgpr_count:     11
    .vgpr_spill_count: 0
    .wavefront_size: 64
  - .agpr_count:     0
    .args:
      - .offset:         0
        .size:           4
        .value_kind:     by_value
      - .actual_access:  read_only
        .address_space:  global
        .offset:         8
        .size:           8
        .value_kind:     global_buffer
      - .offset:         16
        .size:           8
        .value_kind:     by_value
      - .offset:         24
        .size:           8
        .value_kind:     by_value
      - .offset:         32
        .size:           8
        .value_kind:     by_value
      - .offset:         40
        .size:           4
        .value_kind:     by_value
      - .actual_access:  write_only
        .address_space:  global
        .offset:         48
        .size:           8
        .value_kind:     global_buffer
      - .actual_access:  write_only
        .address_space:  global
        .offset:         56
        .size:           8
        .value_kind:     global_buffer
      - .offset:         64
        .size:           4
        .value_kind:     hidden_block_count_x
      - .offset:         68
        .size:           4
        .value_kind:     hidden_block_count_y
      - .offset:         72
        .size:           4
        .value_kind:     hidden_block_count_z
      - .offset:         76
        .size:           2
        .value_kind:     hidden_group_size_x
      - .offset:         78
        .size:           2
        .value_kind:     hidden_group_size_y
      - .offset:         80
        .size:           2
        .value_kind:     hidden_group_size_z
      - .offset:         82
        .size:           2
        .value_kind:     hidden_remainder_x
      - .offset:         84
        .size:           2
        .value_kind:     hidden_remainder_y
      - .offset:         86
        .size:           2
        .value_kind:     hidden_remainder_z
      - .offset:         104
        .size:           8
        .value_kind:     hidden_global_offset_x
      - .offset:         112
        .size:           8
        .value_kind:     hidden_global_offset_y
      - .offset:         120
        .size:           8
        .value_kind:     hidden_global_offset_z
      - .offset:         128
        .size:           2
        .value_kind:     hidden_grid_dims
    .group_segment_fixed_size: 128
    .kernarg_segment_align: 8
    .kernarg_segment_size: 320
    .language:       OpenCL C
    .language_version:
      - 2
      - 0
    .max_flat_workgroup_size: 512
    .name:           _ZL24rocblas_dot_kernel_magsqIlLb0ELi512ELi4ELb1EfPKPKDF16_DF16_EviT5_lT_liPT6_PT4_
    .private_segment_fixed_size: 0
    .sgpr_count:     28
    .sgpr_spill_count: 0
    .symbol:         _ZL24rocblas_dot_kernel_magsqIlLb0ELi512ELi4ELb1EfPKPKDF16_DF16_EviT5_lT_liPT6_PT4_.kd
    .uniform_work_group_size: 1
    .uses_dynamic_stack: false
    .vgpr_count:     10
    .vgpr_spill_count: 0
    .wavefront_size: 64
  - .agpr_count:     0
    .args:
      - .offset:         0
        .size:           4
        .value_kind:     by_value
      - .actual_access:  read_only
        .address_space:  global
        .offset:         8
        .size:           8
        .value_kind:     global_buffer
      - .offset:         16
        .size:           8
        .value_kind:     by_value
      - .offset:         24
        .size:           8
        .value_kind:     by_value
      - .offset:         32
        .size:           8
        .value_kind:     by_value
      - .actual_access:  read_only
        .address_space:  global
        .offset:         40
        .size:           8
        .value_kind:     global_buffer
      - .offset:         48
        .size:           8
        .value_kind:     by_value
      - .offset:         56
        .size:           8
        .value_kind:     by_value
      - .offset:         64
        .size:           8
        .value_kind:     by_value
      - .offset:         72
        .size:           4
        .value_kind:     by_value
      - .actual_access:  write_only
        .address_space:  global
        .offset:         80
        .size:           8
        .value_kind:     global_buffer
    .group_segment_fixed_size: 0
    .kernarg_segment_align: 8
    .kernarg_segment_size: 88
    .language:       OpenCL C
    .language_version:
      - 2
      - 0
    .max_flat_workgroup_size: 128
    .name:           _ZL28rocblas_dot_batched_4_kernelIlLi32ELi4ELb1EffPK16rocblas_bfloat16EviT5_lT_lS3_lS4_liPT4_
    .private_segment_fixed_size: 0
    .sgpr_count:     28
    .sgpr_spill_count: 0
    .symbol:         _ZL28rocblas_dot_batched_4_kernelIlLi32ELi4ELb1EffPK16rocblas_bfloat16EviT5_lT_lS3_lS4_liPT4_.kd
    .uniform_work_group_size: 1
    .uses_dynamic_stack: false
    .vgpr_count:     13
    .vgpr_spill_count: 0
    .wavefront_size: 64
  - .agpr_count:     0
    .args:
      - .offset:         0
        .size:           4
        .value_kind:     by_value
      - .actual_access:  read_only
        .address_space:  global
        .offset:         8
        .size:           8
        .value_kind:     global_buffer
      - .offset:         16
        .size:           8
        .value_kind:     by_value
      - .offset:         24
        .size:           8
        .value_kind:     by_value
      - .offset:         32
        .size:           8
        .value_kind:     by_value
      - .actual_access:  read_only
        .address_space:  global
        .offset:         40
        .size:           8
        .value_kind:     global_buffer
      - .offset:         48
        .size:           8
        .value_kind:     by_value
      - .offset:         56
        .size:           8
        .value_kind:     by_value
      - .offset:         64
        .size:           8
        .value_kind:     by_value
      - .offset:         72
        .size:           4
        .value_kind:     by_value
      - .actual_access:  write_only
        .address_space:  global
        .offset:         80
        .size:           8
        .value_kind:     global_buffer
    .group_segment_fixed_size: 0
    .kernarg_segment_align: 8
    .kernarg_segment_size: 88
    .language:       OpenCL C
    .language_version:
      - 2
      - 0
    .max_flat_workgroup_size: 256
    .name:           _ZL28rocblas_dot_batched_4_kernelIlLi64ELi4ELb1EffPK16rocblas_bfloat16EviT5_lT_lS3_lS4_liPT4_
    .private_segment_fixed_size: 0
    .sgpr_count:     28
    .sgpr_spill_count: 0
    .symbol:         _ZL28rocblas_dot_batched_4_kernelIlLi64ELi4ELb1EffPK16rocblas_bfloat16EviT5_lT_lS3_lS4_liPT4_.kd
    .uniform_work_group_size: 1
    .uses_dynamic_stack: false
    .vgpr_count:     13
    .vgpr_spill_count: 0
    .wavefront_size: 64
  - .agpr_count:     0
    .args:
      - .offset:         0
        .size:           4
        .value_kind:     by_value
      - .actual_access:  read_only
        .address_space:  global
        .offset:         8
        .size:           8
        .value_kind:     global_buffer
      - .offset:         16
        .size:           8
        .value_kind:     by_value
      - .offset:         24
        .size:           8
        .value_kind:     by_value
      - .actual_access:  read_only
        .address_space:  global
        .offset:         32
        .size:           8
        .value_kind:     global_buffer
      - .offset:         40
        .size:           8
        .value_kind:     by_value
      - .offset:         48
        .size:           8
        .value_kind:     by_value
      - .offset:         56
        .size:           4
        .value_kind:     by_value
      - .actual_access:  read_only
        .address_space:  global
        .offset:         64
        .size:           8
        .value_kind:     global_buffer
      - .actual_access:  write_only
        .address_space:  global
        .offset:         72
        .size:           8
        .value_kind:     global_buffer
    .group_segment_fixed_size: 256
    .kernarg_segment_align: 8
    .kernarg_segment_size: 80
    .language:       OpenCL C
    .language_version:
      - 2
      - 0
    .max_flat_workgroup_size: 1024
    .name:           _ZL26rocblas_dot_kernel_inc1by2ILb1ELi1024ELi32ELb1EfPK16rocblas_bfloat16fEviT4_llS3_lliPT5_PT3_
    .private_segment_fixed_size: 0
    .sgpr_count:     32
    .sgpr_spill_count: 0
    .symbol:         _ZL26rocblas_dot_kernel_inc1by2ILb1ELi1024ELi32ELb1EfPK16rocblas_bfloat16fEviT4_llS3_lliPT5_PT3_.kd
    .uniform_work_group_size: 1
    .uses_dynamic_stack: false
    .vgpr_count:     12
    .vgpr_spill_count: 0
    .wavefront_size: 64
  - .agpr_count:     0
    .args:
      - .offset:         0
        .size:           4
        .value_kind:     by_value
      - .actual_access:  read_only
        .address_space:  global
        .offset:         8
        .size:           8
        .value_kind:     global_buffer
      - .offset:         16
        .size:           8
        .value_kind:     by_value
      - .offset:         24
        .size:           8
        .value_kind:     by_value
      - .offset:         32
        .size:           8
        .value_kind:     by_value
      - .actual_access:  read_only
        .address_space:  global
        .offset:         40
        .size:           8
        .value_kind:     global_buffer
      - .offset:         48
        .size:           8
        .value_kind:     by_value
      - .offset:         56
        .size:           8
        .value_kind:     by_value
      - .offset:         64
        .size:           8
        .value_kind:     by_value
      - .offset:         72
        .size:           4
        .value_kind:     by_value
      - .actual_access:  read_only
        .address_space:  global
        .offset:         80
        .size:           8
        .value_kind:     global_buffer
      - .actual_access:  write_only
        .address_space:  global
        .offset:         88
        .size:           8
        .value_kind:     global_buffer
      - .offset:         96
        .size:           4
        .value_kind:     hidden_block_count_x
      - .offset:         100
        .size:           4
        .value_kind:     hidden_block_count_y
      - .offset:         104
        .size:           4
        .value_kind:     hidden_block_count_z
      - .offset:         108
        .size:           2
        .value_kind:     hidden_group_size_x
      - .offset:         110
        .size:           2
        .value_kind:     hidden_group_size_y
      - .offset:         112
        .size:           2
        .value_kind:     hidden_group_size_z
      - .offset:         114
        .size:           2
        .value_kind:     hidden_remainder_x
      - .offset:         116
        .size:           2
        .value_kind:     hidden_remainder_y
      - .offset:         118
        .size:           2
        .value_kind:     hidden_remainder_z
      - .offset:         136
        .size:           8
        .value_kind:     hidden_global_offset_x
      - .offset:         144
        .size:           8
        .value_kind:     hidden_global_offset_y
      - .offset:         152
        .size:           8
        .value_kind:     hidden_global_offset_z
      - .offset:         160
        .size:           2
        .value_kind:     hidden_grid_dims
    .group_segment_fixed_size: 256
    .kernarg_segment_align: 8
    .kernarg_segment_size: 352
    .language:       OpenCL C
    .language_version:
      - 2
      - 0
    .max_flat_workgroup_size: 1024
    .name:           _ZL18rocblas_dot_kernelIlLb1ELi1024ELi32ELb1EfPK16rocblas_bfloat16fEviT5_lT_lS3_lS4_liPT6_PT4_
    .private_segment_fixed_size: 0
    .sgpr_count:     30
    .sgpr_spill_count: 0
    .symbol:         _ZL18rocblas_dot_kernelIlLb1ELi1024ELi32ELb1EfPK16rocblas_bfloat16fEviT5_lT_lS3_lS4_liPT6_PT4_.kd
    .uniform_work_group_size: 1
    .uses_dynamic_stack: false
    .vgpr_count:     11
    .vgpr_spill_count: 0
    .wavefront_size: 64
  - .agpr_count:     0
    .args:
      - .offset:         0
        .size:           4
        .value_kind:     by_value
      - .actual_access:  read_only
        .address_space:  global
        .offset:         8
        .size:           8
        .value_kind:     global_buffer
      - .offset:         16
        .size:           8
        .value_kind:     by_value
      - .offset:         24
        .size:           8
        .value_kind:     by_value
      - .offset:         32
        .size:           8
        .value_kind:     by_value
      - .offset:         40
        .size:           4
        .value_kind:     by_value
      - .actual_access:  read_only
        .address_space:  global
        .offset:         48
        .size:           8
        .value_kind:     global_buffer
      - .actual_access:  write_only
        .address_space:  global
        .offset:         56
        .size:           8
        .value_kind:     global_buffer
      - .offset:         64
        .size:           4
        .value_kind:     hidden_block_count_x
      - .offset:         68
        .size:           4
        .value_kind:     hidden_block_count_y
      - .offset:         72
        .size:           4
        .value_kind:     hidden_block_count_z
      - .offset:         76
        .size:           2
        .value_kind:     hidden_group_size_x
      - .offset:         78
        .size:           2
        .value_kind:     hidden_group_size_y
      - .offset:         80
        .size:           2
        .value_kind:     hidden_group_size_z
      - .offset:         82
        .size:           2
        .value_kind:     hidden_remainder_x
      - .offset:         84
        .size:           2
        .value_kind:     hidden_remainder_y
      - .offset:         86
        .size:           2
        .value_kind:     hidden_remainder_z
      - .offset:         104
        .size:           8
        .value_kind:     hidden_global_offset_x
      - .offset:         112
        .size:           8
        .value_kind:     hidden_global_offset_y
      - .offset:         120
        .size:           8
        .value_kind:     hidden_global_offset_z
      - .offset:         128
        .size:           2
        .value_kind:     hidden_grid_dims
    .group_segment_fixed_size: 256
    .kernarg_segment_align: 8
    .kernarg_segment_size: 320
    .language:       OpenCL C
    .language_version:
      - 2
      - 0
    .max_flat_workgroup_size: 1024
    .name:           _ZL24rocblas_dot_kernel_magsqIlLb1ELi1024ELi32ELb1EfPK16rocblas_bfloat16fEviT5_lT_liPT6_PT4_
    .private_segment_fixed_size: 0
    .sgpr_count:     24
    .sgpr_spill_count: 0
    .symbol:         _ZL24rocblas_dot_kernel_magsqIlLb1ELi1024ELi32ELb1EfPK16rocblas_bfloat16fEviT5_lT_liPT6_PT4_.kd
    .uniform_work_group_size: 1
    .uses_dynamic_stack: false
    .vgpr_count:     10
    .vgpr_spill_count: 0
    .wavefront_size: 64
  - .agpr_count:     0
    .args:
      - .offset:         0
        .size:           4
        .value_kind:     by_value
      - .actual_access:  read_only
        .address_space:  global
        .offset:         8
        .size:           8
        .value_kind:     global_buffer
      - .offset:         16
        .size:           8
        .value_kind:     by_value
      - .offset:         24
        .size:           8
        .value_kind:     by_value
      - .offset:         32
        .size:           8
        .value_kind:     by_value
      - .actual_access:  read_only
        .address_space:  global
        .offset:         40
        .size:           8
        .value_kind:     global_buffer
      - .offset:         48
        .size:           8
        .value_kind:     by_value
      - .offset:         56
        .size:           8
        .value_kind:     by_value
      - .offset:         64
        .size:           8
        .value_kind:     by_value
      - .actual_access:  read_only
        .address_space:  global
        .offset:         72
        .size:           8
        .value_kind:     global_buffer
      - .actual_access:  read_only
        .address_space:  global
        .offset:         80
        .size:           8
        .value_kind:     global_buffer
    .group_segment_fixed_size: 0
    .kernarg_segment_align: 8
    .kernarg_segment_size: 88
    .language:       OpenCL C
    .language_version:
      - 2
      - 0
    .max_flat_workgroup_size: 1024
    .name:           _ZL38rocblas_dot_kernel_gfx942_float_doubleIlLi1024EfPK16rocblas_bfloat16fEviT2_lT_lS3_lS4_lPT3_PT1_
    .private_segment_fixed_size: 0
    .sgpr_count:     4
    .sgpr_spill_count: 0
    .symbol:         _ZL38rocblas_dot_kernel_gfx942_float_doubleIlLi1024EfPK16rocblas_bfloat16fEviT2_lT_lS3_lS4_lPT3_PT1_.kd
    .uniform_work_group_size: 1
    .uses_dynamic_stack: false
    .vgpr_count:     0
    .vgpr_spill_count: 0
    .wavefront_size: 64
  - .agpr_count:     0
    .args:
      - .offset:         0
        .size:           4
        .value_kind:     by_value
      - .actual_access:  read_only
        .address_space:  global
        .offset:         8
        .size:           8
        .value_kind:     global_buffer
      - .offset:         16
        .size:           8
        .value_kind:     by_value
      - .offset:         24
        .size:           8
        .value_kind:     by_value
      - .actual_access:  read_only
        .address_space:  global
        .offset:         32
        .size:           8
        .value_kind:     global_buffer
      - .offset:         40
        .size:           8
        .value_kind:     by_value
      - .offset:         48
        .size:           8
        .value_kind:     by_value
      - .offset:         56
        .size:           4
        .value_kind:     by_value
      - .actual_access:  write_only
        .address_space:  global
        .offset:         64
        .size:           8
        .value_kind:     global_buffer
      - .actual_access:  write_only
        .address_space:  global
        .offset:         72
        .size:           8
        .value_kind:     global_buffer
      - .offset:         80
        .size:           4
        .value_kind:     hidden_block_count_x
      - .offset:         84
        .size:           4
        .value_kind:     hidden_block_count_y
      - .offset:         88
        .size:           4
        .value_kind:     hidden_block_count_z
      - .offset:         92
        .size:           2
        .value_kind:     hidden_group_size_x
      - .offset:         94
        .size:           2
        .value_kind:     hidden_group_size_y
      - .offset:         96
        .size:           2
        .value_kind:     hidden_group_size_z
      - .offset:         98
        .size:           2
        .value_kind:     hidden_remainder_x
      - .offset:         100
        .size:           2
        .value_kind:     hidden_remainder_y
      - .offset:         102
        .size:           2
        .value_kind:     hidden_remainder_z
      - .offset:         120
        .size:           8
        .value_kind:     hidden_global_offset_x
      - .offset:         128
        .size:           8
        .value_kind:     hidden_global_offset_y
      - .offset:         136
        .size:           8
        .value_kind:     hidden_global_offset_z
      - .offset:         144
        .size:           2
        .value_kind:     hidden_grid_dims
    .group_segment_fixed_size: 256
    .kernarg_segment_align: 8
    .kernarg_segment_size: 336
    .language:       OpenCL C
    .language_version:
      - 2
      - 0
    .max_flat_workgroup_size: 512
    .name:           _ZL23rocblas_dot_kernel_inc1ILb0ELi512ELi4ELb1EfPK16rocblas_bfloat16fEviT4_llS3_lliPT5_PT3_
    .private_segment_fixed_size: 0
    .sgpr_count:     32
    .sgpr_spill_count: 0
    .symbol:         _ZL23rocblas_dot_kernel_inc1ILb0ELi512ELi4ELb1EfPK16rocblas_bfloat16fEviT4_llS3_lliPT5_PT3_.kd
    .uniform_work_group_size: 1
    .uses_dynamic_stack: false
    .vgpr_count:     14
    .vgpr_spill_count: 0
    .wavefront_size: 64
  - .agpr_count:     0
    .args:
      - .offset:         0
        .size:           4
        .value_kind:     by_value
      - .actual_access:  read_only
        .address_space:  global
        .offset:         8
        .size:           8
        .value_kind:     global_buffer
      - .offset:         16
        .size:           8
        .value_kind:     by_value
      - .offset:         24
        .size:           8
        .value_kind:     by_value
      - .offset:         32
        .size:           8
        .value_kind:     by_value
      - .actual_access:  read_only
        .address_space:  global
        .offset:         40
        .size:           8
        .value_kind:     global_buffer
      - .offset:         48
        .size:           8
        .value_kind:     by_value
      - .offset:         56
        .size:           8
        .value_kind:     by_value
      - .offset:         64
        .size:           8
        .value_kind:     by_value
      - .offset:         72
        .size:           4
        .value_kind:     by_value
      - .actual_access:  write_only
        .address_space:  global
        .offset:         80
        .size:           8
        .value_kind:     global_buffer
      - .actual_access:  write_only
        .address_space:  global
        .offset:         88
        .size:           8
        .value_kind:     global_buffer
      - .offset:         96
        .size:           4
        .value_kind:     hidden_block_count_x
      - .offset:         100
        .size:           4
        .value_kind:     hidden_block_count_y
      - .offset:         104
        .size:           4
        .value_kind:     hidden_block_count_z
      - .offset:         108
        .size:           2
        .value_kind:     hidden_group_size_x
      - .offset:         110
        .size:           2
        .value_kind:     hidden_group_size_y
      - .offset:         112
        .size:           2
        .value_kind:     hidden_group_size_z
      - .offset:         114
        .size:           2
        .value_kind:     hidden_remainder_x
      - .offset:         116
        .size:           2
        .value_kind:     hidden_remainder_y
      - .offset:         118
        .size:           2
        .value_kind:     hidden_remainder_z
      - .offset:         136
        .size:           8
        .value_kind:     hidden_global_offset_x
      - .offset:         144
        .size:           8
        .value_kind:     hidden_global_offset_y
      - .offset:         152
        .size:           8
        .value_kind:     hidden_global_offset_z
      - .offset:         160
        .size:           2
        .value_kind:     hidden_grid_dims
    .group_segment_fixed_size: 256
    .kernarg_segment_align: 8
    .kernarg_segment_size: 352
    .language:       OpenCL C
    .language_version:
      - 2
      - 0
    .max_flat_workgroup_size: 512
    .name:           _ZL18rocblas_dot_kernelIlLb0ELi512ELi4ELb1EfPK16rocblas_bfloat16fEviT5_lT_lS3_lS4_liPT6_PT4_
    .private_segment_fixed_size: 0
    .sgpr_count:     34
    .sgpr_spill_count: 0
    .symbol:         _ZL18rocblas_dot_kernelIlLb0ELi512ELi4ELb1EfPK16rocblas_bfloat16fEviT5_lT_lS3_lS4_liPT6_PT4_.kd
    .uniform_work_group_size: 1
    .uses_dynamic_stack: false
    .vgpr_count:     11
    .vgpr_spill_count: 0
    .wavefront_size: 64
  - .agpr_count:     0
    .args:
      - .offset:         0
        .size:           4
        .value_kind:     by_value
      - .actual_access:  read_only
        .address_space:  global
        .offset:         8
        .size:           8
        .value_kind:     global_buffer
      - .offset:         16
        .size:           8
        .value_kind:     by_value
      - .offset:         24
        .size:           8
        .value_kind:     by_value
      - .offset:         32
        .size:           8
        .value_kind:     by_value
      - .offset:         40
        .size:           4
        .value_kind:     by_value
      - .actual_access:  write_only
        .address_space:  global
        .offset:         48
        .size:           8
        .value_kind:     global_buffer
      - .actual_access:  write_only
        .address_space:  global
        .offset:         56
        .size:           8
        .value_kind:     global_buffer
      - .offset:         64
        .size:           4
        .value_kind:     hidden_block_count_x
      - .offset:         68
        .size:           4
        .value_kind:     hidden_block_count_y
      - .offset:         72
        .size:           4
        .value_kind:     hidden_block_count_z
      - .offset:         76
        .size:           2
        .value_kind:     hidden_group_size_x
      - .offset:         78
        .size:           2
        .value_kind:     hidden_group_size_y
      - .offset:         80
        .size:           2
        .value_kind:     hidden_group_size_z
      - .offset:         82
        .size:           2
        .value_kind:     hidden_remainder_x
      - .offset:         84
        .size:           2
        .value_kind:     hidden_remainder_y
      - .offset:         86
        .size:           2
        .value_kind:     hidden_remainder_z
      - .offset:         104
        .size:           8
        .value_kind:     hidden_global_offset_x
      - .offset:         112
        .size:           8
        .value_kind:     hidden_global_offset_y
      - .offset:         120
        .size:           8
        .value_kind:     hidden_global_offset_z
      - .offset:         128
        .size:           2
        .value_kind:     hidden_grid_dims
    .group_segment_fixed_size: 256
    .kernarg_segment_align: 8
    .kernarg_segment_size: 320
    .language:       OpenCL C
    .language_version:
      - 2
      - 0
    .max_flat_workgroup_size: 512
    .name:           _ZL24rocblas_dot_kernel_magsqIlLb0ELi512ELi4ELb1EfPK16rocblas_bfloat16fEviT5_lT_liPT6_PT4_
    .private_segment_fixed_size: 0
    .sgpr_count:     28
    .sgpr_spill_count: 0
    .symbol:         _ZL24rocblas_dot_kernel_magsqIlLb0ELi512ELi4ELb1EfPK16rocblas_bfloat16fEviT5_lT_liPT6_PT4_.kd
    .uniform_work_group_size: 1
    .uses_dynamic_stack: false
    .vgpr_count:     9
    .vgpr_spill_count: 0
    .wavefront_size: 64
  - .agpr_count:     0
    .args:
      - .offset:         0
        .size:           4
        .value_kind:     by_value
      - .actual_access:  read_only
        .address_space:  global
        .offset:         8
        .size:           8
        .value_kind:     global_buffer
      - .offset:         16
        .size:           8
        .value_kind:     by_value
      - .offset:         24
        .size:           8
        .value_kind:     by_value
      - .offset:         32
        .size:           8
        .value_kind:     by_value
      - .actual_access:  read_only
        .address_space:  global
        .offset:         40
        .size:           8
        .value_kind:     global_buffer
      - .offset:         48
        .size:           8
        .value_kind:     by_value
      - .offset:         56
        .size:           8
        .value_kind:     by_value
      - .offset:         64
        .size:           8
        .value_kind:     by_value
      - .offset:         72
        .size:           4
        .value_kind:     by_value
      - .actual_access:  write_only
        .address_space:  global
        .offset:         80
        .size:           8
        .value_kind:     global_buffer
    .group_segment_fixed_size: 0
    .kernarg_segment_align: 8
    .kernarg_segment_size: 88
    .language:       OpenCL C
    .language_version:
      - 2
      - 0
    .max_flat_workgroup_size: 128
    .name:           _ZL28rocblas_dot_batched_4_kernelIlLi32ELi4ELb1EffPKPK16rocblas_bfloat16EviT5_lT_lS5_lS6_liPT4_
    .private_segment_fixed_size: 0
    .sgpr_count:     24
    .sgpr_spill_count: 0
    .symbol:         _ZL28rocblas_dot_batched_4_kernelIlLi32ELi4ELb1EffPKPK16rocblas_bfloat16EviT5_lT_lS5_lS6_liPT4_.kd
    .uniform_work_group_size: 1
    .uses_dynamic_stack: false
    .vgpr_count:     20
    .vgpr_spill_count: 0
    .wavefront_size: 64
  - .agpr_count:     0
    .args:
      - .offset:         0
        .size:           4
        .value_kind:     by_value
      - .actual_access:  read_only
        .address_space:  global
        .offset:         8
        .size:           8
        .value_kind:     global_buffer
      - .offset:         16
        .size:           8
        .value_kind:     by_value
      - .offset:         24
        .size:           8
        .value_kind:     by_value
      - .offset:         32
        .size:           8
        .value_kind:     by_value
      - .actual_access:  read_only
        .address_space:  global
        .offset:         40
        .size:           8
        .value_kind:     global_buffer
      - .offset:         48
        .size:           8
        .value_kind:     by_value
      - .offset:         56
        .size:           8
        .value_kind:     by_value
      - .offset:         64
        .size:           8
        .value_kind:     by_value
      - .offset:         72
        .size:           4
        .value_kind:     by_value
      - .actual_access:  write_only
        .address_space:  global
        .offset:         80
        .size:           8
        .value_kind:     global_buffer
    .group_segment_fixed_size: 0
    .kernarg_segment_align: 8
    .kernarg_segment_size: 88
    .language:       OpenCL C
    .language_version:
      - 2
      - 0
    .max_flat_workgroup_size: 256
    .name:           _ZL28rocblas_dot_batched_4_kernelIlLi64ELi4ELb1EffPKPK16rocblas_bfloat16EviT5_lT_lS5_lS6_liPT4_
    .private_segment_fixed_size: 0
    .sgpr_count:     24
    .sgpr_spill_count: 0
    .symbol:         _ZL28rocblas_dot_batched_4_kernelIlLi64ELi4ELb1EffPKPK16rocblas_bfloat16EviT5_lT_lS5_lS6_liPT4_.kd
    .uniform_work_group_size: 1
    .uses_dynamic_stack: false
    .vgpr_count:     20
    .vgpr_spill_count: 0
    .wavefront_size: 64
  - .agpr_count:     0
    .args:
      - .offset:         0
        .size:           4
        .value_kind:     by_value
      - .actual_access:  read_only
        .address_space:  global
        .offset:         8
        .size:           8
        .value_kind:     global_buffer
      - .offset:         16
        .size:           8
        .value_kind:     by_value
      - .offset:         24
        .size:           8
        .value_kind:     by_value
      - .actual_access:  read_only
        .address_space:  global
        .offset:         32
        .size:           8
        .value_kind:     global_buffer
      - .offset:         40
        .size:           8
        .value_kind:     by_value
      - .offset:         48
        .size:           8
        .value_kind:     by_value
      - .offset:         56
        .size:           4
        .value_kind:     by_value
      - .actual_access:  read_only
        .address_space:  global
        .offset:         64
        .size:           8
        .value_kind:     global_buffer
      - .actual_access:  write_only
        .address_space:  global
        .offset:         72
        .size:           8
        .value_kind:     global_buffer
    .group_segment_fixed_size: 256
    .kernarg_segment_align: 8
    .kernarg_segment_size: 80
    .language:       OpenCL C
    .language_version:
      - 2
      - 0
    .max_flat_workgroup_size: 1024
    .name:           _ZL26rocblas_dot_kernel_inc1by2ILb1ELi1024ELi32ELb1EfPKPK16rocblas_bfloat16fEviT4_llS5_lliPT5_PT3_
    .private_segment_fixed_size: 0
    .sgpr_count:     28
    .sgpr_spill_count: 0
    .symbol:         _ZL26rocblas_dot_kernel_inc1by2ILb1ELi1024ELi32ELb1EfPKPK16rocblas_bfloat16fEviT4_llS5_lliPT5_PT3_.kd
    .uniform_work_group_size: 1
    .uses_dynamic_stack: false
    .vgpr_count:     12
    .vgpr_spill_count: 0
    .wavefront_size: 64
  - .agpr_count:     0
    .args:
      - .offset:         0
        .size:           4
        .value_kind:     by_value
      - .actual_access:  read_only
        .address_space:  global
        .offset:         8
        .size:           8
        .value_kind:     global_buffer
      - .offset:         16
        .size:           8
        .value_kind:     by_value
      - .offset:         24
        .size:           8
        .value_kind:     by_value
      - .offset:         32
        .size:           8
        .value_kind:     by_value
      - .actual_access:  read_only
        .address_space:  global
        .offset:         40
        .size:           8
        .value_kind:     global_buffer
      - .offset:         48
        .size:           8
        .value_kind:     by_value
      - .offset:         56
        .size:           8
        .value_kind:     by_value
      - .offset:         64
        .size:           8
        .value_kind:     by_value
      - .offset:         72
        .size:           4
        .value_kind:     by_value
      - .actual_access:  read_only
        .address_space:  global
        .offset:         80
        .size:           8
        .value_kind:     global_buffer
      - .actual_access:  write_only
        .address_space:  global
        .offset:         88
        .size:           8
        .value_kind:     global_buffer
      - .offset:         96
        .size:           4
        .value_kind:     hidden_block_count_x
      - .offset:         100
        .size:           4
        .value_kind:     hidden_block_count_y
      - .offset:         104
        .size:           4
        .value_kind:     hidden_block_count_z
      - .offset:         108
        .size:           2
        .value_kind:     hidden_group_size_x
      - .offset:         110
        .size:           2
        .value_kind:     hidden_group_size_y
      - .offset:         112
        .size:           2
        .value_kind:     hidden_group_size_z
      - .offset:         114
        .size:           2
        .value_kind:     hidden_remainder_x
      - .offset:         116
        .size:           2
        .value_kind:     hidden_remainder_y
      - .offset:         118
        .size:           2
        .value_kind:     hidden_remainder_z
      - .offset:         136
        .size:           8
        .value_kind:     hidden_global_offset_x
      - .offset:         144
        .size:           8
        .value_kind:     hidden_global_offset_y
      - .offset:         152
        .size:           8
        .value_kind:     hidden_global_offset_z
      - .offset:         160
        .size:           2
        .value_kind:     hidden_grid_dims
    .group_segment_fixed_size: 256
    .kernarg_segment_align: 8
    .kernarg_segment_size: 352
    .language:       OpenCL C
    .language_version:
      - 2
      - 0
    .max_flat_workgroup_size: 1024
    .name:           _ZL18rocblas_dot_kernelIlLb1ELi1024ELi32ELb1EfPKPK16rocblas_bfloat16fEviT5_lT_lS5_lS6_liPT6_PT4_
    .private_segment_fixed_size: 0
    .sgpr_count:     30
    .sgpr_spill_count: 0
    .symbol:         _ZL18rocblas_dot_kernelIlLb1ELi1024ELi32ELb1EfPKPK16rocblas_bfloat16fEviT5_lT_lS5_lS6_liPT6_PT4_.kd
    .uniform_work_group_size: 1
    .uses_dynamic_stack: false
    .vgpr_count:     11
    .vgpr_spill_count: 0
    .wavefront_size: 64
  - .agpr_count:     0
    .args:
      - .offset:         0
        .size:           4
        .value_kind:     by_value
      - .actual_access:  read_only
        .address_space:  global
        .offset:         8
        .size:           8
        .value_kind:     global_buffer
      - .offset:         16
        .size:           8
        .value_kind:     by_value
      - .offset:         24
        .size:           8
        .value_kind:     by_value
      - .offset:         32
        .size:           8
        .value_kind:     by_value
      - .offset:         40
        .size:           4
        .value_kind:     by_value
      - .actual_access:  read_only
        .address_space:  global
        .offset:         48
        .size:           8
        .value_kind:     global_buffer
      - .actual_access:  write_only
        .address_space:  global
        .offset:         56
        .size:           8
        .value_kind:     global_buffer
      - .offset:         64
        .size:           4
        .value_kind:     hidden_block_count_x
      - .offset:         68
        .size:           4
        .value_kind:     hidden_block_count_y
      - .offset:         72
        .size:           4
        .value_kind:     hidden_block_count_z
      - .offset:         76
        .size:           2
        .value_kind:     hidden_group_size_x
      - .offset:         78
        .size:           2
        .value_kind:     hidden_group_size_y
      - .offset:         80
        .size:           2
        .value_kind:     hidden_group_size_z
      - .offset:         82
        .size:           2
        .value_kind:     hidden_remainder_x
      - .offset:         84
        .size:           2
        .value_kind:     hidden_remainder_y
      - .offset:         86
        .size:           2
        .value_kind:     hidden_remainder_z
      - .offset:         104
        .size:           8
        .value_kind:     hidden_global_offset_x
      - .offset:         112
        .size:           8
        .value_kind:     hidden_global_offset_y
      - .offset:         120
        .size:           8
        .value_kind:     hidden_global_offset_z
      - .offset:         128
        .size:           2
        .value_kind:     hidden_grid_dims
    .group_segment_fixed_size: 256
    .kernarg_segment_align: 8
    .kernarg_segment_size: 320
    .language:       OpenCL C
    .language_version:
      - 2
      - 0
    .max_flat_workgroup_size: 1024
    .name:           _ZL24rocblas_dot_kernel_magsqIlLb1ELi1024ELi32ELb1EfPKPK16rocblas_bfloat16fEviT5_lT_liPT6_PT4_
    .private_segment_fixed_size: 0
    .sgpr_count:     24
    .sgpr_spill_count: 0
    .symbol:         _ZL24rocblas_dot_kernel_magsqIlLb1ELi1024ELi32ELb1EfPKPK16rocblas_bfloat16fEviT5_lT_liPT6_PT4_.kd
    .uniform_work_group_size: 1
    .uses_dynamic_stack: false
    .vgpr_count:     10
    .vgpr_spill_count: 0
    .wavefront_size: 64
  - .agpr_count:     0
    .args:
      - .offset:         0
        .size:           4
        .value_kind:     by_value
      - .actual_access:  read_only
        .address_space:  global
        .offset:         8
        .size:           8
        .value_kind:     global_buffer
      - .offset:         16
        .size:           8
        .value_kind:     by_value
      - .offset:         24
        .size:           8
        .value_kind:     by_value
      - .offset:         32
        .size:           8
        .value_kind:     by_value
      - .actual_access:  read_only
        .address_space:  global
        .offset:         40
        .size:           8
        .value_kind:     global_buffer
      - .offset:         48
        .size:           8
        .value_kind:     by_value
      - .offset:         56
        .size:           8
        .value_kind:     by_value
      - .offset:         64
        .size:           8
        .value_kind:     by_value
      - .actual_access:  read_only
        .address_space:  global
        .offset:         72
        .size:           8
        .value_kind:     global_buffer
      - .actual_access:  read_only
        .address_space:  global
        .offset:         80
        .size:           8
        .value_kind:     global_buffer
    .group_segment_fixed_size: 0
    .kernarg_segment_align: 8
    .kernarg_segment_size: 88
    .language:       OpenCL C
    .language_version:
      - 2
      - 0
    .max_flat_workgroup_size: 1024
    .name:           _ZL38rocblas_dot_kernel_gfx942_float_doubleIlLi1024EfPKPK16rocblas_bfloat16fEviT2_lT_lS5_lS6_lPT3_PT1_
    .private_segment_fixed_size: 0
    .sgpr_count:     4
    .sgpr_spill_count: 0
    .symbol:         _ZL38rocblas_dot_kernel_gfx942_float_doubleIlLi1024EfPKPK16rocblas_bfloat16fEviT2_lT_lS5_lS6_lPT3_PT1_.kd
    .uniform_work_group_size: 1
    .uses_dynamic_stack: false
    .vgpr_count:     0
    .vgpr_spill_count: 0
    .wavefront_size: 64
  - .agpr_count:     0
    .args:
      - .offset:         0
        .size:           4
        .value_kind:     by_value
      - .actual_access:  read_only
        .address_space:  global
        .offset:         8
        .size:           8
        .value_kind:     global_buffer
      - .offset:         16
        .size:           8
        .value_kind:     by_value
      - .offset:         24
        .size:           8
        .value_kind:     by_value
      - .actual_access:  read_only
        .address_space:  global
        .offset:         32
        .size:           8
        .value_kind:     global_buffer
      - .offset:         40
        .size:           8
        .value_kind:     by_value
      - .offset:         48
        .size:           8
        .value_kind:     by_value
      - .offset:         56
        .size:           4
        .value_kind:     by_value
      - .actual_access:  write_only
        .address_space:  global
        .offset:         64
        .size:           8
        .value_kind:     global_buffer
      - .actual_access:  write_only
        .address_space:  global
        .offset:         72
        .size:           8
        .value_kind:     global_buffer
      - .offset:         80
        .size:           4
        .value_kind:     hidden_block_count_x
      - .offset:         84
        .size:           4
        .value_kind:     hidden_block_count_y
      - .offset:         88
        .size:           4
        .value_kind:     hidden_block_count_z
      - .offset:         92
        .size:           2
        .value_kind:     hidden_group_size_x
      - .offset:         94
        .size:           2
        .value_kind:     hidden_group_size_y
      - .offset:         96
        .size:           2
        .value_kind:     hidden_group_size_z
      - .offset:         98
        .size:           2
        .value_kind:     hidden_remainder_x
      - .offset:         100
        .size:           2
        .value_kind:     hidden_remainder_y
      - .offset:         102
        .size:           2
        .value_kind:     hidden_remainder_z
      - .offset:         120
        .size:           8
        .value_kind:     hidden_global_offset_x
      - .offset:         128
        .size:           8
        .value_kind:     hidden_global_offset_y
      - .offset:         136
        .size:           8
        .value_kind:     hidden_global_offset_z
      - .offset:         144
        .size:           2
        .value_kind:     hidden_grid_dims
    .group_segment_fixed_size: 256
    .kernarg_segment_align: 8
    .kernarg_segment_size: 336
    .language:       OpenCL C
    .language_version:
      - 2
      - 0
    .max_flat_workgroup_size: 512
    .name:           _ZL23rocblas_dot_kernel_inc1ILb0ELi512ELi4ELb1EfPKPK16rocblas_bfloat16fEviT4_llS5_lliPT5_PT3_
    .private_segment_fixed_size: 0
    .sgpr_count:     32
    .sgpr_spill_count: 0
    .symbol:         _ZL23rocblas_dot_kernel_inc1ILb0ELi512ELi4ELb1EfPKPK16rocblas_bfloat16fEviT4_llS5_lliPT5_PT3_.kd
    .uniform_work_group_size: 1
    .uses_dynamic_stack: false
    .vgpr_count:     14
    .vgpr_spill_count: 0
    .wavefront_size: 64
  - .agpr_count:     0
    .args:
      - .offset:         0
        .size:           4
        .value_kind:     by_value
      - .actual_access:  read_only
        .address_space:  global
        .offset:         8
        .size:           8
        .value_kind:     global_buffer
      - .offset:         16
        .size:           8
        .value_kind:     by_value
      - .offset:         24
        .size:           8
        .value_kind:     by_value
      - .offset:         32
        .size:           8
        .value_kind:     by_value
      - .actual_access:  read_only
        .address_space:  global
        .offset:         40
        .size:           8
        .value_kind:     global_buffer
      - .offset:         48
        .size:           8
        .value_kind:     by_value
      - .offset:         56
        .size:           8
        .value_kind:     by_value
      - .offset:         64
        .size:           8
        .value_kind:     by_value
      - .offset:         72
        .size:           4
        .value_kind:     by_value
      - .actual_access:  write_only
        .address_space:  global
        .offset:         80
        .size:           8
        .value_kind:     global_buffer
      - .actual_access:  write_only
        .address_space:  global
        .offset:         88
        .size:           8
        .value_kind:     global_buffer
      - .offset:         96
        .size:           4
        .value_kind:     hidden_block_count_x
      - .offset:         100
        .size:           4
        .value_kind:     hidden_block_count_y
      - .offset:         104
        .size:           4
        .value_kind:     hidden_block_count_z
      - .offset:         108
        .size:           2
        .value_kind:     hidden_group_size_x
      - .offset:         110
        .size:           2
        .value_kind:     hidden_group_size_y
      - .offset:         112
        .size:           2
        .value_kind:     hidden_group_size_z
      - .offset:         114
        .size:           2
        .value_kind:     hidden_remainder_x
      - .offset:         116
        .size:           2
        .value_kind:     hidden_remainder_y
      - .offset:         118
        .size:           2
        .value_kind:     hidden_remainder_z
      - .offset:         136
        .size:           8
        .value_kind:     hidden_global_offset_x
      - .offset:         144
        .size:           8
        .value_kind:     hidden_global_offset_y
      - .offset:         152
        .size:           8
        .value_kind:     hidden_global_offset_z
      - .offset:         160
        .size:           2
        .value_kind:     hidden_grid_dims
    .group_segment_fixed_size: 256
    .kernarg_segment_align: 8
    .kernarg_segment_size: 352
    .language:       OpenCL C
    .language_version:
      - 2
      - 0
    .max_flat_workgroup_size: 512
    .name:           _ZL18rocblas_dot_kernelIlLb0ELi512ELi4ELb1EfPKPK16rocblas_bfloat16fEviT5_lT_lS5_lS6_liPT6_PT4_
    .private_segment_fixed_size: 0
    .sgpr_count:     30
    .sgpr_spill_count: 0
    .symbol:         _ZL18rocblas_dot_kernelIlLb0ELi512ELi4ELb1EfPKPK16rocblas_bfloat16fEviT5_lT_lS5_lS6_liPT6_PT4_.kd
    .uniform_work_group_size: 1
    .uses_dynamic_stack: false
    .vgpr_count:     11
    .vgpr_spill_count: 0
    .wavefront_size: 64
  - .agpr_count:     0
    .args:
      - .offset:         0
        .size:           4
        .value_kind:     by_value
      - .actual_access:  read_only
        .address_space:  global
        .offset:         8
        .size:           8
        .value_kind:     global_buffer
      - .offset:         16
        .size:           8
        .value_kind:     by_value
      - .offset:         24
        .size:           8
        .value_kind:     by_value
      - .offset:         32
        .size:           8
        .value_kind:     by_value
      - .offset:         40
        .size:           4
        .value_kind:     by_value
      - .actual_access:  write_only
        .address_space:  global
        .offset:         48
        .size:           8
        .value_kind:     global_buffer
      - .actual_access:  write_only
        .address_space:  global
        .offset:         56
        .size:           8
        .value_kind:     global_buffer
      - .offset:         64
        .size:           4
        .value_kind:     hidden_block_count_x
      - .offset:         68
        .size:           4
        .value_kind:     hidden_block_count_y
      - .offset:         72
        .size:           4
        .value_kind:     hidden_block_count_z
      - .offset:         76
        .size:           2
        .value_kind:     hidden_group_size_x
      - .offset:         78
        .size:           2
        .value_kind:     hidden_group_size_y
      - .offset:         80
        .size:           2
        .value_kind:     hidden_group_size_z
      - .offset:         82
        .size:           2
        .value_kind:     hidden_remainder_x
      - .offset:         84
        .size:           2
        .value_kind:     hidden_remainder_y
      - .offset:         86
        .size:           2
        .value_kind:     hidden_remainder_z
      - .offset:         104
        .size:           8
        .value_kind:     hidden_global_offset_x
      - .offset:         112
        .size:           8
        .value_kind:     hidden_global_offset_y
      - .offset:         120
        .size:           8
        .value_kind:     hidden_global_offset_z
      - .offset:         128
        .size:           2
        .value_kind:     hidden_grid_dims
    .group_segment_fixed_size: 256
    .kernarg_segment_align: 8
    .kernarg_segment_size: 320
    .language:       OpenCL C
    .language_version:
      - 2
      - 0
    .max_flat_workgroup_size: 512
    .name:           _ZL24rocblas_dot_kernel_magsqIlLb0ELi512ELi4ELb1EfPKPK16rocblas_bfloat16fEviT5_lT_liPT6_PT4_
    .private_segment_fixed_size: 0
    .sgpr_count:     28
    .sgpr_spill_count: 0
    .symbol:         _ZL24rocblas_dot_kernel_magsqIlLb0ELi512ELi4ELb1EfPKPK16rocblas_bfloat16fEviT5_lT_liPT6_PT4_.kd
    .uniform_work_group_size: 1
    .uses_dynamic_stack: false
    .vgpr_count:     9
    .vgpr_spill_count: 0
    .wavefront_size: 64
  - .agpr_count:     0
    .args:
      - .offset:         0
        .size:           4
        .value_kind:     by_value
      - .actual_access:  read_only
        .address_space:  global
        .offset:         8
        .size:           8
        .value_kind:     global_buffer
      - .offset:         16
        .size:           8
        .value_kind:     by_value
      - .offset:         24
        .size:           8
        .value_kind:     by_value
      - .offset:         32
        .size:           8
        .value_kind:     by_value
      - .actual_access:  read_only
        .address_space:  global
        .offset:         40
        .size:           8
        .value_kind:     global_buffer
      - .offset:         48
        .size:           8
        .value_kind:     by_value
      - .offset:         56
        .size:           8
        .value_kind:     by_value
      - .offset:         64
        .size:           8
        .value_kind:     by_value
      - .offset:         72
        .size:           4
        .value_kind:     by_value
      - .actual_access:  write_only
        .address_space:  global
        .offset:         80
        .size:           8
        .value_kind:     global_buffer
    .group_segment_fixed_size: 0
    .kernarg_segment_align: 8
    .kernarg_segment_size: 88
    .language:       OpenCL C
    .language_version:
      - 2
      - 0
    .max_flat_workgroup_size: 128
    .name:           _ZL28rocblas_dot_batched_4_kernelIlLi32ELi4ELb0EffPKDF16_EviT5_lT_lS2_lS3_liPT4_
    .private_segment_fixed_size: 0
    .sgpr_count:     28
    .sgpr_spill_count: 0
    .symbol:         _ZL28rocblas_dot_batched_4_kernelIlLi32ELi4ELb0EffPKDF16_EviT5_lT_lS2_lS3_liPT4_.kd
    .uniform_work_group_size: 1
    .uses_dynamic_stack: false
    .vgpr_count:     13
    .vgpr_spill_count: 0
    .wavefront_size: 64
  - .agpr_count:     0
    .args:
      - .offset:         0
        .size:           4
        .value_kind:     by_value
      - .actual_access:  read_only
        .address_space:  global
        .offset:         8
        .size:           8
        .value_kind:     global_buffer
      - .offset:         16
        .size:           8
        .value_kind:     by_value
      - .offset:         24
        .size:           8
        .value_kind:     by_value
      - .offset:         32
        .size:           8
        .value_kind:     by_value
      - .actual_access:  read_only
        .address_space:  global
        .offset:         40
        .size:           8
        .value_kind:     global_buffer
      - .offset:         48
        .size:           8
        .value_kind:     by_value
      - .offset:         56
        .size:           8
        .value_kind:     by_value
      - .offset:         64
        .size:           8
        .value_kind:     by_value
      - .offset:         72
        .size:           4
        .value_kind:     by_value
      - .actual_access:  write_only
        .address_space:  global
        .offset:         80
        .size:           8
        .value_kind:     global_buffer
    .group_segment_fixed_size: 0
    .kernarg_segment_align: 8
    .kernarg_segment_size: 88
    .language:       OpenCL C
    .language_version:
      - 2
      - 0
    .max_flat_workgroup_size: 256
    .name:           _ZL28rocblas_dot_batched_4_kernelIlLi64ELi4ELb0EffPKDF16_EviT5_lT_lS2_lS3_liPT4_
    .private_segment_fixed_size: 0
    .sgpr_count:     28
    .sgpr_spill_count: 0
    .symbol:         _ZL28rocblas_dot_batched_4_kernelIlLi64ELi4ELb0EffPKDF16_EviT5_lT_lS2_lS3_liPT4_.kd
    .uniform_work_group_size: 1
    .uses_dynamic_stack: false
    .vgpr_count:     13
    .vgpr_spill_count: 0
    .wavefront_size: 64
  - .agpr_count:     0
    .args:
      - .offset:         0
        .size:           4
        .value_kind:     by_value
      - .actual_access:  read_only
        .address_space:  global
        .offset:         8
        .size:           8
        .value_kind:     global_buffer
      - .offset:         16
        .size:           8
        .value_kind:     by_value
      - .offset:         24
        .size:           8
        .value_kind:     by_value
      - .actual_access:  read_only
        .address_space:  global
        .offset:         32
        .size:           8
        .value_kind:     global_buffer
      - .offset:         40
        .size:           8
        .value_kind:     by_value
      - .offset:         48
        .size:           8
        .value_kind:     by_value
      - .offset:         56
        .size:           4
        .value_kind:     by_value
      - .actual_access:  read_only
        .address_space:  global
        .offset:         64
        .size:           8
        .value_kind:     global_buffer
      - .actual_access:  write_only
        .address_space:  global
        .offset:         72
        .size:           8
        .value_kind:     global_buffer
    .group_segment_fixed_size: 256
    .kernarg_segment_align: 8
    .kernarg_segment_size: 80
    .language:       OpenCL C
    .language_version:
      - 2
      - 0
    .max_flat_workgroup_size: 1024
    .name:           _ZL26rocblas_dot_kernel_inc1by2ILb1ELi1024ELi32ELb0EfPKDF16_fEviT4_llS2_lliPT5_PT3_
    .private_segment_fixed_size: 0
    .sgpr_count:     32
    .sgpr_spill_count: 0
    .symbol:         _ZL26rocblas_dot_kernel_inc1by2ILb1ELi1024ELi32ELb0EfPKDF16_fEviT4_llS2_lliPT5_PT3_.kd
    .uniform_work_group_size: 1
    .uses_dynamic_stack: false
    .vgpr_count:     12
    .vgpr_spill_count: 0
    .wavefront_size: 64
  - .agpr_count:     0
    .args:
      - .offset:         0
        .size:           4
        .value_kind:     by_value
      - .actual_access:  read_only
        .address_space:  global
        .offset:         8
        .size:           8
        .value_kind:     global_buffer
      - .offset:         16
        .size:           8
        .value_kind:     by_value
      - .offset:         24
        .size:           8
        .value_kind:     by_value
      - .offset:         32
        .size:           8
        .value_kind:     by_value
      - .actual_access:  read_only
        .address_space:  global
        .offset:         40
        .size:           8
        .value_kind:     global_buffer
      - .offset:         48
        .size:           8
        .value_kind:     by_value
      - .offset:         56
        .size:           8
        .value_kind:     by_value
      - .offset:         64
        .size:           8
        .value_kind:     by_value
      - .offset:         72
        .size:           4
        .value_kind:     by_value
      - .actual_access:  read_only
        .address_space:  global
        .offset:         80
        .size:           8
        .value_kind:     global_buffer
      - .actual_access:  write_only
        .address_space:  global
        .offset:         88
        .size:           8
        .value_kind:     global_buffer
      - .offset:         96
        .size:           4
        .value_kind:     hidden_block_count_x
      - .offset:         100
        .size:           4
        .value_kind:     hidden_block_count_y
      - .offset:         104
        .size:           4
        .value_kind:     hidden_block_count_z
      - .offset:         108
        .size:           2
        .value_kind:     hidden_group_size_x
      - .offset:         110
        .size:           2
        .value_kind:     hidden_group_size_y
      - .offset:         112
        .size:           2
        .value_kind:     hidden_group_size_z
      - .offset:         114
        .size:           2
        .value_kind:     hidden_remainder_x
      - .offset:         116
        .size:           2
        .value_kind:     hidden_remainder_y
      - .offset:         118
        .size:           2
        .value_kind:     hidden_remainder_z
      - .offset:         136
        .size:           8
        .value_kind:     hidden_global_offset_x
      - .offset:         144
        .size:           8
        .value_kind:     hidden_global_offset_y
      - .offset:         152
        .size:           8
        .value_kind:     hidden_global_offset_z
      - .offset:         160
        .size:           2
        .value_kind:     hidden_grid_dims
    .group_segment_fixed_size: 256
    .kernarg_segment_align: 8
    .kernarg_segment_size: 352
    .language:       OpenCL C
    .language_version:
      - 2
      - 0
    .max_flat_workgroup_size: 1024
    .name:           _ZL18rocblas_dot_kernelIlLb1ELi1024ELi32ELb0EfPKDF16_fEviT5_lT_lS2_lS3_liPT6_PT4_
    .private_segment_fixed_size: 0
    .sgpr_count:     30
    .sgpr_spill_count: 0
    .symbol:         _ZL18rocblas_dot_kernelIlLb1ELi1024ELi32ELb0EfPKDF16_fEviT5_lT_lS2_lS3_liPT6_PT4_.kd
    .uniform_work_group_size: 1
    .uses_dynamic_stack: false
    .vgpr_count:     11
    .vgpr_spill_count: 0
    .wavefront_size: 64
  - .agpr_count:     0
    .args:
      - .offset:         0
        .size:           4
        .value_kind:     by_value
      - .actual_access:  read_only
        .address_space:  global
        .offset:         8
        .size:           8
        .value_kind:     global_buffer
      - .offset:         16
        .size:           8
        .value_kind:     by_value
      - .offset:         24
        .size:           8
        .value_kind:     by_value
      - .offset:         32
        .size:           8
        .value_kind:     by_value
      - .offset:         40
        .size:           4
        .value_kind:     by_value
      - .actual_access:  read_only
        .address_space:  global
        .offset:         48
        .size:           8
        .value_kind:     global_buffer
      - .actual_access:  write_only
        .address_space:  global
        .offset:         56
        .size:           8
        .value_kind:     global_buffer
      - .offset:         64
        .size:           4
        .value_kind:     hidden_block_count_x
      - .offset:         68
        .size:           4
        .value_kind:     hidden_block_count_y
      - .offset:         72
        .size:           4
        .value_kind:     hidden_block_count_z
      - .offset:         76
        .size:           2
        .value_kind:     hidden_group_size_x
      - .offset:         78
        .size:           2
        .value_kind:     hidden_group_size_y
      - .offset:         80
        .size:           2
        .value_kind:     hidden_group_size_z
      - .offset:         82
        .size:           2
        .value_kind:     hidden_remainder_x
      - .offset:         84
        .size:           2
        .value_kind:     hidden_remainder_y
      - .offset:         86
        .size:           2
        .value_kind:     hidden_remainder_z
      - .offset:         104
        .size:           8
        .value_kind:     hidden_global_offset_x
      - .offset:         112
        .size:           8
        .value_kind:     hidden_global_offset_y
      - .offset:         120
        .size:           8
        .value_kind:     hidden_global_offset_z
      - .offset:         128
        .size:           2
        .value_kind:     hidden_grid_dims
    .group_segment_fixed_size: 256
    .kernarg_segment_align: 8
    .kernarg_segment_size: 320
    .language:       OpenCL C
    .language_version:
      - 2
      - 0
    .max_flat_workgroup_size: 1024
    .name:           _ZL24rocblas_dot_kernel_magsqIlLb1ELi1024ELi32ELb0EfPKDF16_fEviT5_lT_liPT6_PT4_
    .private_segment_fixed_size: 0
    .sgpr_count:     24
    .sgpr_spill_count: 0
    .symbol:         _ZL24rocblas_dot_kernel_magsqIlLb1ELi1024ELi32ELb0EfPKDF16_fEviT5_lT_liPT6_PT4_.kd
    .uniform_work_group_size: 1
    .uses_dynamic_stack: false
    .vgpr_count:     10
    .vgpr_spill_count: 0
    .wavefront_size: 64
  - .agpr_count:     0
    .args:
      - .offset:         0
        .size:           4
        .value_kind:     by_value
      - .actual_access:  read_only
        .address_space:  global
        .offset:         8
        .size:           8
        .value_kind:     global_buffer
      - .offset:         16
        .size:           8
        .value_kind:     by_value
      - .offset:         24
        .size:           8
        .value_kind:     by_value
      - .actual_access:  read_only
        .address_space:  global
        .offset:         32
        .size:           8
        .value_kind:     global_buffer
      - .offset:         40
        .size:           8
        .value_kind:     by_value
      - .offset:         48
        .size:           8
        .value_kind:     by_value
      - .offset:         56
        .size:           4
        .value_kind:     by_value
      - .actual_access:  write_only
        .address_space:  global
        .offset:         64
        .size:           8
        .value_kind:     global_buffer
      - .actual_access:  write_only
        .address_space:  global
        .offset:         72
        .size:           8
        .value_kind:     global_buffer
      - .offset:         80
        .size:           4
        .value_kind:     hidden_block_count_x
      - .offset:         84
        .size:           4
        .value_kind:     hidden_block_count_y
      - .offset:         88
        .size:           4
        .value_kind:     hidden_block_count_z
      - .offset:         92
        .size:           2
        .value_kind:     hidden_group_size_x
      - .offset:         94
        .size:           2
        .value_kind:     hidden_group_size_y
      - .offset:         96
        .size:           2
        .value_kind:     hidden_group_size_z
      - .offset:         98
        .size:           2
        .value_kind:     hidden_remainder_x
      - .offset:         100
        .size:           2
        .value_kind:     hidden_remainder_y
      - .offset:         102
        .size:           2
        .value_kind:     hidden_remainder_z
      - .offset:         120
        .size:           8
        .value_kind:     hidden_global_offset_x
      - .offset:         128
        .size:           8
        .value_kind:     hidden_global_offset_y
      - .offset:         136
        .size:           8
        .value_kind:     hidden_global_offset_z
      - .offset:         144
        .size:           2
        .value_kind:     hidden_grid_dims
    .group_segment_fixed_size: 256
    .kernarg_segment_align: 8
    .kernarg_segment_size: 336
    .language:       OpenCL C
    .language_version:
      - 2
      - 0
    .max_flat_workgroup_size: 512
    .name:           _ZL23rocblas_dot_kernel_inc1ILb0ELi512ELi4ELb0EfPKDF16_fEviT4_llS2_lliPT5_PT3_
    .private_segment_fixed_size: 0
    .sgpr_count:     32
    .sgpr_spill_count: 0
    .symbol:         _ZL23rocblas_dot_kernel_inc1ILb0ELi512ELi4ELb0EfPKDF16_fEviT4_llS2_lliPT5_PT3_.kd
    .uniform_work_group_size: 1
    .uses_dynamic_stack: false
    .vgpr_count:     14
    .vgpr_spill_count: 0
    .wavefront_size: 64
  - .agpr_count:     0
    .args:
      - .offset:         0
        .size:           4
        .value_kind:     by_value
      - .actual_access:  read_only
        .address_space:  global
        .offset:         8
        .size:           8
        .value_kind:     global_buffer
      - .offset:         16
        .size:           8
        .value_kind:     by_value
      - .offset:         24
        .size:           8
        .value_kind:     by_value
      - .offset:         32
        .size:           8
        .value_kind:     by_value
      - .actual_access:  read_only
        .address_space:  global
        .offset:         40
        .size:           8
        .value_kind:     global_buffer
      - .offset:         48
        .size:           8
        .value_kind:     by_value
      - .offset:         56
        .size:           8
        .value_kind:     by_value
      - .offset:         64
        .size:           8
        .value_kind:     by_value
      - .offset:         72
        .size:           4
        .value_kind:     by_value
      - .actual_access:  write_only
        .address_space:  global
        .offset:         80
        .size:           8
        .value_kind:     global_buffer
      - .actual_access:  write_only
        .address_space:  global
        .offset:         88
        .size:           8
        .value_kind:     global_buffer
      - .offset:         96
        .size:           4
        .value_kind:     hidden_block_count_x
      - .offset:         100
        .size:           4
        .value_kind:     hidden_block_count_y
      - .offset:         104
        .size:           4
        .value_kind:     hidden_block_count_z
      - .offset:         108
        .size:           2
        .value_kind:     hidden_group_size_x
      - .offset:         110
        .size:           2
        .value_kind:     hidden_group_size_y
      - .offset:         112
        .size:           2
        .value_kind:     hidden_group_size_z
      - .offset:         114
        .size:           2
        .value_kind:     hidden_remainder_x
      - .offset:         116
        .size:           2
        .value_kind:     hidden_remainder_y
      - .offset:         118
        .size:           2
        .value_kind:     hidden_remainder_z
      - .offset:         136
        .size:           8
        .value_kind:     hidden_global_offset_x
      - .offset:         144
        .size:           8
        .value_kind:     hidden_global_offset_y
      - .offset:         152
        .size:           8
        .value_kind:     hidden_global_offset_z
      - .offset:         160
        .size:           2
        .value_kind:     hidden_grid_dims
    .group_segment_fixed_size: 256
    .kernarg_segment_align: 8
    .kernarg_segment_size: 352
    .language:       OpenCL C
    .language_version:
      - 2
      - 0
    .max_flat_workgroup_size: 512
    .name:           _ZL18rocblas_dot_kernelIlLb0ELi512ELi4ELb0EfPKDF16_fEviT5_lT_lS2_lS3_liPT6_PT4_
    .private_segment_fixed_size: 0
    .sgpr_count:     34
    .sgpr_spill_count: 0
    .symbol:         _ZL18rocblas_dot_kernelIlLb0ELi512ELi4ELb0EfPKDF16_fEviT5_lT_lS2_lS3_liPT6_PT4_.kd
    .uniform_work_group_size: 1
    .uses_dynamic_stack: false
    .vgpr_count:     11
    .vgpr_spill_count: 0
    .wavefront_size: 64
  - .agpr_count:     0
    .args:
      - .offset:         0
        .size:           4
        .value_kind:     by_value
      - .actual_access:  read_only
        .address_space:  global
        .offset:         8
        .size:           8
        .value_kind:     global_buffer
      - .offset:         16
        .size:           8
        .value_kind:     by_value
      - .offset:         24
        .size:           8
        .value_kind:     by_value
      - .offset:         32
        .size:           8
        .value_kind:     by_value
      - .offset:         40
        .size:           4
        .value_kind:     by_value
      - .actual_access:  write_only
        .address_space:  global
        .offset:         48
        .size:           8
        .value_kind:     global_buffer
      - .actual_access:  write_only
        .address_space:  global
        .offset:         56
        .size:           8
        .value_kind:     global_buffer
      - .offset:         64
        .size:           4
        .value_kind:     hidden_block_count_x
      - .offset:         68
        .size:           4
        .value_kind:     hidden_block_count_y
      - .offset:         72
        .size:           4
        .value_kind:     hidden_block_count_z
      - .offset:         76
        .size:           2
        .value_kind:     hidden_group_size_x
      - .offset:         78
        .size:           2
        .value_kind:     hidden_group_size_y
      - .offset:         80
        .size:           2
        .value_kind:     hidden_group_size_z
      - .offset:         82
        .size:           2
        .value_kind:     hidden_remainder_x
      - .offset:         84
        .size:           2
        .value_kind:     hidden_remainder_y
      - .offset:         86
        .size:           2
        .value_kind:     hidden_remainder_z
      - .offset:         104
        .size:           8
        .value_kind:     hidden_global_offset_x
      - .offset:         112
        .size:           8
        .value_kind:     hidden_global_offset_y
      - .offset:         120
        .size:           8
        .value_kind:     hidden_global_offset_z
      - .offset:         128
        .size:           2
        .value_kind:     hidden_grid_dims
    .group_segment_fixed_size: 256
    .kernarg_segment_align: 8
    .kernarg_segment_size: 320
    .language:       OpenCL C
    .language_version:
      - 2
      - 0
    .max_flat_workgroup_size: 512
    .name:           _ZL24rocblas_dot_kernel_magsqIlLb0ELi512ELi4ELb0EfPKDF16_fEviT5_lT_liPT6_PT4_
    .private_segment_fixed_size: 0
    .sgpr_count:     28
    .sgpr_spill_count: 0
    .symbol:         _ZL24rocblas_dot_kernel_magsqIlLb0ELi512ELi4ELb0EfPKDF16_fEviT5_lT_liPT6_PT4_.kd
    .uniform_work_group_size: 1
    .uses_dynamic_stack: false
    .vgpr_count:     9
    .vgpr_spill_count: 0
    .wavefront_size: 64
  - .agpr_count:     0
    .args:
      - .offset:         0
        .size:           4
        .value_kind:     by_value
      - .actual_access:  read_only
        .address_space:  global
        .offset:         8
        .size:           8
        .value_kind:     global_buffer
      - .offset:         16
        .size:           8
        .value_kind:     by_value
      - .offset:         24
        .size:           8
        .value_kind:     by_value
      - .offset:         32
        .size:           8
        .value_kind:     by_value
      - .actual_access:  read_only
        .address_space:  global
        .offset:         40
        .size:           8
        .value_kind:     global_buffer
      - .offset:         48
        .size:           8
        .value_kind:     by_value
      - .offset:         56
        .size:           8
        .value_kind:     by_value
      - .offset:         64
        .size:           8
        .value_kind:     by_value
      - .offset:         72
        .size:           4
        .value_kind:     by_value
      - .actual_access:  write_only
        .address_space:  global
        .offset:         80
        .size:           8
        .value_kind:     global_buffer
    .group_segment_fixed_size: 0
    .kernarg_segment_align: 8
    .kernarg_segment_size: 88
    .language:       OpenCL C
    .language_version:
      - 2
      - 0
    .max_flat_workgroup_size: 128
    .name:           _ZL28rocblas_dot_batched_4_kernelIlLi32ELi4ELb0EffPKPKDF16_EviT5_lT_lS4_lS5_liPT4_
    .private_segment_fixed_size: 0
    .sgpr_count:     24
    .sgpr_spill_count: 0
    .symbol:         _ZL28rocblas_dot_batched_4_kernelIlLi32ELi4ELb0EffPKPKDF16_EviT5_lT_lS4_lS5_liPT4_.kd
    .uniform_work_group_size: 1
    .uses_dynamic_stack: false
    .vgpr_count:     20
    .vgpr_spill_count: 0
    .wavefront_size: 64
  - .agpr_count:     0
    .args:
      - .offset:         0
        .size:           4
        .value_kind:     by_value
      - .actual_access:  read_only
        .address_space:  global
        .offset:         8
        .size:           8
        .value_kind:     global_buffer
      - .offset:         16
        .size:           8
        .value_kind:     by_value
      - .offset:         24
        .size:           8
        .value_kind:     by_value
      - .offset:         32
        .size:           8
        .value_kind:     by_value
      - .actual_access:  read_only
        .address_space:  global
        .offset:         40
        .size:           8
        .value_kind:     global_buffer
      - .offset:         48
        .size:           8
        .value_kind:     by_value
      - .offset:         56
        .size:           8
        .value_kind:     by_value
      - .offset:         64
        .size:           8
        .value_kind:     by_value
      - .offset:         72
        .size:           4
        .value_kind:     by_value
      - .actual_access:  write_only
        .address_space:  global
        .offset:         80
        .size:           8
        .value_kind:     global_buffer
    .group_segment_fixed_size: 0
    .kernarg_segment_align: 8
    .kernarg_segment_size: 88
    .language:       OpenCL C
    .language_version:
      - 2
      - 0
    .max_flat_workgroup_size: 256
    .name:           _ZL28rocblas_dot_batched_4_kernelIlLi64ELi4ELb0EffPKPKDF16_EviT5_lT_lS4_lS5_liPT4_
    .private_segment_fixed_size: 0
    .sgpr_count:     24
    .sgpr_spill_count: 0
    .symbol:         _ZL28rocblas_dot_batched_4_kernelIlLi64ELi4ELb0EffPKPKDF16_EviT5_lT_lS4_lS5_liPT4_.kd
    .uniform_work_group_size: 1
    .uses_dynamic_stack: false
    .vgpr_count:     20
    .vgpr_spill_count: 0
    .wavefront_size: 64
  - .agpr_count:     0
    .args:
      - .offset:         0
        .size:           4
        .value_kind:     by_value
      - .actual_access:  read_only
        .address_space:  global
        .offset:         8
        .size:           8
        .value_kind:     global_buffer
      - .offset:         16
        .size:           8
        .value_kind:     by_value
      - .offset:         24
        .size:           8
        .value_kind:     by_value
      - .actual_access:  read_only
        .address_space:  global
        .offset:         32
        .size:           8
        .value_kind:     global_buffer
      - .offset:         40
        .size:           8
        .value_kind:     by_value
      - .offset:         48
        .size:           8
        .value_kind:     by_value
      - .offset:         56
        .size:           4
        .value_kind:     by_value
      - .actual_access:  read_only
        .address_space:  global
        .offset:         64
        .size:           8
        .value_kind:     global_buffer
      - .actual_access:  write_only
        .address_space:  global
        .offset:         72
        .size:           8
        .value_kind:     global_buffer
    .group_segment_fixed_size: 256
    .kernarg_segment_align: 8
    .kernarg_segment_size: 80
    .language:       OpenCL C
    .language_version:
      - 2
      - 0
    .max_flat_workgroup_size: 1024
    .name:           _ZL26rocblas_dot_kernel_inc1by2ILb1ELi1024ELi32ELb0EfPKPKDF16_fEviT4_llS4_lliPT5_PT3_
    .private_segment_fixed_size: 0
    .sgpr_count:     28
    .sgpr_spill_count: 0
    .symbol:         _ZL26rocblas_dot_kernel_inc1by2ILb1ELi1024ELi32ELb0EfPKPKDF16_fEviT4_llS4_lliPT5_PT3_.kd
    .uniform_work_group_size: 1
    .uses_dynamic_stack: false
    .vgpr_count:     12
    .vgpr_spill_count: 0
    .wavefront_size: 64
  - .agpr_count:     0
    .args:
      - .offset:         0
        .size:           4
        .value_kind:     by_value
      - .actual_access:  read_only
        .address_space:  global
        .offset:         8
        .size:           8
        .value_kind:     global_buffer
      - .offset:         16
        .size:           8
        .value_kind:     by_value
      - .offset:         24
        .size:           8
        .value_kind:     by_value
      - .offset:         32
        .size:           8
        .value_kind:     by_value
      - .actual_access:  read_only
        .address_space:  global
        .offset:         40
        .size:           8
        .value_kind:     global_buffer
      - .offset:         48
        .size:           8
        .value_kind:     by_value
      - .offset:         56
        .size:           8
        .value_kind:     by_value
      - .offset:         64
        .size:           8
        .value_kind:     by_value
      - .offset:         72
        .size:           4
        .value_kind:     by_value
      - .actual_access:  read_only
        .address_space:  global
        .offset:         80
        .size:           8
        .value_kind:     global_buffer
      - .actual_access:  write_only
        .address_space:  global
        .offset:         88
        .size:           8
        .value_kind:     global_buffer
      - .offset:         96
        .size:           4
        .value_kind:     hidden_block_count_x
      - .offset:         100
        .size:           4
        .value_kind:     hidden_block_count_y
      - .offset:         104
        .size:           4
        .value_kind:     hidden_block_count_z
      - .offset:         108
        .size:           2
        .value_kind:     hidden_group_size_x
      - .offset:         110
        .size:           2
        .value_kind:     hidden_group_size_y
      - .offset:         112
        .size:           2
        .value_kind:     hidden_group_size_z
      - .offset:         114
        .size:           2
        .value_kind:     hidden_remainder_x
      - .offset:         116
        .size:           2
        .value_kind:     hidden_remainder_y
      - .offset:         118
        .size:           2
        .value_kind:     hidden_remainder_z
      - .offset:         136
        .size:           8
        .value_kind:     hidden_global_offset_x
      - .offset:         144
        .size:           8
        .value_kind:     hidden_global_offset_y
      - .offset:         152
        .size:           8
        .value_kind:     hidden_global_offset_z
      - .offset:         160
        .size:           2
        .value_kind:     hidden_grid_dims
    .group_segment_fixed_size: 256
    .kernarg_segment_align: 8
    .kernarg_segment_size: 352
    .language:       OpenCL C
    .language_version:
      - 2
      - 0
    .max_flat_workgroup_size: 1024
    .name:           _ZL18rocblas_dot_kernelIlLb1ELi1024ELi32ELb0EfPKPKDF16_fEviT5_lT_lS4_lS5_liPT6_PT4_
    .private_segment_fixed_size: 0
    .sgpr_count:     30
    .sgpr_spill_count: 0
    .symbol:         _ZL18rocblas_dot_kernelIlLb1ELi1024ELi32ELb0EfPKPKDF16_fEviT5_lT_lS4_lS5_liPT6_PT4_.kd
    .uniform_work_group_size: 1
    .uses_dynamic_stack: false
    .vgpr_count:     11
    .vgpr_spill_count: 0
    .wavefront_size: 64
  - .agpr_count:     0
    .args:
      - .offset:         0
        .size:           4
        .value_kind:     by_value
      - .actual_access:  read_only
        .address_space:  global
        .offset:         8
        .size:           8
        .value_kind:     global_buffer
      - .offset:         16
        .size:           8
        .value_kind:     by_value
      - .offset:         24
        .size:           8
        .value_kind:     by_value
      - .offset:         32
        .size:           8
        .value_kind:     by_value
      - .offset:         40
        .size:           4
        .value_kind:     by_value
      - .actual_access:  read_only
        .address_space:  global
        .offset:         48
        .size:           8
        .value_kind:     global_buffer
      - .actual_access:  write_only
        .address_space:  global
        .offset:         56
        .size:           8
        .value_kind:     global_buffer
      - .offset:         64
        .size:           4
        .value_kind:     hidden_block_count_x
      - .offset:         68
        .size:           4
        .value_kind:     hidden_block_count_y
      - .offset:         72
        .size:           4
        .value_kind:     hidden_block_count_z
      - .offset:         76
        .size:           2
        .value_kind:     hidden_group_size_x
      - .offset:         78
        .size:           2
        .value_kind:     hidden_group_size_y
      - .offset:         80
        .size:           2
        .value_kind:     hidden_group_size_z
      - .offset:         82
        .size:           2
        .value_kind:     hidden_remainder_x
      - .offset:         84
        .size:           2
        .value_kind:     hidden_remainder_y
      - .offset:         86
        .size:           2
        .value_kind:     hidden_remainder_z
      - .offset:         104
        .size:           8
        .value_kind:     hidden_global_offset_x
      - .offset:         112
        .size:           8
        .value_kind:     hidden_global_offset_y
      - .offset:         120
        .size:           8
        .value_kind:     hidden_global_offset_z
      - .offset:         128
        .size:           2
        .value_kind:     hidden_grid_dims
    .group_segment_fixed_size: 256
    .kernarg_segment_align: 8
    .kernarg_segment_size: 320
    .language:       OpenCL C
    .language_version:
      - 2
      - 0
    .max_flat_workgroup_size: 1024
    .name:           _ZL24rocblas_dot_kernel_magsqIlLb1ELi1024ELi32ELb0EfPKPKDF16_fEviT5_lT_liPT6_PT4_
    .private_segment_fixed_size: 0
    .sgpr_count:     24
    .sgpr_spill_count: 0
    .symbol:         _ZL24rocblas_dot_kernel_magsqIlLb1ELi1024ELi32ELb0EfPKPKDF16_fEviT5_lT_liPT6_PT4_.kd
    .uniform_work_group_size: 1
    .uses_dynamic_stack: false
    .vgpr_count:     10
    .vgpr_spill_count: 0
    .wavefront_size: 64
  - .agpr_count:     0
    .args:
      - .offset:         0
        .size:           4
        .value_kind:     by_value
      - .actual_access:  read_only
        .address_space:  global
        .offset:         8
        .size:           8
        .value_kind:     global_buffer
      - .offset:         16
        .size:           8
        .value_kind:     by_value
      - .offset:         24
        .size:           8
        .value_kind:     by_value
      - .actual_access:  read_only
        .address_space:  global
        .offset:         32
        .size:           8
        .value_kind:     global_buffer
      - .offset:         40
        .size:           8
        .value_kind:     by_value
      - .offset:         48
        .size:           8
        .value_kind:     by_value
      - .offset:         56
        .size:           4
        .value_kind:     by_value
      - .actual_access:  write_only
        .address_space:  global
        .offset:         64
        .size:           8
        .value_kind:     global_buffer
      - .actual_access:  write_only
        .address_space:  global
        .offset:         72
        .size:           8
        .value_kind:     global_buffer
      - .offset:         80
        .size:           4
        .value_kind:     hidden_block_count_x
      - .offset:         84
        .size:           4
        .value_kind:     hidden_block_count_y
      - .offset:         88
        .size:           4
        .value_kind:     hidden_block_count_z
      - .offset:         92
        .size:           2
        .value_kind:     hidden_group_size_x
      - .offset:         94
        .size:           2
        .value_kind:     hidden_group_size_y
      - .offset:         96
        .size:           2
        .value_kind:     hidden_group_size_z
      - .offset:         98
        .size:           2
        .value_kind:     hidden_remainder_x
      - .offset:         100
        .size:           2
        .value_kind:     hidden_remainder_y
      - .offset:         102
        .size:           2
        .value_kind:     hidden_remainder_z
      - .offset:         120
        .size:           8
        .value_kind:     hidden_global_offset_x
      - .offset:         128
        .size:           8
        .value_kind:     hidden_global_offset_y
      - .offset:         136
        .size:           8
        .value_kind:     hidden_global_offset_z
      - .offset:         144
        .size:           2
        .value_kind:     hidden_grid_dims
    .group_segment_fixed_size: 256
    .kernarg_segment_align: 8
    .kernarg_segment_size: 336
    .language:       OpenCL C
    .language_version:
      - 2
      - 0
    .max_flat_workgroup_size: 512
    .name:           _ZL23rocblas_dot_kernel_inc1ILb0ELi512ELi4ELb0EfPKPKDF16_fEviT4_llS4_lliPT5_PT3_
    .private_segment_fixed_size: 0
    .sgpr_count:     32
    .sgpr_spill_count: 0
    .symbol:         _ZL23rocblas_dot_kernel_inc1ILb0ELi512ELi4ELb0EfPKPKDF16_fEviT4_llS4_lliPT5_PT3_.kd
    .uniform_work_group_size: 1
    .uses_dynamic_stack: false
    .vgpr_count:     14
    .vgpr_spill_count: 0
    .wavefront_size: 64
  - .agpr_count:     0
    .args:
      - .offset:         0
        .size:           4
        .value_kind:     by_value
      - .actual_access:  read_only
        .address_space:  global
        .offset:         8
        .size:           8
        .value_kind:     global_buffer
      - .offset:         16
        .size:           8
        .value_kind:     by_value
      - .offset:         24
        .size:           8
        .value_kind:     by_value
      - .offset:         32
        .size:           8
        .value_kind:     by_value
      - .actual_access:  read_only
        .address_space:  global
        .offset:         40
        .size:           8
        .value_kind:     global_buffer
      - .offset:         48
        .size:           8
        .value_kind:     by_value
      - .offset:         56
        .size:           8
        .value_kind:     by_value
      - .offset:         64
        .size:           8
        .value_kind:     by_value
      - .offset:         72
        .size:           4
        .value_kind:     by_value
      - .actual_access:  write_only
        .address_space:  global
        .offset:         80
        .size:           8
        .value_kind:     global_buffer
      - .actual_access:  write_only
        .address_space:  global
        .offset:         88
        .size:           8
        .value_kind:     global_buffer
      - .offset:         96
        .size:           4
        .value_kind:     hidden_block_count_x
      - .offset:         100
        .size:           4
        .value_kind:     hidden_block_count_y
      - .offset:         104
        .size:           4
        .value_kind:     hidden_block_count_z
      - .offset:         108
        .size:           2
        .value_kind:     hidden_group_size_x
      - .offset:         110
        .size:           2
        .value_kind:     hidden_group_size_y
      - .offset:         112
        .size:           2
        .value_kind:     hidden_group_size_z
      - .offset:         114
        .size:           2
        .value_kind:     hidden_remainder_x
      - .offset:         116
        .size:           2
        .value_kind:     hidden_remainder_y
      - .offset:         118
        .size:           2
        .value_kind:     hidden_remainder_z
      - .offset:         136
        .size:           8
        .value_kind:     hidden_global_offset_x
      - .offset:         144
        .size:           8
        .value_kind:     hidden_global_offset_y
      - .offset:         152
        .size:           8
        .value_kind:     hidden_global_offset_z
      - .offset:         160
        .size:           2
        .value_kind:     hidden_grid_dims
    .group_segment_fixed_size: 256
    .kernarg_segment_align: 8
    .kernarg_segment_size: 352
    .language:       OpenCL C
    .language_version:
      - 2
      - 0
    .max_flat_workgroup_size: 512
    .name:           _ZL18rocblas_dot_kernelIlLb0ELi512ELi4ELb0EfPKPKDF16_fEviT5_lT_lS4_lS5_liPT6_PT4_
    .private_segment_fixed_size: 0
    .sgpr_count:     30
    .sgpr_spill_count: 0
    .symbol:         _ZL18rocblas_dot_kernelIlLb0ELi512ELi4ELb0EfPKPKDF16_fEviT5_lT_lS4_lS5_liPT6_PT4_.kd
    .uniform_work_group_size: 1
    .uses_dynamic_stack: false
    .vgpr_count:     11
    .vgpr_spill_count: 0
    .wavefront_size: 64
  - .agpr_count:     0
    .args:
      - .offset:         0
        .size:           4
        .value_kind:     by_value
      - .actual_access:  read_only
        .address_space:  global
        .offset:         8
        .size:           8
        .value_kind:     global_buffer
      - .offset:         16
        .size:           8
        .value_kind:     by_value
      - .offset:         24
        .size:           8
        .value_kind:     by_value
      - .offset:         32
        .size:           8
        .value_kind:     by_value
      - .offset:         40
        .size:           4
        .value_kind:     by_value
      - .actual_access:  write_only
        .address_space:  global
        .offset:         48
        .size:           8
        .value_kind:     global_buffer
      - .actual_access:  write_only
        .address_space:  global
        .offset:         56
        .size:           8
        .value_kind:     global_buffer
      - .offset:         64
        .size:           4
        .value_kind:     hidden_block_count_x
      - .offset:         68
        .size:           4
        .value_kind:     hidden_block_count_y
      - .offset:         72
        .size:           4
        .value_kind:     hidden_block_count_z
      - .offset:         76
        .size:           2
        .value_kind:     hidden_group_size_x
      - .offset:         78
        .size:           2
        .value_kind:     hidden_group_size_y
      - .offset:         80
        .size:           2
        .value_kind:     hidden_group_size_z
      - .offset:         82
        .size:           2
        .value_kind:     hidden_remainder_x
      - .offset:         84
        .size:           2
        .value_kind:     hidden_remainder_y
      - .offset:         86
        .size:           2
        .value_kind:     hidden_remainder_z
      - .offset:         104
        .size:           8
        .value_kind:     hidden_global_offset_x
      - .offset:         112
        .size:           8
        .value_kind:     hidden_global_offset_y
      - .offset:         120
        .size:           8
        .value_kind:     hidden_global_offset_z
      - .offset:         128
        .size:           2
        .value_kind:     hidden_grid_dims
    .group_segment_fixed_size: 256
    .kernarg_segment_align: 8
    .kernarg_segment_size: 320
    .language:       OpenCL C
    .language_version:
      - 2
      - 0
    .max_flat_workgroup_size: 512
    .name:           _ZL24rocblas_dot_kernel_magsqIlLb0ELi512ELi4ELb0EfPKPKDF16_fEviT5_lT_liPT6_PT4_
    .private_segment_fixed_size: 0
    .sgpr_count:     28
    .sgpr_spill_count: 0
    .symbol:         _ZL24rocblas_dot_kernel_magsqIlLb0ELi512ELi4ELb0EfPKPKDF16_fEviT5_lT_liPT6_PT4_.kd
    .uniform_work_group_size: 1
    .uses_dynamic_stack: false
    .vgpr_count:     9
    .vgpr_spill_count: 0
    .wavefront_size: 64
  - .agpr_count:     0
    .args:
      - .offset:         0
        .size:           4
        .value_kind:     by_value
      - .actual_access:  read_only
        .address_space:  global
        .offset:         8
        .size:           8
        .value_kind:     global_buffer
      - .offset:         16
        .size:           8
        .value_kind:     by_value
      - .offset:         24
        .size:           8
        .value_kind:     by_value
      - .offset:         32
        .size:           8
        .value_kind:     by_value
      - .actual_access:  read_only
        .address_space:  global
        .offset:         40
        .size:           8
        .value_kind:     global_buffer
      - .offset:         48
        .size:           8
        .value_kind:     by_value
      - .offset:         56
        .size:           8
        .value_kind:     by_value
      - .offset:         64
        .size:           8
        .value_kind:     by_value
      - .offset:         72
        .size:           4
        .value_kind:     by_value
      - .actual_access:  write_only
        .address_space:  global
        .offset:         80
        .size:           8
        .value_kind:     global_buffer
    .group_segment_fixed_size: 0
    .kernarg_segment_align: 8
    .kernarg_segment_size: 88
    .language:       OpenCL C
    .language_version:
      - 2
      - 0
    .max_flat_workgroup_size: 128
    .name:           _ZL28rocblas_dot_batched_4_kernelIlLi32ELi4ELb0EDF16_fPKDF16_EviT5_lT_lS2_lS3_liPT4_
    .private_segment_fixed_size: 0
    .sgpr_count:     28
    .sgpr_spill_count: 0
    .symbol:         _ZL28rocblas_dot_batched_4_kernelIlLi32ELi4ELb0EDF16_fPKDF16_EviT5_lT_lS2_lS3_liPT4_.kd
    .uniform_work_group_size: 1
    .uses_dynamic_stack: false
    .vgpr_count:     13
    .vgpr_spill_count: 0
    .wavefront_size: 64
  - .agpr_count:     0
    .args:
      - .offset:         0
        .size:           4
        .value_kind:     by_value
      - .actual_access:  read_only
        .address_space:  global
        .offset:         8
        .size:           8
        .value_kind:     global_buffer
      - .offset:         16
        .size:           8
        .value_kind:     by_value
      - .offset:         24
        .size:           8
        .value_kind:     by_value
      - .offset:         32
        .size:           8
        .value_kind:     by_value
      - .actual_access:  read_only
        .address_space:  global
        .offset:         40
        .size:           8
        .value_kind:     global_buffer
      - .offset:         48
        .size:           8
        .value_kind:     by_value
      - .offset:         56
        .size:           8
        .value_kind:     by_value
      - .offset:         64
        .size:           8
        .value_kind:     by_value
      - .offset:         72
        .size:           4
        .value_kind:     by_value
      - .actual_access:  write_only
        .address_space:  global
        .offset:         80
        .size:           8
        .value_kind:     global_buffer
    .group_segment_fixed_size: 0
    .kernarg_segment_align: 8
    .kernarg_segment_size: 88
    .language:       OpenCL C
    .language_version:
      - 2
      - 0
    .max_flat_workgroup_size: 256
    .name:           _ZL28rocblas_dot_batched_4_kernelIlLi64ELi4ELb0EDF16_fPKDF16_EviT5_lT_lS2_lS3_liPT4_
    .private_segment_fixed_size: 0
    .sgpr_count:     28
    .sgpr_spill_count: 0
    .symbol:         _ZL28rocblas_dot_batched_4_kernelIlLi64ELi4ELb0EDF16_fPKDF16_EviT5_lT_lS2_lS3_liPT4_.kd
    .uniform_work_group_size: 1
    .uses_dynamic_stack: false
    .vgpr_count:     13
    .vgpr_spill_count: 0
    .wavefront_size: 64
  - .agpr_count:     0
    .args:
      - .offset:         0
        .size:           4
        .value_kind:     by_value
      - .actual_access:  read_only
        .address_space:  global
        .offset:         8
        .size:           8
        .value_kind:     global_buffer
      - .offset:         16
        .size:           8
        .value_kind:     by_value
      - .offset:         24
        .size:           8
        .value_kind:     by_value
      - .actual_access:  read_only
        .address_space:  global
        .offset:         32
        .size:           8
        .value_kind:     global_buffer
      - .offset:         40
        .size:           8
        .value_kind:     by_value
      - .offset:         48
        .size:           8
        .value_kind:     by_value
      - .offset:         56
        .size:           4
        .value_kind:     by_value
      - .actual_access:  read_only
        .address_space:  global
        .offset:         64
        .size:           8
        .value_kind:     global_buffer
      - .actual_access:  write_only
        .address_space:  global
        .offset:         72
        .size:           8
        .value_kind:     global_buffer
    .group_segment_fixed_size: 128
    .kernarg_segment_align: 8
    .kernarg_segment_size: 80
    .language:       OpenCL C
    .language_version:
      - 2
      - 0
    .max_flat_workgroup_size: 1024
    .name:           _ZL26rocblas_dot_kernel_inc1by2ILb1ELi1024ELi32ELb0EfPKDF16_DF16_EviT4_llS2_lliPT5_PT3_
    .private_segment_fixed_size: 0
    .sgpr_count:     32
    .sgpr_spill_count: 0
    .symbol:         _ZL26rocblas_dot_kernel_inc1by2ILb1ELi1024ELi32ELb0EfPKDF16_DF16_EviT4_llS2_lliPT5_PT3_.kd
    .uniform_work_group_size: 1
    .uses_dynamic_stack: false
    .vgpr_count:     11
    .vgpr_spill_count: 0
    .wavefront_size: 64
  - .agpr_count:     0
    .args:
      - .offset:         0
        .size:           4
        .value_kind:     by_value
      - .actual_access:  read_only
        .address_space:  global
        .offset:         8
        .size:           8
        .value_kind:     global_buffer
      - .offset:         16
        .size:           8
        .value_kind:     by_value
      - .offset:         24
        .size:           8
        .value_kind:     by_value
      - .offset:         32
        .size:           8
        .value_kind:     by_value
      - .actual_access:  read_only
        .address_space:  global
        .offset:         40
        .size:           8
        .value_kind:     global_buffer
      - .offset:         48
        .size:           8
        .value_kind:     by_value
      - .offset:         56
        .size:           8
        .value_kind:     by_value
      - .offset:         64
        .size:           8
        .value_kind:     by_value
      - .offset:         72
        .size:           4
        .value_kind:     by_value
      - .actual_access:  read_only
        .address_space:  global
        .offset:         80
        .size:           8
        .value_kind:     global_buffer
      - .actual_access:  write_only
        .address_space:  global
        .offset:         88
        .size:           8
        .value_kind:     global_buffer
      - .offset:         96
        .size:           4
        .value_kind:     hidden_block_count_x
      - .offset:         100
        .size:           4
        .value_kind:     hidden_block_count_y
      - .offset:         104
        .size:           4
        .value_kind:     hidden_block_count_z
      - .offset:         108
        .size:           2
        .value_kind:     hidden_group_size_x
      - .offset:         110
        .size:           2
        .value_kind:     hidden_group_size_y
      - .offset:         112
        .size:           2
        .value_kind:     hidden_group_size_z
      - .offset:         114
        .size:           2
        .value_kind:     hidden_remainder_x
      - .offset:         116
        .size:           2
        .value_kind:     hidden_remainder_y
      - .offset:         118
        .size:           2
        .value_kind:     hidden_remainder_z
      - .offset:         136
        .size:           8
        .value_kind:     hidden_global_offset_x
      - .offset:         144
        .size:           8
        .value_kind:     hidden_global_offset_y
      - .offset:         152
        .size:           8
        .value_kind:     hidden_global_offset_z
      - .offset:         160
        .size:           2
        .value_kind:     hidden_grid_dims
    .group_segment_fixed_size: 128
    .kernarg_segment_align: 8
    .kernarg_segment_size: 352
    .language:       OpenCL C
    .language_version:
      - 2
      - 0
    .max_flat_workgroup_size: 1024
    .name:           _ZL18rocblas_dot_kernelIlLb1ELi1024ELi32ELb0EfPKDF16_DF16_EviT5_lT_lS2_lS3_liPT6_PT4_
    .private_segment_fixed_size: 0
    .sgpr_count:     30
    .sgpr_spill_count: 0
    .symbol:         _ZL18rocblas_dot_kernelIlLb1ELi1024ELi32ELb0EfPKDF16_DF16_EviT5_lT_lS2_lS3_liPT6_PT4_.kd
    .uniform_work_group_size: 1
    .uses_dynamic_stack: false
    .vgpr_count:     11
    .vgpr_spill_count: 0
    .wavefront_size: 64
  - .agpr_count:     0
    .args:
      - .offset:         0
        .size:           4
        .value_kind:     by_value
      - .actual_access:  read_only
        .address_space:  global
        .offset:         8
        .size:           8
        .value_kind:     global_buffer
      - .offset:         16
        .size:           8
        .value_kind:     by_value
      - .offset:         24
        .size:           8
        .value_kind:     by_value
      - .offset:         32
        .size:           8
        .value_kind:     by_value
      - .offset:         40
        .size:           4
        .value_kind:     by_value
      - .actual_access:  read_only
        .address_space:  global
        .offset:         48
        .size:           8
        .value_kind:     global_buffer
      - .actual_access:  write_only
        .address_space:  global
        .offset:         56
        .size:           8
        .value_kind:     global_buffer
      - .offset:         64
        .size:           4
        .value_kind:     hidden_block_count_x
      - .offset:         68
        .size:           4
        .value_kind:     hidden_block_count_y
      - .offset:         72
        .size:           4
        .value_kind:     hidden_block_count_z
      - .offset:         76
        .size:           2
        .value_kind:     hidden_group_size_x
      - .offset:         78
        .size:           2
        .value_kind:     hidden_group_size_y
      - .offset:         80
        .size:           2
        .value_kind:     hidden_group_size_z
      - .offset:         82
        .size:           2
        .value_kind:     hidden_remainder_x
      - .offset:         84
        .size:           2
        .value_kind:     hidden_remainder_y
      - .offset:         86
        .size:           2
        .value_kind:     hidden_remainder_z
      - .offset:         104
        .size:           8
        .value_kind:     hidden_global_offset_x
      - .offset:         112
        .size:           8
        .value_kind:     hidden_global_offset_y
      - .offset:         120
        .size:           8
        .value_kind:     hidden_global_offset_z
      - .offset:         128
        .size:           2
        .value_kind:     hidden_grid_dims
    .group_segment_fixed_size: 128
    .kernarg_segment_align: 8
    .kernarg_segment_size: 320
    .language:       OpenCL C
    .language_version:
      - 2
      - 0
    .max_flat_workgroup_size: 1024
    .name:           _ZL24rocblas_dot_kernel_magsqIlLb1ELi1024ELi32ELb0EfPKDF16_DF16_EviT5_lT_liPT6_PT4_
    .private_segment_fixed_size: 0
    .sgpr_count:     24
    .sgpr_spill_count: 0
    .symbol:         _ZL24rocblas_dot_kernel_magsqIlLb1ELi1024ELi32ELb0EfPKDF16_DF16_EviT5_lT_liPT6_PT4_.kd
    .uniform_work_group_size: 1
    .uses_dynamic_stack: false
    .vgpr_count:     10
    .vgpr_spill_count: 0
    .wavefront_size: 64
  - .agpr_count:     0
    .args:
      - .offset:         0
        .size:           4
        .value_kind:     by_value
      - .actual_access:  read_only
        .address_space:  global
        .offset:         8
        .size:           8
        .value_kind:     global_buffer
      - .offset:         16
        .size:           8
        .value_kind:     by_value
      - .offset:         24
        .size:           8
        .value_kind:     by_value
      - .actual_access:  read_only
        .address_space:  global
        .offset:         32
        .size:           8
        .value_kind:     global_buffer
      - .offset:         40
        .size:           8
        .value_kind:     by_value
      - .offset:         48
        .size:           8
        .value_kind:     by_value
      - .offset:         56
        .size:           4
        .value_kind:     by_value
      - .actual_access:  write_only
        .address_space:  global
        .offset:         64
        .size:           8
        .value_kind:     global_buffer
      - .actual_access:  write_only
        .address_space:  global
        .offset:         72
        .size:           8
        .value_kind:     global_buffer
      - .offset:         80
        .size:           4
        .value_kind:     hidden_block_count_x
      - .offset:         84
        .size:           4
        .value_kind:     hidden_block_count_y
      - .offset:         88
        .size:           4
        .value_kind:     hidden_block_count_z
      - .offset:         92
        .size:           2
        .value_kind:     hidden_group_size_x
      - .offset:         94
        .size:           2
        .value_kind:     hidden_group_size_y
      - .offset:         96
        .size:           2
        .value_kind:     hidden_group_size_z
      - .offset:         98
        .size:           2
        .value_kind:     hidden_remainder_x
      - .offset:         100
        .size:           2
        .value_kind:     hidden_remainder_y
      - .offset:         102
        .size:           2
        .value_kind:     hidden_remainder_z
      - .offset:         120
        .size:           8
        .value_kind:     hidden_global_offset_x
      - .offset:         128
        .size:           8
        .value_kind:     hidden_global_offset_y
      - .offset:         136
        .size:           8
        .value_kind:     hidden_global_offset_z
      - .offset:         144
        .size:           2
        .value_kind:     hidden_grid_dims
    .group_segment_fixed_size: 128
    .kernarg_segment_align: 8
    .kernarg_segment_size: 336
    .language:       OpenCL C
    .language_version:
      - 2
      - 0
    .max_flat_workgroup_size: 512
    .name:           _ZL23rocblas_dot_kernel_inc1ILb0ELi512ELi4ELb0EfPKDF16_DF16_EviT4_llS2_lliPT5_PT3_
    .private_segment_fixed_size: 0
    .sgpr_count:     32
    .sgpr_spill_count: 0
    .symbol:         _ZL23rocblas_dot_kernel_inc1ILb0ELi512ELi4ELb0EfPKDF16_DF16_EviT4_llS2_lliPT5_PT3_.kd
    .uniform_work_group_size: 1
    .uses_dynamic_stack: false
    .vgpr_count:     14
    .vgpr_spill_count: 0
    .wavefront_size: 64
  - .agpr_count:     0
    .args:
      - .offset:         0
        .size:           4
        .value_kind:     by_value
      - .actual_access:  read_only
        .address_space:  global
        .offset:         8
        .size:           8
        .value_kind:     global_buffer
      - .offset:         16
        .size:           8
        .value_kind:     by_value
      - .offset:         24
        .size:           8
        .value_kind:     by_value
      - .offset:         32
        .size:           8
        .value_kind:     by_value
      - .actual_access:  read_only
        .address_space:  global
        .offset:         40
        .size:           8
        .value_kind:     global_buffer
      - .offset:         48
        .size:           8
        .value_kind:     by_value
      - .offset:         56
        .size:           8
        .value_kind:     by_value
      - .offset:         64
        .size:           8
        .value_kind:     by_value
      - .offset:         72
        .size:           4
        .value_kind:     by_value
      - .actual_access:  write_only
        .address_space:  global
        .offset:         80
        .size:           8
        .value_kind:     global_buffer
      - .actual_access:  write_only
        .address_space:  global
        .offset:         88
        .size:           8
        .value_kind:     global_buffer
      - .offset:         96
        .size:           4
        .value_kind:     hidden_block_count_x
      - .offset:         100
        .size:           4
        .value_kind:     hidden_block_count_y
      - .offset:         104
        .size:           4
        .value_kind:     hidden_block_count_z
      - .offset:         108
        .size:           2
        .value_kind:     hidden_group_size_x
      - .offset:         110
        .size:           2
        .value_kind:     hidden_group_size_y
      - .offset:         112
        .size:           2
        .value_kind:     hidden_group_size_z
      - .offset:         114
        .size:           2
        .value_kind:     hidden_remainder_x
      - .offset:         116
        .size:           2
        .value_kind:     hidden_remainder_y
      - .offset:         118
        .size:           2
        .value_kind:     hidden_remainder_z
      - .offset:         136
        .size:           8
        .value_kind:     hidden_global_offset_x
      - .offset:         144
        .size:           8
        .value_kind:     hidden_global_offset_y
      - .offset:         152
        .size:           8
        .value_kind:     hidden_global_offset_z
      - .offset:         160
        .size:           2
        .value_kind:     hidden_grid_dims
    .group_segment_fixed_size: 128
    .kernarg_segment_align: 8
    .kernarg_segment_size: 352
    .language:       OpenCL C
    .language_version:
      - 2
      - 0
    .max_flat_workgroup_size: 512
    .name:           _ZL18rocblas_dot_kernelIlLb0ELi512ELi4ELb0EfPKDF16_DF16_EviT5_lT_lS2_lS3_liPT6_PT4_
    .private_segment_fixed_size: 0
    .sgpr_count:     34
    .sgpr_spill_count: 0
    .symbol:         _ZL18rocblas_dot_kernelIlLb0ELi512ELi4ELb0EfPKDF16_DF16_EviT5_lT_lS2_lS3_liPT6_PT4_.kd
    .uniform_work_group_size: 1
    .uses_dynamic_stack: false
    .vgpr_count:     11
    .vgpr_spill_count: 0
    .wavefront_size: 64
  - .agpr_count:     0
    .args:
      - .offset:         0
        .size:           4
        .value_kind:     by_value
      - .actual_access:  read_only
        .address_space:  global
        .offset:         8
        .size:           8
        .value_kind:     global_buffer
      - .offset:         16
        .size:           8
        .value_kind:     by_value
      - .offset:         24
        .size:           8
        .value_kind:     by_value
      - .offset:         32
        .size:           8
        .value_kind:     by_value
      - .offset:         40
        .size:           4
        .value_kind:     by_value
      - .actual_access:  write_only
        .address_space:  global
        .offset:         48
        .size:           8
        .value_kind:     global_buffer
      - .actual_access:  write_only
        .address_space:  global
        .offset:         56
        .size:           8
        .value_kind:     global_buffer
      - .offset:         64
        .size:           4
        .value_kind:     hidden_block_count_x
      - .offset:         68
        .size:           4
        .value_kind:     hidden_block_count_y
      - .offset:         72
        .size:           4
        .value_kind:     hidden_block_count_z
      - .offset:         76
        .size:           2
        .value_kind:     hidden_group_size_x
      - .offset:         78
        .size:           2
        .value_kind:     hidden_group_size_y
      - .offset:         80
        .size:           2
        .value_kind:     hidden_group_size_z
      - .offset:         82
        .size:           2
        .value_kind:     hidden_remainder_x
      - .offset:         84
        .size:           2
        .value_kind:     hidden_remainder_y
      - .offset:         86
        .size:           2
        .value_kind:     hidden_remainder_z
      - .offset:         104
        .size:           8
        .value_kind:     hidden_global_offset_x
      - .offset:         112
        .size:           8
        .value_kind:     hidden_global_offset_y
      - .offset:         120
        .size:           8
        .value_kind:     hidden_global_offset_z
      - .offset:         128
        .size:           2
        .value_kind:     hidden_grid_dims
    .group_segment_fixed_size: 128
    .kernarg_segment_align: 8
    .kernarg_segment_size: 320
    .language:       OpenCL C
    .language_version:
      - 2
      - 0
    .max_flat_workgroup_size: 512
    .name:           _ZL24rocblas_dot_kernel_magsqIlLb0ELi512ELi4ELb0EfPKDF16_DF16_EviT5_lT_liPT6_PT4_
    .private_segment_fixed_size: 0
    .sgpr_count:     28
    .sgpr_spill_count: 0
    .symbol:         _ZL24rocblas_dot_kernel_magsqIlLb0ELi512ELi4ELb0EfPKDF16_DF16_EviT5_lT_liPT6_PT4_.kd
    .uniform_work_group_size: 1
    .uses_dynamic_stack: false
    .vgpr_count:     10
    .vgpr_spill_count: 0
    .wavefront_size: 64
  - .agpr_count:     0
    .args:
      - .offset:         0
        .size:           4
        .value_kind:     by_value
      - .actual_access:  read_only
        .address_space:  global
        .offset:         8
        .size:           8
        .value_kind:     global_buffer
      - .offset:         16
        .size:           8
        .value_kind:     by_value
      - .offset:         24
        .size:           8
        .value_kind:     by_value
      - .offset:         32
        .size:           8
        .value_kind:     by_value
      - .actual_access:  read_only
        .address_space:  global
        .offset:         40
        .size:           8
        .value_kind:     global_buffer
      - .offset:         48
        .size:           8
        .value_kind:     by_value
      - .offset:         56
        .size:           8
        .value_kind:     by_value
      - .offset:         64
        .size:           8
        .value_kind:     by_value
      - .offset:         72
        .size:           4
        .value_kind:     by_value
      - .actual_access:  write_only
        .address_space:  global
        .offset:         80
        .size:           8
        .value_kind:     global_buffer
    .group_segment_fixed_size: 0
    .kernarg_segment_align: 8
    .kernarg_segment_size: 88
    .language:       OpenCL C
    .language_version:
      - 2
      - 0
    .max_flat_workgroup_size: 128
    .name:           _ZL28rocblas_dot_batched_4_kernelIlLi32ELi4ELb0EDF16_fPKPKDF16_EviT5_lT_lS4_lS5_liPT4_
    .private_segment_fixed_size: 0
    .sgpr_count:     24
    .sgpr_spill_count: 0
    .symbol:         _ZL28rocblas_dot_batched_4_kernelIlLi32ELi4ELb0EDF16_fPKPKDF16_EviT5_lT_lS4_lS5_liPT4_.kd
    .uniform_work_group_size: 1
    .uses_dynamic_stack: false
    .vgpr_count:     20
    .vgpr_spill_count: 0
    .wavefront_size: 64
  - .agpr_count:     0
    .args:
      - .offset:         0
        .size:           4
        .value_kind:     by_value
      - .actual_access:  read_only
        .address_space:  global
        .offset:         8
        .size:           8
        .value_kind:     global_buffer
      - .offset:         16
        .size:           8
        .value_kind:     by_value
      - .offset:         24
        .size:           8
        .value_kind:     by_value
      - .offset:         32
        .size:           8
        .value_kind:     by_value
      - .actual_access:  read_only
        .address_space:  global
        .offset:         40
        .size:           8
        .value_kind:     global_buffer
      - .offset:         48
        .size:           8
        .value_kind:     by_value
      - .offset:         56
        .size:           8
        .value_kind:     by_value
      - .offset:         64
        .size:           8
        .value_kind:     by_value
      - .offset:         72
        .size:           4
        .value_kind:     by_value
      - .actual_access:  write_only
        .address_space:  global
        .offset:         80
        .size:           8
        .value_kind:     global_buffer
    .group_segment_fixed_size: 0
    .kernarg_segment_align: 8
    .kernarg_segment_size: 88
    .language:       OpenCL C
    .language_version:
      - 2
      - 0
    .max_flat_workgroup_size: 256
    .name:           _ZL28rocblas_dot_batched_4_kernelIlLi64ELi4ELb0EDF16_fPKPKDF16_EviT5_lT_lS4_lS5_liPT4_
    .private_segment_fixed_size: 0
    .sgpr_count:     24
    .sgpr_spill_count: 0
    .symbol:         _ZL28rocblas_dot_batched_4_kernelIlLi64ELi4ELb0EDF16_fPKPKDF16_EviT5_lT_lS4_lS5_liPT4_.kd
    .uniform_work_group_size: 1
    .uses_dynamic_stack: false
    .vgpr_count:     20
    .vgpr_spill_count: 0
    .wavefront_size: 64
  - .agpr_count:     0
    .args:
      - .offset:         0
        .size:           4
        .value_kind:     by_value
      - .actual_access:  read_only
        .address_space:  global
        .offset:         8
        .size:           8
        .value_kind:     global_buffer
      - .offset:         16
        .size:           8
        .value_kind:     by_value
      - .offset:         24
        .size:           8
        .value_kind:     by_value
      - .actual_access:  read_only
        .address_space:  global
        .offset:         32
        .size:           8
        .value_kind:     global_buffer
      - .offset:         40
        .size:           8
        .value_kind:     by_value
      - .offset:         48
        .size:           8
        .value_kind:     by_value
      - .offset:         56
        .size:           4
        .value_kind:     by_value
      - .actual_access:  read_only
        .address_space:  global
        .offset:         64
        .size:           8
        .value_kind:     global_buffer
      - .actual_access:  write_only
        .address_space:  global
        .offset:         72
        .size:           8
        .value_kind:     global_buffer
    .group_segment_fixed_size: 128
    .kernarg_segment_align: 8
    .kernarg_segment_size: 80
    .language:       OpenCL C
    .language_version:
      - 2
      - 0
    .max_flat_workgroup_size: 1024
    .name:           _ZL26rocblas_dot_kernel_inc1by2ILb1ELi1024ELi32ELb0EfPKPKDF16_DF16_EviT4_llS4_lliPT5_PT3_
    .private_segment_fixed_size: 0
    .sgpr_count:     28
    .sgpr_spill_count: 0
    .symbol:         _ZL26rocblas_dot_kernel_inc1by2ILb1ELi1024ELi32ELb0EfPKPKDF16_DF16_EviT4_llS4_lliPT5_PT3_.kd
    .uniform_work_group_size: 1
    .uses_dynamic_stack: false
    .vgpr_count:     11
    .vgpr_spill_count: 0
    .wavefront_size: 64
  - .agpr_count:     0
    .args:
      - .offset:         0
        .size:           4
        .value_kind:     by_value
      - .actual_access:  read_only
        .address_space:  global
        .offset:         8
        .size:           8
        .value_kind:     global_buffer
      - .offset:         16
        .size:           8
        .value_kind:     by_value
      - .offset:         24
        .size:           8
        .value_kind:     by_value
      - .offset:         32
        .size:           8
        .value_kind:     by_value
      - .actual_access:  read_only
        .address_space:  global
        .offset:         40
        .size:           8
        .value_kind:     global_buffer
      - .offset:         48
        .size:           8
        .value_kind:     by_value
      - .offset:         56
        .size:           8
        .value_kind:     by_value
      - .offset:         64
        .size:           8
        .value_kind:     by_value
      - .offset:         72
        .size:           4
        .value_kind:     by_value
      - .actual_access:  read_only
        .address_space:  global
        .offset:         80
        .size:           8
        .value_kind:     global_buffer
      - .actual_access:  write_only
        .address_space:  global
        .offset:         88
        .size:           8
        .value_kind:     global_buffer
      - .offset:         96
        .size:           4
        .value_kind:     hidden_block_count_x
      - .offset:         100
        .size:           4
        .value_kind:     hidden_block_count_y
      - .offset:         104
        .size:           4
        .value_kind:     hidden_block_count_z
      - .offset:         108
        .size:           2
        .value_kind:     hidden_group_size_x
      - .offset:         110
        .size:           2
        .value_kind:     hidden_group_size_y
      - .offset:         112
        .size:           2
        .value_kind:     hidden_group_size_z
      - .offset:         114
        .size:           2
        .value_kind:     hidden_remainder_x
      - .offset:         116
        .size:           2
        .value_kind:     hidden_remainder_y
      - .offset:         118
        .size:           2
        .value_kind:     hidden_remainder_z
      - .offset:         136
        .size:           8
        .value_kind:     hidden_global_offset_x
      - .offset:         144
        .size:           8
        .value_kind:     hidden_global_offset_y
      - .offset:         152
        .size:           8
        .value_kind:     hidden_global_offset_z
      - .offset:         160
        .size:           2
        .value_kind:     hidden_grid_dims
    .group_segment_fixed_size: 128
    .kernarg_segment_align: 8
    .kernarg_segment_size: 352
    .language:       OpenCL C
    .language_version:
      - 2
      - 0
    .max_flat_workgroup_size: 1024
    .name:           _ZL18rocblas_dot_kernelIlLb1ELi1024ELi32ELb0EfPKPKDF16_DF16_EviT5_lT_lS4_lS5_liPT6_PT4_
    .private_segment_fixed_size: 0
    .sgpr_count:     30
    .sgpr_spill_count: 0
    .symbol:         _ZL18rocblas_dot_kernelIlLb1ELi1024ELi32ELb0EfPKPKDF16_DF16_EviT5_lT_lS4_lS5_liPT6_PT4_.kd
    .uniform_work_group_size: 1
    .uses_dynamic_stack: false
    .vgpr_count:     11
    .vgpr_spill_count: 0
    .wavefront_size: 64
  - .agpr_count:     0
    .args:
      - .offset:         0
        .size:           4
        .value_kind:     by_value
      - .actual_access:  read_only
        .address_space:  global
        .offset:         8
        .size:           8
        .value_kind:     global_buffer
      - .offset:         16
        .size:           8
        .value_kind:     by_value
      - .offset:         24
        .size:           8
        .value_kind:     by_value
      - .offset:         32
        .size:           8
        .value_kind:     by_value
      - .offset:         40
        .size:           4
        .value_kind:     by_value
      - .actual_access:  read_only
        .address_space:  global
        .offset:         48
        .size:           8
        .value_kind:     global_buffer
      - .actual_access:  write_only
        .address_space:  global
        .offset:         56
        .size:           8
        .value_kind:     global_buffer
      - .offset:         64
        .size:           4
        .value_kind:     hidden_block_count_x
      - .offset:         68
        .size:           4
        .value_kind:     hidden_block_count_y
      - .offset:         72
        .size:           4
        .value_kind:     hidden_block_count_z
      - .offset:         76
        .size:           2
        .value_kind:     hidden_group_size_x
      - .offset:         78
        .size:           2
        .value_kind:     hidden_group_size_y
      - .offset:         80
        .size:           2
        .value_kind:     hidden_group_size_z
      - .offset:         82
        .size:           2
        .value_kind:     hidden_remainder_x
      - .offset:         84
        .size:           2
        .value_kind:     hidden_remainder_y
      - .offset:         86
        .size:           2
        .value_kind:     hidden_remainder_z
      - .offset:         104
        .size:           8
        .value_kind:     hidden_global_offset_x
      - .offset:         112
        .size:           8
        .value_kind:     hidden_global_offset_y
      - .offset:         120
        .size:           8
        .value_kind:     hidden_global_offset_z
      - .offset:         128
        .size:           2
        .value_kind:     hidden_grid_dims
    .group_segment_fixed_size: 128
    .kernarg_segment_align: 8
    .kernarg_segment_size: 320
    .language:       OpenCL C
    .language_version:
      - 2
      - 0
    .max_flat_workgroup_size: 1024
    .name:           _ZL24rocblas_dot_kernel_magsqIlLb1ELi1024ELi32ELb0EfPKPKDF16_DF16_EviT5_lT_liPT6_PT4_
    .private_segment_fixed_size: 0
    .sgpr_count:     24
    .sgpr_spill_count: 0
    .symbol:         _ZL24rocblas_dot_kernel_magsqIlLb1ELi1024ELi32ELb0EfPKPKDF16_DF16_EviT5_lT_liPT6_PT4_.kd
    .uniform_work_group_size: 1
    .uses_dynamic_stack: false
    .vgpr_count:     10
    .vgpr_spill_count: 0
    .wavefront_size: 64
  - .agpr_count:     0
    .args:
      - .offset:         0
        .size:           4
        .value_kind:     by_value
      - .actual_access:  read_only
        .address_space:  global
        .offset:         8
        .size:           8
        .value_kind:     global_buffer
      - .offset:         16
        .size:           8
        .value_kind:     by_value
      - .offset:         24
        .size:           8
        .value_kind:     by_value
      - .actual_access:  read_only
        .address_space:  global
        .offset:         32
        .size:           8
        .value_kind:     global_buffer
      - .offset:         40
        .size:           8
        .value_kind:     by_value
      - .offset:         48
        .size:           8
        .value_kind:     by_value
      - .offset:         56
        .size:           4
        .value_kind:     by_value
      - .actual_access:  write_only
        .address_space:  global
        .offset:         64
        .size:           8
        .value_kind:     global_buffer
      - .actual_access:  write_only
        .address_space:  global
        .offset:         72
        .size:           8
        .value_kind:     global_buffer
      - .offset:         80
        .size:           4
        .value_kind:     hidden_block_count_x
      - .offset:         84
        .size:           4
        .value_kind:     hidden_block_count_y
      - .offset:         88
        .size:           4
        .value_kind:     hidden_block_count_z
      - .offset:         92
        .size:           2
        .value_kind:     hidden_group_size_x
      - .offset:         94
        .size:           2
        .value_kind:     hidden_group_size_y
      - .offset:         96
        .size:           2
        .value_kind:     hidden_group_size_z
      - .offset:         98
        .size:           2
        .value_kind:     hidden_remainder_x
      - .offset:         100
        .size:           2
        .value_kind:     hidden_remainder_y
      - .offset:         102
        .size:           2
        .value_kind:     hidden_remainder_z
      - .offset:         120
        .size:           8
        .value_kind:     hidden_global_offset_x
      - .offset:         128
        .size:           8
        .value_kind:     hidden_global_offset_y
      - .offset:         136
        .size:           8
        .value_kind:     hidden_global_offset_z
      - .offset:         144
        .size:           2
        .value_kind:     hidden_grid_dims
    .group_segment_fixed_size: 128
    .kernarg_segment_align: 8
    .kernarg_segment_size: 336
    .language:       OpenCL C
    .language_version:
      - 2
      - 0
    .max_flat_workgroup_size: 512
    .name:           _ZL23rocblas_dot_kernel_inc1ILb0ELi512ELi4ELb0EfPKPKDF16_DF16_EviT4_llS4_lliPT5_PT3_
    .private_segment_fixed_size: 0
    .sgpr_count:     32
    .sgpr_spill_count: 0
    .symbol:         _ZL23rocblas_dot_kernel_inc1ILb0ELi512ELi4ELb0EfPKPKDF16_DF16_EviT4_llS4_lliPT5_PT3_.kd
    .uniform_work_group_size: 1
    .uses_dynamic_stack: false
    .vgpr_count:     14
    .vgpr_spill_count: 0
    .wavefront_size: 64
  - .agpr_count:     0
    .args:
      - .offset:         0
        .size:           4
        .value_kind:     by_value
      - .actual_access:  read_only
        .address_space:  global
        .offset:         8
        .size:           8
        .value_kind:     global_buffer
      - .offset:         16
        .size:           8
        .value_kind:     by_value
      - .offset:         24
        .size:           8
        .value_kind:     by_value
      - .offset:         32
        .size:           8
        .value_kind:     by_value
      - .actual_access:  read_only
        .address_space:  global
        .offset:         40
        .size:           8
        .value_kind:     global_buffer
      - .offset:         48
        .size:           8
        .value_kind:     by_value
      - .offset:         56
        .size:           8
        .value_kind:     by_value
      - .offset:         64
        .size:           8
        .value_kind:     by_value
      - .offset:         72
        .size:           4
        .value_kind:     by_value
      - .actual_access:  write_only
        .address_space:  global
        .offset:         80
        .size:           8
        .value_kind:     global_buffer
      - .actual_access:  write_only
        .address_space:  global
        .offset:         88
        .size:           8
        .value_kind:     global_buffer
      - .offset:         96
        .size:           4
        .value_kind:     hidden_block_count_x
      - .offset:         100
        .size:           4
        .value_kind:     hidden_block_count_y
      - .offset:         104
        .size:           4
        .value_kind:     hidden_block_count_z
      - .offset:         108
        .size:           2
        .value_kind:     hidden_group_size_x
      - .offset:         110
        .size:           2
        .value_kind:     hidden_group_size_y
      - .offset:         112
        .size:           2
        .value_kind:     hidden_group_size_z
      - .offset:         114
        .size:           2
        .value_kind:     hidden_remainder_x
      - .offset:         116
        .size:           2
        .value_kind:     hidden_remainder_y
      - .offset:         118
        .size:           2
        .value_kind:     hidden_remainder_z
      - .offset:         136
        .size:           8
        .value_kind:     hidden_global_offset_x
      - .offset:         144
        .size:           8
        .value_kind:     hidden_global_offset_y
      - .offset:         152
        .size:           8
        .value_kind:     hidden_global_offset_z
      - .offset:         160
        .size:           2
        .value_kind:     hidden_grid_dims
    .group_segment_fixed_size: 128
    .kernarg_segment_align: 8
    .kernarg_segment_size: 352
    .language:       OpenCL C
    .language_version:
      - 2
      - 0
    .max_flat_workgroup_size: 512
    .name:           _ZL18rocblas_dot_kernelIlLb0ELi512ELi4ELb0EfPKPKDF16_DF16_EviT5_lT_lS4_lS5_liPT6_PT4_
    .private_segment_fixed_size: 0
    .sgpr_count:     30
    .sgpr_spill_count: 0
    .symbol:         _ZL18rocblas_dot_kernelIlLb0ELi512ELi4ELb0EfPKPKDF16_DF16_EviT5_lT_lS4_lS5_liPT6_PT4_.kd
    .uniform_work_group_size: 1
    .uses_dynamic_stack: false
    .vgpr_count:     11
    .vgpr_spill_count: 0
    .wavefront_size: 64
  - .agpr_count:     0
    .args:
      - .offset:         0
        .size:           4
        .value_kind:     by_value
      - .actual_access:  read_only
        .address_space:  global
        .offset:         8
        .size:           8
        .value_kind:     global_buffer
      - .offset:         16
        .size:           8
        .value_kind:     by_value
      - .offset:         24
        .size:           8
        .value_kind:     by_value
      - .offset:         32
        .size:           8
        .value_kind:     by_value
      - .offset:         40
        .size:           4
        .value_kind:     by_value
      - .actual_access:  write_only
        .address_space:  global
        .offset:         48
        .size:           8
        .value_kind:     global_buffer
      - .actual_access:  write_only
        .address_space:  global
        .offset:         56
        .size:           8
        .value_kind:     global_buffer
      - .offset:         64
        .size:           4
        .value_kind:     hidden_block_count_x
      - .offset:         68
        .size:           4
        .value_kind:     hidden_block_count_y
      - .offset:         72
        .size:           4
        .value_kind:     hidden_block_count_z
      - .offset:         76
        .size:           2
        .value_kind:     hidden_group_size_x
      - .offset:         78
        .size:           2
        .value_kind:     hidden_group_size_y
      - .offset:         80
        .size:           2
        .value_kind:     hidden_group_size_z
      - .offset:         82
        .size:           2
        .value_kind:     hidden_remainder_x
      - .offset:         84
        .size:           2
        .value_kind:     hidden_remainder_y
      - .offset:         86
        .size:           2
        .value_kind:     hidden_remainder_z
      - .offset:         104
        .size:           8
        .value_kind:     hidden_global_offset_x
      - .offset:         112
        .size:           8
        .value_kind:     hidden_global_offset_y
      - .offset:         120
        .size:           8
        .value_kind:     hidden_global_offset_z
      - .offset:         128
        .size:           2
        .value_kind:     hidden_grid_dims
    .group_segment_fixed_size: 128
    .kernarg_segment_align: 8
    .kernarg_segment_size: 320
    .language:       OpenCL C
    .language_version:
      - 2
      - 0
    .max_flat_workgroup_size: 512
    .name:           _ZL24rocblas_dot_kernel_magsqIlLb0ELi512ELi4ELb0EfPKPKDF16_DF16_EviT5_lT_liPT6_PT4_
    .private_segment_fixed_size: 0
    .sgpr_count:     28
    .sgpr_spill_count: 0
    .symbol:         _ZL24rocblas_dot_kernel_magsqIlLb0ELi512ELi4ELb0EfPKPKDF16_DF16_EviT5_lT_liPT6_PT4_.kd
    .uniform_work_group_size: 1
    .uses_dynamic_stack: false
    .vgpr_count:     10
    .vgpr_spill_count: 0
    .wavefront_size: 64
  - .agpr_count:     0
    .args:
      - .offset:         0
        .size:           4
        .value_kind:     by_value
      - .actual_access:  read_only
        .address_space:  global
        .offset:         8
        .size:           8
        .value_kind:     global_buffer
      - .offset:         16
        .size:           8
        .value_kind:     by_value
      - .offset:         24
        .size:           8
        .value_kind:     by_value
      - .offset:         32
        .size:           8
        .value_kind:     by_value
      - .actual_access:  read_only
        .address_space:  global
        .offset:         40
        .size:           8
        .value_kind:     global_buffer
      - .offset:         48
        .size:           8
        .value_kind:     by_value
      - .offset:         56
        .size:           8
        .value_kind:     by_value
      - .offset:         64
        .size:           8
        .value_kind:     by_value
      - .offset:         72
        .size:           4
        .value_kind:     by_value
      - .actual_access:  write_only
        .address_space:  global
        .offset:         80
        .size:           8
        .value_kind:     global_buffer
    .group_segment_fixed_size: 0
    .kernarg_segment_align: 8
    .kernarg_segment_size: 88
    .language:       OpenCL C
    .language_version:
      - 2
      - 0
    .max_flat_workgroup_size: 128
    .name:           _ZL28rocblas_dot_batched_4_kernelIlLi32ELi4ELb0EffPK16rocblas_bfloat16EviT5_lT_lS3_lS4_liPT4_
    .private_segment_fixed_size: 0
    .sgpr_count:     28
    .sgpr_spill_count: 0
    .symbol:         _ZL28rocblas_dot_batched_4_kernelIlLi32ELi4ELb0EffPK16rocblas_bfloat16EviT5_lT_lS3_lS4_liPT4_.kd
    .uniform_work_group_size: 1
    .uses_dynamic_stack: false
    .vgpr_count:     13
    .vgpr_spill_count: 0
    .wavefront_size: 64
  - .agpr_count:     0
    .args:
      - .offset:         0
        .size:           4
        .value_kind:     by_value
      - .actual_access:  read_only
        .address_space:  global
        .offset:         8
        .size:           8
        .value_kind:     global_buffer
      - .offset:         16
        .size:           8
        .value_kind:     by_value
      - .offset:         24
        .size:           8
        .value_kind:     by_value
      - .offset:         32
        .size:           8
        .value_kind:     by_value
      - .actual_access:  read_only
        .address_space:  global
        .offset:         40
        .size:           8
        .value_kind:     global_buffer
      - .offset:         48
        .size:           8
        .value_kind:     by_value
      - .offset:         56
        .size:           8
        .value_kind:     by_value
      - .offset:         64
        .size:           8
        .value_kind:     by_value
      - .offset:         72
        .size:           4
        .value_kind:     by_value
      - .actual_access:  write_only
        .address_space:  global
        .offset:         80
        .size:           8
        .value_kind:     global_buffer
    .group_segment_fixed_size: 0
    .kernarg_segment_align: 8
    .kernarg_segment_size: 88
    .language:       OpenCL C
    .language_version:
      - 2
      - 0
    .max_flat_workgroup_size: 256
    .name:           _ZL28rocblas_dot_batched_4_kernelIlLi64ELi4ELb0EffPK16rocblas_bfloat16EviT5_lT_lS3_lS4_liPT4_
    .private_segment_fixed_size: 0
    .sgpr_count:     28
    .sgpr_spill_count: 0
    .symbol:         _ZL28rocblas_dot_batched_4_kernelIlLi64ELi4ELb0EffPK16rocblas_bfloat16EviT5_lT_lS3_lS4_liPT4_.kd
    .uniform_work_group_size: 1
    .uses_dynamic_stack: false
    .vgpr_count:     13
    .vgpr_spill_count: 0
    .wavefront_size: 64
  - .agpr_count:     0
    .args:
      - .offset:         0
        .size:           4
        .value_kind:     by_value
      - .actual_access:  read_only
        .address_space:  global
        .offset:         8
        .size:           8
        .value_kind:     global_buffer
      - .offset:         16
        .size:           8
        .value_kind:     by_value
      - .offset:         24
        .size:           8
        .value_kind:     by_value
      - .actual_access:  read_only
        .address_space:  global
        .offset:         32
        .size:           8
        .value_kind:     global_buffer
      - .offset:         40
        .size:           8
        .value_kind:     by_value
      - .offset:         48
        .size:           8
        .value_kind:     by_value
      - .offset:         56
        .size:           4
        .value_kind:     by_value
      - .actual_access:  read_only
        .address_space:  global
        .offset:         64
        .size:           8
        .value_kind:     global_buffer
      - .actual_access:  write_only
        .address_space:  global
        .offset:         72
        .size:           8
        .value_kind:     global_buffer
    .group_segment_fixed_size: 256
    .kernarg_segment_align: 8
    .kernarg_segment_size: 80
    .language:       OpenCL C
    .language_version:
      - 2
      - 0
    .max_flat_workgroup_size: 1024
    .name:           _ZL26rocblas_dot_kernel_inc1by2ILb1ELi1024ELi32ELb0EfPK16rocblas_bfloat16fEviT4_llS3_lliPT5_PT3_
    .private_segment_fixed_size: 0
    .sgpr_count:     32
    .sgpr_spill_count: 0
    .symbol:         _ZL26rocblas_dot_kernel_inc1by2ILb1ELi1024ELi32ELb0EfPK16rocblas_bfloat16fEviT4_llS3_lliPT5_PT3_.kd
    .uniform_work_group_size: 1
    .uses_dynamic_stack: false
    .vgpr_count:     12
    .vgpr_spill_count: 0
    .wavefront_size: 64
  - .agpr_count:     0
    .args:
      - .offset:         0
        .size:           4
        .value_kind:     by_value
      - .actual_access:  read_only
        .address_space:  global
        .offset:         8
        .size:           8
        .value_kind:     global_buffer
      - .offset:         16
        .size:           8
        .value_kind:     by_value
      - .offset:         24
        .size:           8
        .value_kind:     by_value
      - .offset:         32
        .size:           8
        .value_kind:     by_value
      - .actual_access:  read_only
        .address_space:  global
        .offset:         40
        .size:           8
        .value_kind:     global_buffer
      - .offset:         48
        .size:           8
        .value_kind:     by_value
      - .offset:         56
        .size:           8
        .value_kind:     by_value
      - .offset:         64
        .size:           8
        .value_kind:     by_value
      - .offset:         72
        .size:           4
        .value_kind:     by_value
      - .actual_access:  read_only
        .address_space:  global
        .offset:         80
        .size:           8
        .value_kind:     global_buffer
      - .actual_access:  write_only
        .address_space:  global
        .offset:         88
        .size:           8
        .value_kind:     global_buffer
      - .offset:         96
        .size:           4
        .value_kind:     hidden_block_count_x
      - .offset:         100
        .size:           4
        .value_kind:     hidden_block_count_y
      - .offset:         104
        .size:           4
        .value_kind:     hidden_block_count_z
      - .offset:         108
        .size:           2
        .value_kind:     hidden_group_size_x
      - .offset:         110
        .size:           2
        .value_kind:     hidden_group_size_y
      - .offset:         112
        .size:           2
        .value_kind:     hidden_group_size_z
      - .offset:         114
        .size:           2
        .value_kind:     hidden_remainder_x
      - .offset:         116
        .size:           2
        .value_kind:     hidden_remainder_y
      - .offset:         118
        .size:           2
        .value_kind:     hidden_remainder_z
      - .offset:         136
        .size:           8
        .value_kind:     hidden_global_offset_x
      - .offset:         144
        .size:           8
        .value_kind:     hidden_global_offset_y
      - .offset:         152
        .size:           8
        .value_kind:     hidden_global_offset_z
      - .offset:         160
        .size:           2
        .value_kind:     hidden_grid_dims
    .group_segment_fixed_size: 256
    .kernarg_segment_align: 8
    .kernarg_segment_size: 352
    .language:       OpenCL C
    .language_version:
      - 2
      - 0
    .max_flat_workgroup_size: 1024
    .name:           _ZL18rocblas_dot_kernelIlLb1ELi1024ELi32ELb0EfPK16rocblas_bfloat16fEviT5_lT_lS3_lS4_liPT6_PT4_
    .private_segment_fixed_size: 0
    .sgpr_count:     30
    .sgpr_spill_count: 0
    .symbol:         _ZL18rocblas_dot_kernelIlLb1ELi1024ELi32ELb0EfPK16rocblas_bfloat16fEviT5_lT_lS3_lS4_liPT6_PT4_.kd
    .uniform_work_group_size: 1
    .uses_dynamic_stack: false
    .vgpr_count:     11
    .vgpr_spill_count: 0
    .wavefront_size: 64
  - .agpr_count:     0
    .args:
      - .offset:         0
        .size:           4
        .value_kind:     by_value
      - .actual_access:  read_only
        .address_space:  global
        .offset:         8
        .size:           8
        .value_kind:     global_buffer
      - .offset:         16
        .size:           8
        .value_kind:     by_value
      - .offset:         24
        .size:           8
        .value_kind:     by_value
      - .offset:         32
        .size:           8
        .value_kind:     by_value
      - .offset:         40
        .size:           4
        .value_kind:     by_value
      - .actual_access:  read_only
        .address_space:  global
        .offset:         48
        .size:           8
        .value_kind:     global_buffer
      - .actual_access:  write_only
        .address_space:  global
        .offset:         56
        .size:           8
        .value_kind:     global_buffer
      - .offset:         64
        .size:           4
        .value_kind:     hidden_block_count_x
      - .offset:         68
        .size:           4
        .value_kind:     hidden_block_count_y
      - .offset:         72
        .size:           4
        .value_kind:     hidden_block_count_z
      - .offset:         76
        .size:           2
        .value_kind:     hidden_group_size_x
      - .offset:         78
        .size:           2
        .value_kind:     hidden_group_size_y
      - .offset:         80
        .size:           2
        .value_kind:     hidden_group_size_z
      - .offset:         82
        .size:           2
        .value_kind:     hidden_remainder_x
      - .offset:         84
        .size:           2
        .value_kind:     hidden_remainder_y
      - .offset:         86
        .size:           2
        .value_kind:     hidden_remainder_z
      - .offset:         104
        .size:           8
        .value_kind:     hidden_global_offset_x
      - .offset:         112
        .size:           8
        .value_kind:     hidden_global_offset_y
      - .offset:         120
        .size:           8
        .value_kind:     hidden_global_offset_z
      - .offset:         128
        .size:           2
        .value_kind:     hidden_grid_dims
    .group_segment_fixed_size: 256
    .kernarg_segment_align: 8
    .kernarg_segment_size: 320
    .language:       OpenCL C
    .language_version:
      - 2
      - 0
    .max_flat_workgroup_size: 1024
    .name:           _ZL24rocblas_dot_kernel_magsqIlLb1ELi1024ELi32ELb0EfPK16rocblas_bfloat16fEviT5_lT_liPT6_PT4_
    .private_segment_fixed_size: 0
    .sgpr_count:     24
    .sgpr_spill_count: 0
    .symbol:         _ZL24rocblas_dot_kernel_magsqIlLb1ELi1024ELi32ELb0EfPK16rocblas_bfloat16fEviT5_lT_liPT6_PT4_.kd
    .uniform_work_group_size: 1
    .uses_dynamic_stack: false
    .vgpr_count:     10
    .vgpr_spill_count: 0
    .wavefront_size: 64
  - .agpr_count:     0
    .args:
      - .offset:         0
        .size:           4
        .value_kind:     by_value
      - .actual_access:  read_only
        .address_space:  global
        .offset:         8
        .size:           8
        .value_kind:     global_buffer
      - .offset:         16
        .size:           8
        .value_kind:     by_value
      - .offset:         24
        .size:           8
        .value_kind:     by_value
      - .actual_access:  read_only
        .address_space:  global
        .offset:         32
        .size:           8
        .value_kind:     global_buffer
      - .offset:         40
        .size:           8
        .value_kind:     by_value
      - .offset:         48
        .size:           8
        .value_kind:     by_value
      - .offset:         56
        .size:           4
        .value_kind:     by_value
      - .actual_access:  write_only
        .address_space:  global
        .offset:         64
        .size:           8
        .value_kind:     global_buffer
      - .actual_access:  write_only
        .address_space:  global
        .offset:         72
        .size:           8
        .value_kind:     global_buffer
      - .offset:         80
        .size:           4
        .value_kind:     hidden_block_count_x
      - .offset:         84
        .size:           4
        .value_kind:     hidden_block_count_y
      - .offset:         88
        .size:           4
        .value_kind:     hidden_block_count_z
      - .offset:         92
        .size:           2
        .value_kind:     hidden_group_size_x
      - .offset:         94
        .size:           2
        .value_kind:     hidden_group_size_y
      - .offset:         96
        .size:           2
        .value_kind:     hidden_group_size_z
      - .offset:         98
        .size:           2
        .value_kind:     hidden_remainder_x
      - .offset:         100
        .size:           2
        .value_kind:     hidden_remainder_y
      - .offset:         102
        .size:           2
        .value_kind:     hidden_remainder_z
      - .offset:         120
        .size:           8
        .value_kind:     hidden_global_offset_x
      - .offset:         128
        .size:           8
        .value_kind:     hidden_global_offset_y
      - .offset:         136
        .size:           8
        .value_kind:     hidden_global_offset_z
      - .offset:         144
        .size:           2
        .value_kind:     hidden_grid_dims
    .group_segment_fixed_size: 256
    .kernarg_segment_align: 8
    .kernarg_segment_size: 336
    .language:       OpenCL C
    .language_version:
      - 2
      - 0
    .max_flat_workgroup_size: 512
    .name:           _ZL23rocblas_dot_kernel_inc1ILb0ELi512ELi4ELb0EfPK16rocblas_bfloat16fEviT4_llS3_lliPT5_PT3_
    .private_segment_fixed_size: 0
    .sgpr_count:     32
    .sgpr_spill_count: 0
    .symbol:         _ZL23rocblas_dot_kernel_inc1ILb0ELi512ELi4ELb0EfPK16rocblas_bfloat16fEviT4_llS3_lliPT5_PT3_.kd
    .uniform_work_group_size: 1
    .uses_dynamic_stack: false
    .vgpr_count:     14
    .vgpr_spill_count: 0
    .wavefront_size: 64
  - .agpr_count:     0
    .args:
      - .offset:         0
        .size:           4
        .value_kind:     by_value
      - .actual_access:  read_only
        .address_space:  global
        .offset:         8
        .size:           8
        .value_kind:     global_buffer
      - .offset:         16
        .size:           8
        .value_kind:     by_value
      - .offset:         24
        .size:           8
        .value_kind:     by_value
      - .offset:         32
        .size:           8
        .value_kind:     by_value
      - .actual_access:  read_only
        .address_space:  global
        .offset:         40
        .size:           8
        .value_kind:     global_buffer
      - .offset:         48
        .size:           8
        .value_kind:     by_value
      - .offset:         56
        .size:           8
        .value_kind:     by_value
      - .offset:         64
        .size:           8
        .value_kind:     by_value
      - .offset:         72
        .size:           4
        .value_kind:     by_value
      - .actual_access:  write_only
        .address_space:  global
        .offset:         80
        .size:           8
        .value_kind:     global_buffer
      - .actual_access:  write_only
        .address_space:  global
        .offset:         88
        .size:           8
        .value_kind:     global_buffer
      - .offset:         96
        .size:           4
        .value_kind:     hidden_block_count_x
      - .offset:         100
        .size:           4
        .value_kind:     hidden_block_count_y
      - .offset:         104
        .size:           4
        .value_kind:     hidden_block_count_z
      - .offset:         108
        .size:           2
        .value_kind:     hidden_group_size_x
      - .offset:         110
        .size:           2
        .value_kind:     hidden_group_size_y
      - .offset:         112
        .size:           2
        .value_kind:     hidden_group_size_z
      - .offset:         114
        .size:           2
        .value_kind:     hidden_remainder_x
      - .offset:         116
        .size:           2
        .value_kind:     hidden_remainder_y
      - .offset:         118
        .size:           2
        .value_kind:     hidden_remainder_z
      - .offset:         136
        .size:           8
        .value_kind:     hidden_global_offset_x
      - .offset:         144
        .size:           8
        .value_kind:     hidden_global_offset_y
      - .offset:         152
        .size:           8
        .value_kind:     hidden_global_offset_z
      - .offset:         160
        .size:           2
        .value_kind:     hidden_grid_dims
    .group_segment_fixed_size: 256
    .kernarg_segment_align: 8
    .kernarg_segment_size: 352
    .language:       OpenCL C
    .language_version:
      - 2
      - 0
    .max_flat_workgroup_size: 512
    .name:           _ZL18rocblas_dot_kernelIlLb0ELi512ELi4ELb0EfPK16rocblas_bfloat16fEviT5_lT_lS3_lS4_liPT6_PT4_
    .private_segment_fixed_size: 0
    .sgpr_count:     34
    .sgpr_spill_count: 0
    .symbol:         _ZL18rocblas_dot_kernelIlLb0ELi512ELi4ELb0EfPK16rocblas_bfloat16fEviT5_lT_lS3_lS4_liPT6_PT4_.kd
    .uniform_work_group_size: 1
    .uses_dynamic_stack: false
    .vgpr_count:     11
    .vgpr_spill_count: 0
    .wavefront_size: 64
  - .agpr_count:     0
    .args:
      - .offset:         0
        .size:           4
        .value_kind:     by_value
      - .actual_access:  read_only
        .address_space:  global
        .offset:         8
        .size:           8
        .value_kind:     global_buffer
      - .offset:         16
        .size:           8
        .value_kind:     by_value
      - .offset:         24
        .size:           8
        .value_kind:     by_value
      - .offset:         32
        .size:           8
        .value_kind:     by_value
      - .offset:         40
        .size:           4
        .value_kind:     by_value
      - .actual_access:  write_only
        .address_space:  global
        .offset:         48
        .size:           8
        .value_kind:     global_buffer
      - .actual_access:  write_only
        .address_space:  global
        .offset:         56
        .size:           8
        .value_kind:     global_buffer
      - .offset:         64
        .size:           4
        .value_kind:     hidden_block_count_x
      - .offset:         68
        .size:           4
        .value_kind:     hidden_block_count_y
      - .offset:         72
        .size:           4
        .value_kind:     hidden_block_count_z
      - .offset:         76
        .size:           2
        .value_kind:     hidden_group_size_x
      - .offset:         78
        .size:           2
        .value_kind:     hidden_group_size_y
      - .offset:         80
        .size:           2
        .value_kind:     hidden_group_size_z
      - .offset:         82
        .size:           2
        .value_kind:     hidden_remainder_x
      - .offset:         84
        .size:           2
        .value_kind:     hidden_remainder_y
      - .offset:         86
        .size:           2
        .value_kind:     hidden_remainder_z
      - .offset:         104
        .size:           8
        .value_kind:     hidden_global_offset_x
      - .offset:         112
        .size:           8
        .value_kind:     hidden_global_offset_y
      - .offset:         120
        .size:           8
        .value_kind:     hidden_global_offset_z
      - .offset:         128
        .size:           2
        .value_kind:     hidden_grid_dims
    .group_segment_fixed_size: 256
    .kernarg_segment_align: 8
    .kernarg_segment_size: 320
    .language:       OpenCL C
    .language_version:
      - 2
      - 0
    .max_flat_workgroup_size: 512
    .name:           _ZL24rocblas_dot_kernel_magsqIlLb0ELi512ELi4ELb0EfPK16rocblas_bfloat16fEviT5_lT_liPT6_PT4_
    .private_segment_fixed_size: 0
    .sgpr_count:     28
    .sgpr_spill_count: 0
    .symbol:         _ZL24rocblas_dot_kernel_magsqIlLb0ELi512ELi4ELb0EfPK16rocblas_bfloat16fEviT5_lT_liPT6_PT4_.kd
    .uniform_work_group_size: 1
    .uses_dynamic_stack: false
    .vgpr_count:     9
    .vgpr_spill_count: 0
    .wavefront_size: 64
  - .agpr_count:     0
    .args:
      - .offset:         0
        .size:           4
        .value_kind:     by_value
      - .actual_access:  read_only
        .address_space:  global
        .offset:         8
        .size:           8
        .value_kind:     global_buffer
      - .offset:         16
        .size:           8
        .value_kind:     by_value
      - .offset:         24
        .size:           8
        .value_kind:     by_value
      - .offset:         32
        .size:           8
        .value_kind:     by_value
      - .actual_access:  read_only
        .address_space:  global
        .offset:         40
        .size:           8
        .value_kind:     global_buffer
      - .offset:         48
        .size:           8
        .value_kind:     by_value
      - .offset:         56
        .size:           8
        .value_kind:     by_value
      - .offset:         64
        .size:           8
        .value_kind:     by_value
      - .offset:         72
        .size:           4
        .value_kind:     by_value
      - .actual_access:  write_only
        .address_space:  global
        .offset:         80
        .size:           8
        .value_kind:     global_buffer
    .group_segment_fixed_size: 0
    .kernarg_segment_align: 8
    .kernarg_segment_size: 88
    .language:       OpenCL C
    .language_version:
      - 2
      - 0
    .max_flat_workgroup_size: 128
    .name:           _ZL28rocblas_dot_batched_4_kernelIlLi32ELi4ELb0EffPKPK16rocblas_bfloat16EviT5_lT_lS5_lS6_liPT4_
    .private_segment_fixed_size: 0
    .sgpr_count:     24
    .sgpr_spill_count: 0
    .symbol:         _ZL28rocblas_dot_batched_4_kernelIlLi32ELi4ELb0EffPKPK16rocblas_bfloat16EviT5_lT_lS5_lS6_liPT4_.kd
    .uniform_work_group_size: 1
    .uses_dynamic_stack: false
    .vgpr_count:     20
    .vgpr_spill_count: 0
    .wavefront_size: 64
  - .agpr_count:     0
    .args:
      - .offset:         0
        .size:           4
        .value_kind:     by_value
      - .actual_access:  read_only
        .address_space:  global
        .offset:         8
        .size:           8
        .value_kind:     global_buffer
      - .offset:         16
        .size:           8
        .value_kind:     by_value
      - .offset:         24
        .size:           8
        .value_kind:     by_value
      - .offset:         32
        .size:           8
        .value_kind:     by_value
      - .actual_access:  read_only
        .address_space:  global
        .offset:         40
        .size:           8
        .value_kind:     global_buffer
      - .offset:         48
        .size:           8
        .value_kind:     by_value
      - .offset:         56
        .size:           8
        .value_kind:     by_value
      - .offset:         64
        .size:           8
        .value_kind:     by_value
      - .offset:         72
        .size:           4
        .value_kind:     by_value
      - .actual_access:  write_only
        .address_space:  global
        .offset:         80
        .size:           8
        .value_kind:     global_buffer
    .group_segment_fixed_size: 0
    .kernarg_segment_align: 8
    .kernarg_segment_size: 88
    .language:       OpenCL C
    .language_version:
      - 2
      - 0
    .max_flat_workgroup_size: 256
    .name:           _ZL28rocblas_dot_batched_4_kernelIlLi64ELi4ELb0EffPKPK16rocblas_bfloat16EviT5_lT_lS5_lS6_liPT4_
    .private_segment_fixed_size: 0
    .sgpr_count:     24
    .sgpr_spill_count: 0
    .symbol:         _ZL28rocblas_dot_batched_4_kernelIlLi64ELi4ELb0EffPKPK16rocblas_bfloat16EviT5_lT_lS5_lS6_liPT4_.kd
    .uniform_work_group_size: 1
    .uses_dynamic_stack: false
    .vgpr_count:     20
    .vgpr_spill_count: 0
    .wavefront_size: 64
  - .agpr_count:     0
    .args:
      - .offset:         0
        .size:           4
        .value_kind:     by_value
      - .actual_access:  read_only
        .address_space:  global
        .offset:         8
        .size:           8
        .value_kind:     global_buffer
      - .offset:         16
        .size:           8
        .value_kind:     by_value
      - .offset:         24
        .size:           8
        .value_kind:     by_value
      - .actual_access:  read_only
        .address_space:  global
        .offset:         32
        .size:           8
        .value_kind:     global_buffer
      - .offset:         40
        .size:           8
        .value_kind:     by_value
      - .offset:         48
        .size:           8
        .value_kind:     by_value
      - .offset:         56
        .size:           4
        .value_kind:     by_value
      - .actual_access:  read_only
        .address_space:  global
        .offset:         64
        .size:           8
        .value_kind:     global_buffer
      - .actual_access:  write_only
        .address_space:  global
        .offset:         72
        .size:           8
        .value_kind:     global_buffer
    .group_segment_fixed_size: 256
    .kernarg_segment_align: 8
    .kernarg_segment_size: 80
    .language:       OpenCL C
    .language_version:
      - 2
      - 0
    .max_flat_workgroup_size: 1024
    .name:           _ZL26rocblas_dot_kernel_inc1by2ILb1ELi1024ELi32ELb0EfPKPK16rocblas_bfloat16fEviT4_llS5_lliPT5_PT3_
    .private_segment_fixed_size: 0
    .sgpr_count:     28
    .sgpr_spill_count: 0
    .symbol:         _ZL26rocblas_dot_kernel_inc1by2ILb1ELi1024ELi32ELb0EfPKPK16rocblas_bfloat16fEviT4_llS5_lliPT5_PT3_.kd
    .uniform_work_group_size: 1
    .uses_dynamic_stack: false
    .vgpr_count:     12
    .vgpr_spill_count: 0
    .wavefront_size: 64
  - .agpr_count:     0
    .args:
      - .offset:         0
        .size:           4
        .value_kind:     by_value
      - .actual_access:  read_only
        .address_space:  global
        .offset:         8
        .size:           8
        .value_kind:     global_buffer
      - .offset:         16
        .size:           8
        .value_kind:     by_value
      - .offset:         24
        .size:           8
        .value_kind:     by_value
      - .offset:         32
        .size:           8
        .value_kind:     by_value
      - .actual_access:  read_only
        .address_space:  global
        .offset:         40
        .size:           8
        .value_kind:     global_buffer
      - .offset:         48
        .size:           8
        .value_kind:     by_value
      - .offset:         56
        .size:           8
        .value_kind:     by_value
      - .offset:         64
        .size:           8
        .value_kind:     by_value
      - .offset:         72
        .size:           4
        .value_kind:     by_value
      - .actual_access:  read_only
        .address_space:  global
        .offset:         80
        .size:           8
        .value_kind:     global_buffer
      - .actual_access:  write_only
        .address_space:  global
        .offset:         88
        .size:           8
        .value_kind:     global_buffer
      - .offset:         96
        .size:           4
        .value_kind:     hidden_block_count_x
      - .offset:         100
        .size:           4
        .value_kind:     hidden_block_count_y
      - .offset:         104
        .size:           4
        .value_kind:     hidden_block_count_z
      - .offset:         108
        .size:           2
        .value_kind:     hidden_group_size_x
      - .offset:         110
        .size:           2
        .value_kind:     hidden_group_size_y
      - .offset:         112
        .size:           2
        .value_kind:     hidden_group_size_z
      - .offset:         114
        .size:           2
        .value_kind:     hidden_remainder_x
      - .offset:         116
        .size:           2
        .value_kind:     hidden_remainder_y
      - .offset:         118
        .size:           2
        .value_kind:     hidden_remainder_z
      - .offset:         136
        .size:           8
        .value_kind:     hidden_global_offset_x
      - .offset:         144
        .size:           8
        .value_kind:     hidden_global_offset_y
      - .offset:         152
        .size:           8
        .value_kind:     hidden_global_offset_z
      - .offset:         160
        .size:           2
        .value_kind:     hidden_grid_dims
    .group_segment_fixed_size: 256
    .kernarg_segment_align: 8
    .kernarg_segment_size: 352
    .language:       OpenCL C
    .language_version:
      - 2
      - 0
    .max_flat_workgroup_size: 1024
    .name:           _ZL18rocblas_dot_kernelIlLb1ELi1024ELi32ELb0EfPKPK16rocblas_bfloat16fEviT5_lT_lS5_lS6_liPT6_PT4_
    .private_segment_fixed_size: 0
    .sgpr_count:     30
    .sgpr_spill_count: 0
    .symbol:         _ZL18rocblas_dot_kernelIlLb1ELi1024ELi32ELb0EfPKPK16rocblas_bfloat16fEviT5_lT_lS5_lS6_liPT6_PT4_.kd
    .uniform_work_group_size: 1
    .uses_dynamic_stack: false
    .vgpr_count:     11
    .vgpr_spill_count: 0
    .wavefront_size: 64
  - .agpr_count:     0
    .args:
      - .offset:         0
        .size:           4
        .value_kind:     by_value
      - .actual_access:  read_only
        .address_space:  global
        .offset:         8
        .size:           8
        .value_kind:     global_buffer
      - .offset:         16
        .size:           8
        .value_kind:     by_value
      - .offset:         24
        .size:           8
        .value_kind:     by_value
      - .offset:         32
        .size:           8
        .value_kind:     by_value
      - .offset:         40
        .size:           4
        .value_kind:     by_value
      - .actual_access:  read_only
        .address_space:  global
        .offset:         48
        .size:           8
        .value_kind:     global_buffer
      - .actual_access:  write_only
        .address_space:  global
        .offset:         56
        .size:           8
        .value_kind:     global_buffer
      - .offset:         64
        .size:           4
        .value_kind:     hidden_block_count_x
      - .offset:         68
        .size:           4
        .value_kind:     hidden_block_count_y
      - .offset:         72
        .size:           4
        .value_kind:     hidden_block_count_z
      - .offset:         76
        .size:           2
        .value_kind:     hidden_group_size_x
      - .offset:         78
        .size:           2
        .value_kind:     hidden_group_size_y
      - .offset:         80
        .size:           2
        .value_kind:     hidden_group_size_z
      - .offset:         82
        .size:           2
        .value_kind:     hidden_remainder_x
      - .offset:         84
        .size:           2
        .value_kind:     hidden_remainder_y
      - .offset:         86
        .size:           2
        .value_kind:     hidden_remainder_z
      - .offset:         104
        .size:           8
        .value_kind:     hidden_global_offset_x
      - .offset:         112
        .size:           8
        .value_kind:     hidden_global_offset_y
      - .offset:         120
        .size:           8
        .value_kind:     hidden_global_offset_z
      - .offset:         128
        .size:           2
        .value_kind:     hidden_grid_dims
    .group_segment_fixed_size: 256
    .kernarg_segment_align: 8
    .kernarg_segment_size: 320
    .language:       OpenCL C
    .language_version:
      - 2
      - 0
    .max_flat_workgroup_size: 1024
    .name:           _ZL24rocblas_dot_kernel_magsqIlLb1ELi1024ELi32ELb0EfPKPK16rocblas_bfloat16fEviT5_lT_liPT6_PT4_
    .private_segment_fixed_size: 0
    .sgpr_count:     24
    .sgpr_spill_count: 0
    .symbol:         _ZL24rocblas_dot_kernel_magsqIlLb1ELi1024ELi32ELb0EfPKPK16rocblas_bfloat16fEviT5_lT_liPT6_PT4_.kd
    .uniform_work_group_size: 1
    .uses_dynamic_stack: false
    .vgpr_count:     10
    .vgpr_spill_count: 0
    .wavefront_size: 64
  - .agpr_count:     0
    .args:
      - .offset:         0
        .size:           4
        .value_kind:     by_value
      - .actual_access:  read_only
        .address_space:  global
        .offset:         8
        .size:           8
        .value_kind:     global_buffer
      - .offset:         16
        .size:           8
        .value_kind:     by_value
      - .offset:         24
        .size:           8
        .value_kind:     by_value
      - .actual_access:  read_only
        .address_space:  global
        .offset:         32
        .size:           8
        .value_kind:     global_buffer
      - .offset:         40
        .size:           8
        .value_kind:     by_value
      - .offset:         48
        .size:           8
        .value_kind:     by_value
      - .offset:         56
        .size:           4
        .value_kind:     by_value
      - .actual_access:  write_only
        .address_space:  global
        .offset:         64
        .size:           8
        .value_kind:     global_buffer
      - .actual_access:  write_only
        .address_space:  global
        .offset:         72
        .size:           8
        .value_kind:     global_buffer
      - .offset:         80
        .size:           4
        .value_kind:     hidden_block_count_x
      - .offset:         84
        .size:           4
        .value_kind:     hidden_block_count_y
      - .offset:         88
        .size:           4
        .value_kind:     hidden_block_count_z
      - .offset:         92
        .size:           2
        .value_kind:     hidden_group_size_x
      - .offset:         94
        .size:           2
        .value_kind:     hidden_group_size_y
      - .offset:         96
        .size:           2
        .value_kind:     hidden_group_size_z
      - .offset:         98
        .size:           2
        .value_kind:     hidden_remainder_x
      - .offset:         100
        .size:           2
        .value_kind:     hidden_remainder_y
      - .offset:         102
        .size:           2
        .value_kind:     hidden_remainder_z
      - .offset:         120
        .size:           8
        .value_kind:     hidden_global_offset_x
      - .offset:         128
        .size:           8
        .value_kind:     hidden_global_offset_y
      - .offset:         136
        .size:           8
        .value_kind:     hidden_global_offset_z
      - .offset:         144
        .size:           2
        .value_kind:     hidden_grid_dims
    .group_segment_fixed_size: 256
    .kernarg_segment_align: 8
    .kernarg_segment_size: 336
    .language:       OpenCL C
    .language_version:
      - 2
      - 0
    .max_flat_workgroup_size: 512
    .name:           _ZL23rocblas_dot_kernel_inc1ILb0ELi512ELi4ELb0EfPKPK16rocblas_bfloat16fEviT4_llS5_lliPT5_PT3_
    .private_segment_fixed_size: 0
    .sgpr_count:     32
    .sgpr_spill_count: 0
    .symbol:         _ZL23rocblas_dot_kernel_inc1ILb0ELi512ELi4ELb0EfPKPK16rocblas_bfloat16fEviT4_llS5_lliPT5_PT3_.kd
    .uniform_work_group_size: 1
    .uses_dynamic_stack: false
    .vgpr_count:     14
    .vgpr_spill_count: 0
    .wavefront_size: 64
  - .agpr_count:     0
    .args:
      - .offset:         0
        .size:           4
        .value_kind:     by_value
      - .actual_access:  read_only
        .address_space:  global
        .offset:         8
        .size:           8
        .value_kind:     global_buffer
      - .offset:         16
        .size:           8
        .value_kind:     by_value
      - .offset:         24
        .size:           8
        .value_kind:     by_value
      - .offset:         32
        .size:           8
        .value_kind:     by_value
      - .actual_access:  read_only
        .address_space:  global
        .offset:         40
        .size:           8
        .value_kind:     global_buffer
      - .offset:         48
        .size:           8
        .value_kind:     by_value
      - .offset:         56
        .size:           8
        .value_kind:     by_value
      - .offset:         64
        .size:           8
        .value_kind:     by_value
      - .offset:         72
        .size:           4
        .value_kind:     by_value
      - .actual_access:  write_only
        .address_space:  global
        .offset:         80
        .size:           8
        .value_kind:     global_buffer
      - .actual_access:  write_only
        .address_space:  global
        .offset:         88
        .size:           8
        .value_kind:     global_buffer
      - .offset:         96
        .size:           4
        .value_kind:     hidden_block_count_x
      - .offset:         100
        .size:           4
        .value_kind:     hidden_block_count_y
      - .offset:         104
        .size:           4
        .value_kind:     hidden_block_count_z
      - .offset:         108
        .size:           2
        .value_kind:     hidden_group_size_x
      - .offset:         110
        .size:           2
        .value_kind:     hidden_group_size_y
      - .offset:         112
        .size:           2
        .value_kind:     hidden_group_size_z
      - .offset:         114
        .size:           2
        .value_kind:     hidden_remainder_x
      - .offset:         116
        .size:           2
        .value_kind:     hidden_remainder_y
      - .offset:         118
        .size:           2
        .value_kind:     hidden_remainder_z
      - .offset:         136
        .size:           8
        .value_kind:     hidden_global_offset_x
      - .offset:         144
        .size:           8
        .value_kind:     hidden_global_offset_y
      - .offset:         152
        .size:           8
        .value_kind:     hidden_global_offset_z
      - .offset:         160
        .size:           2
        .value_kind:     hidden_grid_dims
    .group_segment_fixed_size: 256
    .kernarg_segment_align: 8
    .kernarg_segment_size: 352
    .language:       OpenCL C
    .language_version:
      - 2
      - 0
    .max_flat_workgroup_size: 512
    .name:           _ZL18rocblas_dot_kernelIlLb0ELi512ELi4ELb0EfPKPK16rocblas_bfloat16fEviT5_lT_lS5_lS6_liPT6_PT4_
    .private_segment_fixed_size: 0
    .sgpr_count:     30
    .sgpr_spill_count: 0
    .symbol:         _ZL18rocblas_dot_kernelIlLb0ELi512ELi4ELb0EfPKPK16rocblas_bfloat16fEviT5_lT_lS5_lS6_liPT6_PT4_.kd
    .uniform_work_group_size: 1
    .uses_dynamic_stack: false
    .vgpr_count:     11
    .vgpr_spill_count: 0
    .wavefront_size: 64
  - .agpr_count:     0
    .args:
      - .offset:         0
        .size:           4
        .value_kind:     by_value
      - .actual_access:  read_only
        .address_space:  global
        .offset:         8
        .size:           8
        .value_kind:     global_buffer
      - .offset:         16
        .size:           8
        .value_kind:     by_value
      - .offset:         24
        .size:           8
        .value_kind:     by_value
      - .offset:         32
        .size:           8
        .value_kind:     by_value
      - .offset:         40
        .size:           4
        .value_kind:     by_value
      - .actual_access:  write_only
        .address_space:  global
        .offset:         48
        .size:           8
        .value_kind:     global_buffer
      - .actual_access:  write_only
        .address_space:  global
        .offset:         56
        .size:           8
        .value_kind:     global_buffer
      - .offset:         64
        .size:           4
        .value_kind:     hidden_block_count_x
      - .offset:         68
        .size:           4
        .value_kind:     hidden_block_count_y
      - .offset:         72
        .size:           4
        .value_kind:     hidden_block_count_z
      - .offset:         76
        .size:           2
        .value_kind:     hidden_group_size_x
      - .offset:         78
        .size:           2
        .value_kind:     hidden_group_size_y
      - .offset:         80
        .size:           2
        .value_kind:     hidden_group_size_z
      - .offset:         82
        .size:           2
        .value_kind:     hidden_remainder_x
      - .offset:         84
        .size:           2
        .value_kind:     hidden_remainder_y
      - .offset:         86
        .size:           2
        .value_kind:     hidden_remainder_z
      - .offset:         104
        .size:           8
        .value_kind:     hidden_global_offset_x
      - .offset:         112
        .size:           8
        .value_kind:     hidden_global_offset_y
      - .offset:         120
        .size:           8
        .value_kind:     hidden_global_offset_z
      - .offset:         128
        .size:           2
        .value_kind:     hidden_grid_dims
    .group_segment_fixed_size: 256
    .kernarg_segment_align: 8
    .kernarg_segment_size: 320
    .language:       OpenCL C
    .language_version:
      - 2
      - 0
    .max_flat_workgroup_size: 512
    .name:           _ZL24rocblas_dot_kernel_magsqIlLb0ELi512ELi4ELb0EfPKPK16rocblas_bfloat16fEviT5_lT_liPT6_PT4_
    .private_segment_fixed_size: 0
    .sgpr_count:     28
    .sgpr_spill_count: 0
    .symbol:         _ZL24rocblas_dot_kernel_magsqIlLb0ELi512ELi4ELb0EfPKPK16rocblas_bfloat16fEviT5_lT_liPT6_PT4_.kd
    .uniform_work_group_size: 1
    .uses_dynamic_stack: false
    .vgpr_count:     9
    .vgpr_spill_count: 0
    .wavefront_size: 64
  - .agpr_count:     0
    .args:
      - .offset:         0
        .size:           4
        .value_kind:     by_value
      - .actual_access:  read_only
        .address_space:  global
        .offset:         8
        .size:           8
        .value_kind:     global_buffer
      - .offset:         16
        .size:           8
        .value_kind:     by_value
      - .offset:         24
        .size:           4
        .value_kind:     by_value
      - .offset:         32
        .size:           8
        .value_kind:     by_value
      - .actual_access:  read_only
        .address_space:  global
        .offset:         40
        .size:           8
        .value_kind:     global_buffer
      - .offset:         48
        .size:           8
        .value_kind:     by_value
      - .offset:         56
        .size:           4
        .value_kind:     by_value
      - .offset:         64
        .size:           8
        .value_kind:     by_value
      - .offset:         72
        .size:           4
        .value_kind:     by_value
      - .actual_access:  write_only
        .address_space:  global
        .offset:         80
        .size:           8
        .value_kind:     global_buffer
    .group_segment_fixed_size: 0
    .kernarg_segment_align: 8
    .kernarg_segment_size: 88
    .language:       OpenCL C
    .language_version:
      - 2
      - 0
    .max_flat_workgroup_size: 128
    .name:           _ZL28rocblas_dot_batched_4_kernelIiLi32ELi4ELb0EfDF16_PKDF16_EviT5_lT_lS2_lS3_liPT4_
    .private_segment_fixed_size: 0
    .sgpr_count:     28
    .sgpr_spill_count: 0
    .symbol:         _ZL28rocblas_dot_batched_4_kernelIiLi32ELi4ELb0EfDF16_PKDF16_EviT5_lT_lS2_lS3_liPT4_.kd
    .uniform_work_group_size: 1
    .uses_dynamic_stack: false
    .vgpr_count:     13
    .vgpr_spill_count: 0
    .wavefront_size: 64
  - .agpr_count:     0
    .args:
      - .offset:         0
        .size:           4
        .value_kind:     by_value
      - .actual_access:  read_only
        .address_space:  global
        .offset:         8
        .size:           8
        .value_kind:     global_buffer
      - .offset:         16
        .size:           8
        .value_kind:     by_value
      - .offset:         24
        .size:           4
        .value_kind:     by_value
      - .offset:         32
        .size:           8
        .value_kind:     by_value
      - .actual_access:  read_only
        .address_space:  global
        .offset:         40
        .size:           8
        .value_kind:     global_buffer
      - .offset:         48
        .size:           8
        .value_kind:     by_value
      - .offset:         56
        .size:           4
        .value_kind:     by_value
      - .offset:         64
        .size:           8
        .value_kind:     by_value
      - .offset:         72
        .size:           4
        .value_kind:     by_value
      - .actual_access:  write_only
        .address_space:  global
        .offset:         80
        .size:           8
        .value_kind:     global_buffer
    .group_segment_fixed_size: 0
    .kernarg_segment_align: 8
    .kernarg_segment_size: 88
    .language:       OpenCL C
    .language_version:
      - 2
      - 0
    .max_flat_workgroup_size: 256
    .name:           _ZL28rocblas_dot_batched_4_kernelIiLi64ELi4ELb0EfDF16_PKDF16_EviT5_lT_lS2_lS3_liPT4_
    .private_segment_fixed_size: 0
    .sgpr_count:     28
    .sgpr_spill_count: 0
    .symbol:         _ZL28rocblas_dot_batched_4_kernelIiLi64ELi4ELb0EfDF16_PKDF16_EviT5_lT_lS2_lS3_liPT4_.kd
    .uniform_work_group_size: 1
    .uses_dynamic_stack: false
    .vgpr_count:     13
    .vgpr_spill_count: 0
    .wavefront_size: 64
  - .agpr_count:     0
    .args:
      - .offset:         0
        .size:           4
        .value_kind:     by_value
      - .actual_access:  read_only
        .address_space:  global
        .offset:         8
        .size:           8
        .value_kind:     global_buffer
      - .offset:         16
        .size:           8
        .value_kind:     by_value
      - .offset:         24
        .size:           8
        .value_kind:     by_value
      - .actual_access:  read_only
        .address_space:  global
        .offset:         32
        .size:           8
        .value_kind:     global_buffer
      - .offset:         40
        .size:           8
        .value_kind:     by_value
      - .offset:         48
        .size:           8
        .value_kind:     by_value
      - .offset:         56
        .size:           4
        .value_kind:     by_value
      - .actual_access:  read_only
        .address_space:  global
        .offset:         64
        .size:           8
        .value_kind:     global_buffer
      - .actual_access:  write_only
        .address_space:  global
        .offset:         72
        .size:           8
        .value_kind:     global_buffer
    .group_segment_fixed_size: 256
    .kernarg_segment_align: 8
    .kernarg_segment_size: 80
    .language:       OpenCL C
    .language_version:
      - 2
      - 0
    .max_flat_workgroup_size: 1024
    .name:           _ZL26rocblas_dot_kernel_inc1by2ILb1ELi1024ELi32ELb0EDF16_PKDF16_fEviT4_llS2_lliPT5_PT3_
    .private_segment_fixed_size: 0
    .sgpr_count:     32
    .sgpr_spill_count: 0
    .symbol:         _ZL26rocblas_dot_kernel_inc1by2ILb1ELi1024ELi32ELb0EDF16_PKDF16_fEviT4_llS2_lliPT5_PT3_.kd
    .uniform_work_group_size: 1
    .uses_dynamic_stack: false
    .vgpr_count:     12
    .vgpr_spill_count: 0
    .wavefront_size: 64
  - .agpr_count:     0
    .args:
      - .offset:         0
        .size:           4
        .value_kind:     by_value
      - .actual_access:  read_only
        .address_space:  global
        .offset:         8
        .size:           8
        .value_kind:     global_buffer
      - .offset:         16
        .size:           8
        .value_kind:     by_value
      - .offset:         24
        .size:           4
        .value_kind:     by_value
      - .offset:         32
        .size:           8
        .value_kind:     by_value
      - .actual_access:  read_only
        .address_space:  global
        .offset:         40
        .size:           8
        .value_kind:     global_buffer
      - .offset:         48
        .size:           8
        .value_kind:     by_value
      - .offset:         56
        .size:           4
        .value_kind:     by_value
      - .offset:         64
        .size:           8
        .value_kind:     by_value
      - .offset:         72
        .size:           4
        .value_kind:     by_value
      - .actual_access:  read_only
        .address_space:  global
        .offset:         80
        .size:           8
        .value_kind:     global_buffer
      - .actual_access:  write_only
        .address_space:  global
        .offset:         88
        .size:           8
        .value_kind:     global_buffer
      - .offset:         96
        .size:           4
        .value_kind:     hidden_block_count_x
      - .offset:         100
        .size:           4
        .value_kind:     hidden_block_count_y
      - .offset:         104
        .size:           4
        .value_kind:     hidden_block_count_z
      - .offset:         108
        .size:           2
        .value_kind:     hidden_group_size_x
      - .offset:         110
        .size:           2
        .value_kind:     hidden_group_size_y
      - .offset:         112
        .size:           2
        .value_kind:     hidden_group_size_z
      - .offset:         114
        .size:           2
        .value_kind:     hidden_remainder_x
      - .offset:         116
        .size:           2
        .value_kind:     hidden_remainder_y
      - .offset:         118
        .size:           2
        .value_kind:     hidden_remainder_z
      - .offset:         136
        .size:           8
        .value_kind:     hidden_global_offset_x
      - .offset:         144
        .size:           8
        .value_kind:     hidden_global_offset_y
      - .offset:         152
        .size:           8
        .value_kind:     hidden_global_offset_z
      - .offset:         160
        .size:           2
        .value_kind:     hidden_grid_dims
    .group_segment_fixed_size: 256
    .kernarg_segment_align: 8
    .kernarg_segment_size: 352
    .language:       OpenCL C
    .language_version:
      - 2
      - 0
    .max_flat_workgroup_size: 1024
    .name:           _ZL18rocblas_dot_kernelIiLb1ELi1024ELi32ELb0EDF16_PKDF16_fEviT5_lT_lS2_lS3_liPT6_PT4_
    .private_segment_fixed_size: 0
    .sgpr_count:     28
    .sgpr_spill_count: 0
    .symbol:         _ZL18rocblas_dot_kernelIiLb1ELi1024ELi32ELb0EDF16_PKDF16_fEviT5_lT_lS2_lS3_liPT6_PT4_.kd
    .uniform_work_group_size: 1
    .uses_dynamic_stack: false
    .vgpr_count:     11
    .vgpr_spill_count: 0
    .wavefront_size: 64
  - .agpr_count:     0
    .args:
      - .offset:         0
        .size:           4
        .value_kind:     by_value
      - .actual_access:  read_only
        .address_space:  global
        .offset:         8
        .size:           8
        .value_kind:     global_buffer
      - .offset:         16
        .size:           8
        .value_kind:     by_value
      - .offset:         24
        .size:           4
        .value_kind:     by_value
      - .offset:         32
        .size:           8
        .value_kind:     by_value
      - .offset:         40
        .size:           4
        .value_kind:     by_value
      - .actual_access:  read_only
        .address_space:  global
        .offset:         48
        .size:           8
        .value_kind:     global_buffer
      - .actual_access:  write_only
        .address_space:  global
        .offset:         56
        .size:           8
        .value_kind:     global_buffer
      - .offset:         64
        .size:           4
        .value_kind:     hidden_block_count_x
      - .offset:         68
        .size:           4
        .value_kind:     hidden_block_count_y
      - .offset:         72
        .size:           4
        .value_kind:     hidden_block_count_z
      - .offset:         76
        .size:           2
        .value_kind:     hidden_group_size_x
      - .offset:         78
        .size:           2
        .value_kind:     hidden_group_size_y
      - .offset:         80
        .size:           2
        .value_kind:     hidden_group_size_z
      - .offset:         82
        .size:           2
        .value_kind:     hidden_remainder_x
      - .offset:         84
        .size:           2
        .value_kind:     hidden_remainder_y
      - .offset:         86
        .size:           2
        .value_kind:     hidden_remainder_z
      - .offset:         104
        .size:           8
        .value_kind:     hidden_global_offset_x
      - .offset:         112
        .size:           8
        .value_kind:     hidden_global_offset_y
      - .offset:         120
        .size:           8
        .value_kind:     hidden_global_offset_z
      - .offset:         128
        .size:           2
        .value_kind:     hidden_grid_dims
    .group_segment_fixed_size: 256
    .kernarg_segment_align: 8
    .kernarg_segment_size: 320
    .language:       OpenCL C
    .language_version:
      - 2
      - 0
    .max_flat_workgroup_size: 1024
    .name:           _ZL24rocblas_dot_kernel_magsqIiLb1ELi1024ELi32ELb0EDF16_PKDF16_fEviT5_lT_liPT6_PT4_
    .private_segment_fixed_size: 0
    .sgpr_count:     24
    .sgpr_spill_count: 0
    .symbol:         _ZL24rocblas_dot_kernel_magsqIiLb1ELi1024ELi32ELb0EDF16_PKDF16_fEviT5_lT_liPT6_PT4_.kd
    .uniform_work_group_size: 1
    .uses_dynamic_stack: false
    .vgpr_count:     10
    .vgpr_spill_count: 0
    .wavefront_size: 64
  - .agpr_count:     0
    .args:
      - .offset:         0
        .size:           4
        .value_kind:     by_value
      - .actual_access:  read_only
        .address_space:  global
        .offset:         8
        .size:           8
        .value_kind:     global_buffer
      - .offset:         16
        .size:           8
        .value_kind:     by_value
      - .offset:         24
        .size:           4
        .value_kind:     by_value
      - .offset:         32
        .size:           8
        .value_kind:     by_value
      - .actual_access:  read_only
        .address_space:  global
        .offset:         40
        .size:           8
        .value_kind:     global_buffer
      - .offset:         48
        .size:           8
        .value_kind:     by_value
      - .offset:         56
        .size:           4
        .value_kind:     by_value
      - .offset:         64
        .size:           8
        .value_kind:     by_value
      - .actual_access:  read_only
        .address_space:  global
        .offset:         72
        .size:           8
        .value_kind:     global_buffer
      - .actual_access:  read_only
        .address_space:  global
        .offset:         80
        .size:           8
        .value_kind:     global_buffer
    .group_segment_fixed_size: 0
    .kernarg_segment_align: 8
    .kernarg_segment_size: 88
    .language:       OpenCL C
    .language_version:
      - 2
      - 0
    .max_flat_workgroup_size: 1024
    .name:           _ZL38rocblas_dot_kernel_gfx942_float_doubleIiLi1024EDF16_PKDF16_fEviT2_lT_lS2_lS3_lPT3_PT1_
    .private_segment_fixed_size: 0
    .sgpr_count:     4
    .sgpr_spill_count: 0
    .symbol:         _ZL38rocblas_dot_kernel_gfx942_float_doubleIiLi1024EDF16_PKDF16_fEviT2_lT_lS2_lS3_lPT3_PT1_.kd
    .uniform_work_group_size: 1
    .uses_dynamic_stack: false
    .vgpr_count:     0
    .vgpr_spill_count: 0
    .wavefront_size: 64
  - .agpr_count:     0
    .args:
      - .offset:         0
        .size:           4
        .value_kind:     by_value
      - .actual_access:  read_only
        .address_space:  global
        .offset:         8
        .size:           8
        .value_kind:     global_buffer
      - .actual_access:  write_only
        .address_space:  global
        .offset:         16
        .size:           8
        .value_kind:     global_buffer
    .group_segment_fixed_size: 256
    .kernarg_segment_align: 8
    .kernarg_segment_size: 24
    .language:       OpenCL C
    .language_version:
      - 2
      - 0
    .max_flat_workgroup_size: 1024
    .name:           _ZL30rocblas_reduction_kernel_part2ILi1024ELi4E25rocblas_finalize_identityfDF16_EviPT2_PT3_
    .private_segment_fixed_size: 0
    .sgpr_count:     18
    .sgpr_spill_count: 0
    .symbol:         _ZL30rocblas_reduction_kernel_part2ILi1024ELi4E25rocblas_finalize_identityfDF16_EviPT2_PT3_.kd
    .uniform_work_group_size: 1
    .uses_dynamic_stack: false
    .vgpr_count:     10
    .vgpr_spill_count: 0
    .wavefront_size: 64
  - .agpr_count:     0
    .args:
      - .offset:         0
        .size:           4
        .value_kind:     by_value
      - .actual_access:  read_only
        .address_space:  global
        .offset:         8
        .size:           8
        .value_kind:     global_buffer
      - .offset:         16
        .size:           8
        .value_kind:     by_value
      - .offset:         24
        .size:           8
        .value_kind:     by_value
      - .actual_access:  read_only
        .address_space:  global
        .offset:         32
        .size:           8
        .value_kind:     global_buffer
      - .offset:         40
        .size:           8
        .value_kind:     by_value
      - .offset:         48
        .size:           8
        .value_kind:     by_value
      - .offset:         56
        .size:           4
        .value_kind:     by_value
      - .actual_access:  write_only
        .address_space:  global
        .offset:         64
        .size:           8
        .value_kind:     global_buffer
      - .actual_access:  write_only
        .address_space:  global
        .offset:         72
        .size:           8
        .value_kind:     global_buffer
      - .offset:         80
        .size:           4
        .value_kind:     hidden_block_count_x
      - .offset:         84
        .size:           4
        .value_kind:     hidden_block_count_y
      - .offset:         88
        .size:           4
        .value_kind:     hidden_block_count_z
      - .offset:         92
        .size:           2
        .value_kind:     hidden_group_size_x
      - .offset:         94
        .size:           2
        .value_kind:     hidden_group_size_y
      - .offset:         96
        .size:           2
        .value_kind:     hidden_group_size_z
      - .offset:         98
        .size:           2
        .value_kind:     hidden_remainder_x
      - .offset:         100
        .size:           2
        .value_kind:     hidden_remainder_y
      - .offset:         102
        .size:           2
        .value_kind:     hidden_remainder_z
      - .offset:         120
        .size:           8
        .value_kind:     hidden_global_offset_x
      - .offset:         128
        .size:           8
        .value_kind:     hidden_global_offset_y
      - .offset:         136
        .size:           8
        .value_kind:     hidden_global_offset_z
      - .offset:         144
        .size:           2
        .value_kind:     hidden_grid_dims
    .group_segment_fixed_size: 256
    .kernarg_segment_align: 8
    .kernarg_segment_size: 336
    .language:       OpenCL C
    .language_version:
      - 2
      - 0
    .max_flat_workgroup_size: 512
    .name:           _ZL23rocblas_dot_kernel_inc1ILb0ELi512ELi8ELb0EDF16_PKDF16_fEviT4_llS2_lliPT5_PT3_
    .private_segment_fixed_size: 0
    .sgpr_count:     32
    .sgpr_spill_count: 0
    .symbol:         _ZL23rocblas_dot_kernel_inc1ILb0ELi512ELi8ELb0EDF16_PKDF16_fEviT4_llS2_lliPT5_PT3_.kd
    .uniform_work_group_size: 1
    .uses_dynamic_stack: false
    .vgpr_count:     14
    .vgpr_spill_count: 0
    .wavefront_size: 64
  - .agpr_count:     0
    .args:
      - .offset:         0
        .size:           4
        .value_kind:     by_value
      - .actual_access:  read_only
        .address_space:  global
        .offset:         8
        .size:           8
        .value_kind:     global_buffer
      - .offset:         16
        .size:           8
        .value_kind:     by_value
      - .offset:         24
        .size:           4
        .value_kind:     by_value
      - .offset:         32
        .size:           8
        .value_kind:     by_value
      - .actual_access:  read_only
        .address_space:  global
        .offset:         40
        .size:           8
        .value_kind:     global_buffer
      - .offset:         48
        .size:           8
        .value_kind:     by_value
      - .offset:         56
        .size:           4
        .value_kind:     by_value
      - .offset:         64
        .size:           8
        .value_kind:     by_value
      - .offset:         72
        .size:           4
        .value_kind:     by_value
      - .actual_access:  write_only
        .address_space:  global
        .offset:         80
        .size:           8
        .value_kind:     global_buffer
      - .actual_access:  write_only
        .address_space:  global
        .offset:         88
        .size:           8
        .value_kind:     global_buffer
      - .offset:         96
        .size:           4
        .value_kind:     hidden_block_count_x
      - .offset:         100
        .size:           4
        .value_kind:     hidden_block_count_y
      - .offset:         104
        .size:           4
        .value_kind:     hidden_block_count_z
      - .offset:         108
        .size:           2
        .value_kind:     hidden_group_size_x
      - .offset:         110
        .size:           2
        .value_kind:     hidden_group_size_y
      - .offset:         112
        .size:           2
        .value_kind:     hidden_group_size_z
      - .offset:         114
        .size:           2
        .value_kind:     hidden_remainder_x
      - .offset:         116
        .size:           2
        .value_kind:     hidden_remainder_y
      - .offset:         118
        .size:           2
        .value_kind:     hidden_remainder_z
      - .offset:         136
        .size:           8
        .value_kind:     hidden_global_offset_x
      - .offset:         144
        .size:           8
        .value_kind:     hidden_global_offset_y
      - .offset:         152
        .size:           8
        .value_kind:     hidden_global_offset_z
      - .offset:         160
        .size:           2
        .value_kind:     hidden_grid_dims
    .group_segment_fixed_size: 256
    .kernarg_segment_align: 8
    .kernarg_segment_size: 352
    .language:       OpenCL C
    .language_version:
      - 2
      - 0
    .max_flat_workgroup_size: 512
    .name:           _ZL18rocblas_dot_kernelIiLb0ELi512ELi8ELb0EDF16_PKDF16_fEviT5_lT_lS2_lS3_liPT6_PT4_
    .private_segment_fixed_size: 0
    .sgpr_count:     32
    .sgpr_spill_count: 0
    .symbol:         _ZL18rocblas_dot_kernelIiLb0ELi512ELi8ELb0EDF16_PKDF16_fEviT5_lT_lS2_lS3_liPT6_PT4_.kd
    .uniform_work_group_size: 1
    .uses_dynamic_stack: false
    .vgpr_count:     11
    .vgpr_spill_count: 0
    .wavefront_size: 64
  - .agpr_count:     0
    .args:
      - .offset:         0
        .size:           4
        .value_kind:     by_value
      - .actual_access:  read_only
        .address_space:  global
        .offset:         8
        .size:           8
        .value_kind:     global_buffer
      - .offset:         16
        .size:           8
        .value_kind:     by_value
      - .offset:         24
        .size:           4
        .value_kind:     by_value
      - .offset:         32
        .size:           8
        .value_kind:     by_value
      - .offset:         40
        .size:           4
        .value_kind:     by_value
      - .actual_access:  write_only
        .address_space:  global
        .offset:         48
        .size:           8
        .value_kind:     global_buffer
      - .actual_access:  write_only
        .address_space:  global
        .offset:         56
        .size:           8
        .value_kind:     global_buffer
      - .offset:         64
        .size:           4
        .value_kind:     hidden_block_count_x
      - .offset:         68
        .size:           4
        .value_kind:     hidden_block_count_y
      - .offset:         72
        .size:           4
        .value_kind:     hidden_block_count_z
      - .offset:         76
        .size:           2
        .value_kind:     hidden_group_size_x
      - .offset:         78
        .size:           2
        .value_kind:     hidden_group_size_y
      - .offset:         80
        .size:           2
        .value_kind:     hidden_group_size_z
      - .offset:         82
        .size:           2
        .value_kind:     hidden_remainder_x
      - .offset:         84
        .size:           2
        .value_kind:     hidden_remainder_y
      - .offset:         86
        .size:           2
        .value_kind:     hidden_remainder_z
      - .offset:         104
        .size:           8
        .value_kind:     hidden_global_offset_x
      - .offset:         112
        .size:           8
        .value_kind:     hidden_global_offset_y
      - .offset:         120
        .size:           8
        .value_kind:     hidden_global_offset_z
      - .offset:         128
        .size:           2
        .value_kind:     hidden_grid_dims
    .group_segment_fixed_size: 256
    .kernarg_segment_align: 8
    .kernarg_segment_size: 320
    .language:       OpenCL C
    .language_version:
      - 2
      - 0
    .max_flat_workgroup_size: 512
    .name:           _ZL24rocblas_dot_kernel_magsqIiLb0ELi512ELi8ELb0EDF16_PKDF16_fEviT5_lT_liPT6_PT4_
    .private_segment_fixed_size: 0
    .sgpr_count:     28
    .sgpr_spill_count: 0
    .symbol:         _ZL24rocblas_dot_kernel_magsqIiLb0ELi512ELi8ELb0EDF16_PKDF16_fEviT5_lT_liPT6_PT4_.kd
    .uniform_work_group_size: 1
    .uses_dynamic_stack: false
    .vgpr_count:     9
    .vgpr_spill_count: 0
    .wavefront_size: 64
  - .agpr_count:     0
    .args:
      - .offset:         0
        .size:           4
        .value_kind:     by_value
      - .actual_access:  read_only
        .address_space:  global
        .offset:         8
        .size:           8
        .value_kind:     global_buffer
      - .offset:         16
        .size:           8
        .value_kind:     by_value
      - .offset:         24
        .size:           4
        .value_kind:     by_value
      - .offset:         32
        .size:           8
        .value_kind:     by_value
      - .actual_access:  read_only
        .address_space:  global
        .offset:         40
        .size:           8
        .value_kind:     global_buffer
      - .offset:         48
        .size:           8
        .value_kind:     by_value
      - .offset:         56
        .size:           4
        .value_kind:     by_value
      - .offset:         64
        .size:           8
        .value_kind:     by_value
      - .offset:         72
        .size:           4
        .value_kind:     by_value
      - .actual_access:  write_only
        .address_space:  global
        .offset:         80
        .size:           8
        .value_kind:     global_buffer
    .group_segment_fixed_size: 0
    .kernarg_segment_align: 8
    .kernarg_segment_size: 88
    .language:       OpenCL C
    .language_version:
      - 2
      - 0
    .max_flat_workgroup_size: 128
    .name:           _ZL28rocblas_dot_batched_4_kernelIiLi32ELi4ELb0EffPKDF16_EviT5_lT_lS2_lS3_liPT4_
    .private_segment_fixed_size: 0
    .sgpr_count:     28
    .sgpr_spill_count: 0
    .symbol:         _ZL28rocblas_dot_batched_4_kernelIiLi32ELi4ELb0EffPKDF16_EviT5_lT_lS2_lS3_liPT4_.kd
    .uniform_work_group_size: 1
    .uses_dynamic_stack: false
    .vgpr_count:     13
    .vgpr_spill_count: 0
    .wavefront_size: 64
  - .agpr_count:     0
    .args:
      - .offset:         0
        .size:           4
        .value_kind:     by_value
      - .actual_access:  read_only
        .address_space:  global
        .offset:         8
        .size:           8
        .value_kind:     global_buffer
      - .offset:         16
        .size:           8
        .value_kind:     by_value
      - .offset:         24
        .size:           4
        .value_kind:     by_value
      - .offset:         32
        .size:           8
        .value_kind:     by_value
      - .actual_access:  read_only
        .address_space:  global
        .offset:         40
        .size:           8
        .value_kind:     global_buffer
      - .offset:         48
        .size:           8
        .value_kind:     by_value
      - .offset:         56
        .size:           4
        .value_kind:     by_value
      - .offset:         64
        .size:           8
        .value_kind:     by_value
      - .offset:         72
        .size:           4
        .value_kind:     by_value
      - .actual_access:  write_only
        .address_space:  global
        .offset:         80
        .size:           8
        .value_kind:     global_buffer
    .group_segment_fixed_size: 0
    .kernarg_segment_align: 8
    .kernarg_segment_size: 88
    .language:       OpenCL C
    .language_version:
      - 2
      - 0
    .max_flat_workgroup_size: 256
    .name:           _ZL28rocblas_dot_batched_4_kernelIiLi64ELi4ELb0EffPKDF16_EviT5_lT_lS2_lS3_liPT4_
    .private_segment_fixed_size: 0
    .sgpr_count:     28
    .sgpr_spill_count: 0
    .symbol:         _ZL28rocblas_dot_batched_4_kernelIiLi64ELi4ELb0EffPKDF16_EviT5_lT_lS2_lS3_liPT4_.kd
    .uniform_work_group_size: 1
    .uses_dynamic_stack: false
    .vgpr_count:     13
    .vgpr_spill_count: 0
    .wavefront_size: 64
  - .agpr_count:     0
    .args:
      - .offset:         0
        .size:           4
        .value_kind:     by_value
      - .actual_access:  read_only
        .address_space:  global
        .offset:         8
        .size:           8
        .value_kind:     global_buffer
      - .offset:         16
        .size:           8
        .value_kind:     by_value
      - .offset:         24
        .size:           4
        .value_kind:     by_value
      - .offset:         32
        .size:           8
        .value_kind:     by_value
      - .actual_access:  read_only
        .address_space:  global
        .offset:         40
        .size:           8
        .value_kind:     global_buffer
      - .offset:         48
        .size:           8
        .value_kind:     by_value
      - .offset:         56
        .size:           4
        .value_kind:     by_value
      - .offset:         64
        .size:           8
        .value_kind:     by_value
      - .offset:         72
        .size:           4
        .value_kind:     by_value
      - .actual_access:  read_only
        .address_space:  global
        .offset:         80
        .size:           8
        .value_kind:     global_buffer
      - .actual_access:  write_only
        .address_space:  global
        .offset:         88
        .size:           8
        .value_kind:     global_buffer
      - .offset:         96
        .size:           4
        .value_kind:     hidden_block_count_x
      - .offset:         100
        .size:           4
        .value_kind:     hidden_block_count_y
      - .offset:         104
        .size:           4
        .value_kind:     hidden_block_count_z
      - .offset:         108
        .size:           2
        .value_kind:     hidden_group_size_x
      - .offset:         110
        .size:           2
        .value_kind:     hidden_group_size_y
      - .offset:         112
        .size:           2
        .value_kind:     hidden_group_size_z
      - .offset:         114
        .size:           2
        .value_kind:     hidden_remainder_x
      - .offset:         116
        .size:           2
        .value_kind:     hidden_remainder_y
      - .offset:         118
        .size:           2
        .value_kind:     hidden_remainder_z
      - .offset:         136
        .size:           8
        .value_kind:     hidden_global_offset_x
      - .offset:         144
        .size:           8
        .value_kind:     hidden_global_offset_y
      - .offset:         152
        .size:           8
        .value_kind:     hidden_global_offset_z
      - .offset:         160
        .size:           2
        .value_kind:     hidden_grid_dims
    .group_segment_fixed_size: 256
    .kernarg_segment_align: 8
    .kernarg_segment_size: 352
    .language:       OpenCL C
    .language_version:
      - 2
      - 0
    .max_flat_workgroup_size: 1024
    .name:           _ZL18rocblas_dot_kernelIiLb1ELi1024ELi32ELb0EfPKDF16_fEviT5_lT_lS2_lS3_liPT6_PT4_
    .private_segment_fixed_size: 0
    .sgpr_count:     28
    .sgpr_spill_count: 0
    .symbol:         _ZL18rocblas_dot_kernelIiLb1ELi1024ELi32ELb0EfPKDF16_fEviT5_lT_lS2_lS3_liPT6_PT4_.kd
    .uniform_work_group_size: 1
    .uses_dynamic_stack: false
    .vgpr_count:     11
    .vgpr_spill_count: 0
    .wavefront_size: 64
  - .agpr_count:     0
    .args:
      - .offset:         0
        .size:           4
        .value_kind:     by_value
      - .actual_access:  read_only
        .address_space:  global
        .offset:         8
        .size:           8
        .value_kind:     global_buffer
      - .offset:         16
        .size:           8
        .value_kind:     by_value
      - .offset:         24
        .size:           4
        .value_kind:     by_value
      - .offset:         32
        .size:           8
        .value_kind:     by_value
      - .offset:         40
        .size:           4
        .value_kind:     by_value
      - .actual_access:  read_only
        .address_space:  global
        .offset:         48
        .size:           8
        .value_kind:     global_buffer
      - .actual_access:  write_only
        .address_space:  global
        .offset:         56
        .size:           8
        .value_kind:     global_buffer
      - .offset:         64
        .size:           4
        .value_kind:     hidden_block_count_x
      - .offset:         68
        .size:           4
        .value_kind:     hidden_block_count_y
      - .offset:         72
        .size:           4
        .value_kind:     hidden_block_count_z
      - .offset:         76
        .size:           2
        .value_kind:     hidden_group_size_x
      - .offset:         78
        .size:           2
        .value_kind:     hidden_group_size_y
      - .offset:         80
        .size:           2
        .value_kind:     hidden_group_size_z
      - .offset:         82
        .size:           2
        .value_kind:     hidden_remainder_x
      - .offset:         84
        .size:           2
        .value_kind:     hidden_remainder_y
      - .offset:         86
        .size:           2
        .value_kind:     hidden_remainder_z
      - .offset:         104
        .size:           8
        .value_kind:     hidden_global_offset_x
      - .offset:         112
        .size:           8
        .value_kind:     hidden_global_offset_y
      - .offset:         120
        .size:           8
        .value_kind:     hidden_global_offset_z
      - .offset:         128
        .size:           2
        .value_kind:     hidden_grid_dims
    .group_segment_fixed_size: 256
    .kernarg_segment_align: 8
    .kernarg_segment_size: 320
    .language:       OpenCL C
    .language_version:
      - 2
      - 0
    .max_flat_workgroup_size: 1024
    .name:           _ZL24rocblas_dot_kernel_magsqIiLb1ELi1024ELi32ELb0EfPKDF16_fEviT5_lT_liPT6_PT4_
    .private_segment_fixed_size: 0
    .sgpr_count:     24
    .sgpr_spill_count: 0
    .symbol:         _ZL24rocblas_dot_kernel_magsqIiLb1ELi1024ELi32ELb0EfPKDF16_fEviT5_lT_liPT6_PT4_.kd
    .uniform_work_group_size: 1
    .uses_dynamic_stack: false
    .vgpr_count:     10
    .vgpr_spill_count: 0
    .wavefront_size: 64
  - .agpr_count:     0
    .args:
      - .offset:         0
        .size:           4
        .value_kind:     by_value
      - .actual_access:  read_only
        .address_space:  global
        .offset:         8
        .size:           8
        .value_kind:     global_buffer
      - .offset:         16
        .size:           8
        .value_kind:     by_value
      - .offset:         24
        .size:           4
        .value_kind:     by_value
      - .offset:         32
        .size:           8
        .value_kind:     by_value
      - .actual_access:  read_only
        .address_space:  global
        .offset:         40
        .size:           8
        .value_kind:     global_buffer
      - .offset:         48
        .size:           8
        .value_kind:     by_value
      - .offset:         56
        .size:           4
        .value_kind:     by_value
      - .offset:         64
        .size:           8
        .value_kind:     by_value
      - .actual_access:  read_only
        .address_space:  global
        .offset:         72
        .size:           8
        .value_kind:     global_buffer
      - .actual_access:  read_only
        .address_space:  global
        .offset:         80
        .size:           8
        .value_kind:     global_buffer
    .group_segment_fixed_size: 0
    .kernarg_segment_align: 8
    .kernarg_segment_size: 88
    .language:       OpenCL C
    .language_version:
      - 2
      - 0
    .max_flat_workgroup_size: 1024
    .name:           _ZL38rocblas_dot_kernel_gfx942_float_doubleIiLi1024EfPKDF16_fEviT2_lT_lS2_lS3_lPT3_PT1_
    .private_segment_fixed_size: 0
    .sgpr_count:     4
    .sgpr_spill_count: 0
    .symbol:         _ZL38rocblas_dot_kernel_gfx942_float_doubleIiLi1024EfPKDF16_fEviT2_lT_lS2_lS3_lPT3_PT1_.kd
    .uniform_work_group_size: 1
    .uses_dynamic_stack: false
    .vgpr_count:     0
    .vgpr_spill_count: 0
    .wavefront_size: 64
  - .agpr_count:     0
    .args:
      - .offset:         0
        .size:           4
        .value_kind:     by_value
      - .actual_access:  read_only
        .address_space:  global
        .offset:         8
        .size:           8
        .value_kind:     global_buffer
      - .offset:         16
        .size:           8
        .value_kind:     by_value
      - .offset:         24
        .size:           4
        .value_kind:     by_value
      - .offset:         32
        .size:           8
        .value_kind:     by_value
      - .actual_access:  read_only
        .address_space:  global
        .offset:         40
        .size:           8
        .value_kind:     global_buffer
      - .offset:         48
        .size:           8
        .value_kind:     by_value
      - .offset:         56
        .size:           4
        .value_kind:     by_value
      - .offset:         64
        .size:           8
        .value_kind:     by_value
      - .offset:         72
        .size:           4
        .value_kind:     by_value
      - .actual_access:  write_only
        .address_space:  global
        .offset:         80
        .size:           8
        .value_kind:     global_buffer
      - .actual_access:  write_only
        .address_space:  global
        .offset:         88
        .size:           8
        .value_kind:     global_buffer
      - .offset:         96
        .size:           4
        .value_kind:     hidden_block_count_x
      - .offset:         100
        .size:           4
        .value_kind:     hidden_block_count_y
      - .offset:         104
        .size:           4
        .value_kind:     hidden_block_count_z
      - .offset:         108
        .size:           2
        .value_kind:     hidden_group_size_x
      - .offset:         110
        .size:           2
        .value_kind:     hidden_group_size_y
      - .offset:         112
        .size:           2
        .value_kind:     hidden_group_size_z
      - .offset:         114
        .size:           2
        .value_kind:     hidden_remainder_x
      - .offset:         116
        .size:           2
        .value_kind:     hidden_remainder_y
      - .offset:         118
        .size:           2
        .value_kind:     hidden_remainder_z
      - .offset:         136
        .size:           8
        .value_kind:     hidden_global_offset_x
      - .offset:         144
        .size:           8
        .value_kind:     hidden_global_offset_y
      - .offset:         152
        .size:           8
        .value_kind:     hidden_global_offset_z
      - .offset:         160
        .size:           2
        .value_kind:     hidden_grid_dims
    .group_segment_fixed_size: 256
    .kernarg_segment_align: 8
    .kernarg_segment_size: 352
    .language:       OpenCL C
    .language_version:
      - 2
      - 0
    .max_flat_workgroup_size: 512
    .name:           _ZL18rocblas_dot_kernelIiLb0ELi512ELi4ELb0EfPKDF16_fEviT5_lT_lS2_lS3_liPT6_PT4_
    .private_segment_fixed_size: 0
    .sgpr_count:     32
    .sgpr_spill_count: 0
    .symbol:         _ZL18rocblas_dot_kernelIiLb0ELi512ELi4ELb0EfPKDF16_fEviT5_lT_lS2_lS3_liPT6_PT4_.kd
    .uniform_work_group_size: 1
    .uses_dynamic_stack: false
    .vgpr_count:     11
    .vgpr_spill_count: 0
    .wavefront_size: 64
  - .agpr_count:     0
    .args:
      - .offset:         0
        .size:           4
        .value_kind:     by_value
      - .actual_access:  read_only
        .address_space:  global
        .offset:         8
        .size:           8
        .value_kind:     global_buffer
      - .offset:         16
        .size:           8
        .value_kind:     by_value
      - .offset:         24
        .size:           4
        .value_kind:     by_value
      - .offset:         32
        .size:           8
        .value_kind:     by_value
      - .offset:         40
        .size:           4
        .value_kind:     by_value
      - .actual_access:  write_only
        .address_space:  global
        .offset:         48
        .size:           8
        .value_kind:     global_buffer
      - .actual_access:  write_only
        .address_space:  global
        .offset:         56
        .size:           8
        .value_kind:     global_buffer
      - .offset:         64
        .size:           4
        .value_kind:     hidden_block_count_x
      - .offset:         68
        .size:           4
        .value_kind:     hidden_block_count_y
      - .offset:         72
        .size:           4
        .value_kind:     hidden_block_count_z
      - .offset:         76
        .size:           2
        .value_kind:     hidden_group_size_x
      - .offset:         78
        .size:           2
        .value_kind:     hidden_group_size_y
      - .offset:         80
        .size:           2
        .value_kind:     hidden_group_size_z
      - .offset:         82
        .size:           2
        .value_kind:     hidden_remainder_x
      - .offset:         84
        .size:           2
        .value_kind:     hidden_remainder_y
      - .offset:         86
        .size:           2
        .value_kind:     hidden_remainder_z
      - .offset:         104
        .size:           8
        .value_kind:     hidden_global_offset_x
      - .offset:         112
        .size:           8
        .value_kind:     hidden_global_offset_y
      - .offset:         120
        .size:           8
        .value_kind:     hidden_global_offset_z
      - .offset:         128
        .size:           2
        .value_kind:     hidden_grid_dims
    .group_segment_fixed_size: 256
    .kernarg_segment_align: 8
    .kernarg_segment_size: 320
    .language:       OpenCL C
    .language_version:
      - 2
      - 0
    .max_flat_workgroup_size: 512
    .name:           _ZL24rocblas_dot_kernel_magsqIiLb0ELi512ELi4ELb0EfPKDF16_fEviT5_lT_liPT6_PT4_
    .private_segment_fixed_size: 0
    .sgpr_count:     28
    .sgpr_spill_count: 0
    .symbol:         _ZL24rocblas_dot_kernel_magsqIiLb0ELi512ELi4ELb0EfPKDF16_fEviT5_lT_liPT6_PT4_.kd
    .uniform_work_group_size: 1
    .uses_dynamic_stack: false
    .vgpr_count:     9
    .vgpr_spill_count: 0
    .wavefront_size: 64
  - .agpr_count:     0
    .args:
      - .offset:         0
        .size:           4
        .value_kind:     by_value
      - .actual_access:  read_only
        .address_space:  global
        .offset:         8
        .size:           8
        .value_kind:     global_buffer
      - .actual_access:  write_only
        .address_space:  global
        .offset:         16
        .size:           8
        .value_kind:     global_buffer
    .group_segment_fixed_size: 256
    .kernarg_segment_align: 8
    .kernarg_segment_size: 24
    .language:       OpenCL C
    .language_version:
      - 2
      - 0
    .max_flat_workgroup_size: 512
    .name:           _ZL30rocblas_reduction_kernel_part2ILi512ELi8E25rocblas_finalize_identityfDF16_EviPT2_PT3_
    .private_segment_fixed_size: 0
    .sgpr_count:     18
    .sgpr_spill_count: 0
    .symbol:         _ZL30rocblas_reduction_kernel_part2ILi512ELi8E25rocblas_finalize_identityfDF16_EviPT2_PT3_.kd
    .uniform_work_group_size: 1
    .uses_dynamic_stack: false
    .vgpr_count:     14
    .vgpr_spill_count: 0
    .wavefront_size: 64
  - .agpr_count:     0
    .args:
      - .offset:         0
        .size:           4
        .value_kind:     by_value
      - .actual_access:  read_only
        .address_space:  global
        .offset:         8
        .size:           8
        .value_kind:     global_buffer
      - .offset:         16
        .size:           8
        .value_kind:     by_value
      - .offset:         24
        .size:           8
        .value_kind:     by_value
      - .offset:         32
        .size:           8
        .value_kind:     by_value
      - .actual_access:  read_only
        .address_space:  global
        .offset:         40
        .size:           8
        .value_kind:     global_buffer
      - .offset:         48
        .size:           8
        .value_kind:     by_value
      - .offset:         56
        .size:           8
        .value_kind:     by_value
      - .offset:         64
        .size:           8
        .value_kind:     by_value
      - .offset:         72
        .size:           4
        .value_kind:     by_value
      - .actual_access:  write_only
        .address_space:  global
        .offset:         80
        .size:           8
        .value_kind:     global_buffer
    .group_segment_fixed_size: 0
    .kernarg_segment_align: 8
    .kernarg_segment_size: 88
    .language:       OpenCL C
    .language_version:
      - 2
      - 0
    .max_flat_workgroup_size: 128
    .name:           _ZL28rocblas_dot_batched_4_kernelIlLi32ELi4ELb0EfDF16_PKDF16_EviT5_lT_lS2_lS3_liPT4_
    .private_segment_fixed_size: 0
    .sgpr_count:     28
    .sgpr_spill_count: 0
    .symbol:         _ZL28rocblas_dot_batched_4_kernelIlLi32ELi4ELb0EfDF16_PKDF16_EviT5_lT_lS2_lS3_liPT4_.kd
    .uniform_work_group_size: 1
    .uses_dynamic_stack: false
    .vgpr_count:     13
    .vgpr_spill_count: 0
    .wavefront_size: 64
  - .agpr_count:     0
    .args:
      - .offset:         0
        .size:           4
        .value_kind:     by_value
      - .actual_access:  read_only
        .address_space:  global
        .offset:         8
        .size:           8
        .value_kind:     global_buffer
      - .offset:         16
        .size:           8
        .value_kind:     by_value
      - .offset:         24
        .size:           8
        .value_kind:     by_value
      - .offset:         32
        .size:           8
        .value_kind:     by_value
      - .actual_access:  read_only
        .address_space:  global
        .offset:         40
        .size:           8
        .value_kind:     global_buffer
      - .offset:         48
        .size:           8
        .value_kind:     by_value
      - .offset:         56
        .size:           8
        .value_kind:     by_value
      - .offset:         64
        .size:           8
        .value_kind:     by_value
      - .offset:         72
        .size:           4
        .value_kind:     by_value
      - .actual_access:  write_only
        .address_space:  global
        .offset:         80
        .size:           8
        .value_kind:     global_buffer
    .group_segment_fixed_size: 0
    .kernarg_segment_align: 8
    .kernarg_segment_size: 88
    .language:       OpenCL C
    .language_version:
      - 2
      - 0
    .max_flat_workgroup_size: 256
    .name:           _ZL28rocblas_dot_batched_4_kernelIlLi64ELi4ELb0EfDF16_PKDF16_EviT5_lT_lS2_lS3_liPT4_
    .private_segment_fixed_size: 0
    .sgpr_count:     28
    .sgpr_spill_count: 0
    .symbol:         _ZL28rocblas_dot_batched_4_kernelIlLi64ELi4ELb0EfDF16_PKDF16_EviT5_lT_lS2_lS3_liPT4_.kd
    .uniform_work_group_size: 1
    .uses_dynamic_stack: false
    .vgpr_count:     13
    .vgpr_spill_count: 0
    .wavefront_size: 64
  - .agpr_count:     0
    .args:
      - .offset:         0
        .size:           4
        .value_kind:     by_value
      - .actual_access:  read_only
        .address_space:  global
        .offset:         8
        .size:           8
        .value_kind:     global_buffer
      - .offset:         16
        .size:           8
        .value_kind:     by_value
      - .offset:         24
        .size:           8
        .value_kind:     by_value
      - .offset:         32
        .size:           8
        .value_kind:     by_value
      - .actual_access:  read_only
        .address_space:  global
        .offset:         40
        .size:           8
        .value_kind:     global_buffer
      - .offset:         48
        .size:           8
        .value_kind:     by_value
      - .offset:         56
        .size:           8
        .value_kind:     by_value
      - .offset:         64
        .size:           8
        .value_kind:     by_value
      - .offset:         72
        .size:           4
        .value_kind:     by_value
      - .actual_access:  read_only
        .address_space:  global
        .offset:         80
        .size:           8
        .value_kind:     global_buffer
      - .actual_access:  write_only
        .address_space:  global
        .offset:         88
        .size:           8
        .value_kind:     global_buffer
      - .offset:         96
        .size:           4
        .value_kind:     hidden_block_count_x
      - .offset:         100
        .size:           4
        .value_kind:     hidden_block_count_y
      - .offset:         104
        .size:           4
        .value_kind:     hidden_block_count_z
      - .offset:         108
        .size:           2
        .value_kind:     hidden_group_size_x
      - .offset:         110
        .size:           2
        .value_kind:     hidden_group_size_y
      - .offset:         112
        .size:           2
        .value_kind:     hidden_group_size_z
      - .offset:         114
        .size:           2
        .value_kind:     hidden_remainder_x
      - .offset:         116
        .size:           2
        .value_kind:     hidden_remainder_y
      - .offset:         118
        .size:           2
        .value_kind:     hidden_remainder_z
      - .offset:         136
        .size:           8
        .value_kind:     hidden_global_offset_x
      - .offset:         144
        .size:           8
        .value_kind:     hidden_global_offset_y
      - .offset:         152
        .size:           8
        .value_kind:     hidden_global_offset_z
      - .offset:         160
        .size:           2
        .value_kind:     hidden_grid_dims
    .group_segment_fixed_size: 256
    .kernarg_segment_align: 8
    .kernarg_segment_size: 352
    .language:       OpenCL C
    .language_version:
      - 2
      - 0
    .max_flat_workgroup_size: 1024
    .name:           _ZL18rocblas_dot_kernelIlLb1ELi1024ELi32ELb0EDF16_PKDF16_fEviT5_lT_lS2_lS3_liPT6_PT4_
    .private_segment_fixed_size: 0
    .sgpr_count:     30
    .sgpr_spill_count: 0
    .symbol:         _ZL18rocblas_dot_kernelIlLb1ELi1024ELi32ELb0EDF16_PKDF16_fEviT5_lT_lS2_lS3_liPT6_PT4_.kd
    .uniform_work_group_size: 1
    .uses_dynamic_stack: false
    .vgpr_count:     11
    .vgpr_spill_count: 0
    .wavefront_size: 64
  - .agpr_count:     0
    .args:
      - .offset:         0
        .size:           4
        .value_kind:     by_value
      - .actual_access:  read_only
        .address_space:  global
        .offset:         8
        .size:           8
        .value_kind:     global_buffer
      - .offset:         16
        .size:           8
        .value_kind:     by_value
      - .offset:         24
        .size:           8
        .value_kind:     by_value
      - .offset:         32
        .size:           8
        .value_kind:     by_value
      - .offset:         40
        .size:           4
        .value_kind:     by_value
      - .actual_access:  read_only
        .address_space:  global
        .offset:         48
        .size:           8
        .value_kind:     global_buffer
      - .actual_access:  write_only
        .address_space:  global
        .offset:         56
        .size:           8
        .value_kind:     global_buffer
      - .offset:         64
        .size:           4
        .value_kind:     hidden_block_count_x
      - .offset:         68
        .size:           4
        .value_kind:     hidden_block_count_y
      - .offset:         72
        .size:           4
        .value_kind:     hidden_block_count_z
      - .offset:         76
        .size:           2
        .value_kind:     hidden_group_size_x
      - .offset:         78
        .size:           2
        .value_kind:     hidden_group_size_y
      - .offset:         80
        .size:           2
        .value_kind:     hidden_group_size_z
      - .offset:         82
        .size:           2
        .value_kind:     hidden_remainder_x
      - .offset:         84
        .size:           2
        .value_kind:     hidden_remainder_y
      - .offset:         86
        .size:           2
        .value_kind:     hidden_remainder_z
      - .offset:         104
        .size:           8
        .value_kind:     hidden_global_offset_x
      - .offset:         112
        .size:           8
        .value_kind:     hidden_global_offset_y
      - .offset:         120
        .size:           8
        .value_kind:     hidden_global_offset_z
      - .offset:         128
        .size:           2
        .value_kind:     hidden_grid_dims
    .group_segment_fixed_size: 256
    .kernarg_segment_align: 8
    .kernarg_segment_size: 320
    .language:       OpenCL C
    .language_version:
      - 2
      - 0
    .max_flat_workgroup_size: 1024
    .name:           _ZL24rocblas_dot_kernel_magsqIlLb1ELi1024ELi32ELb0EDF16_PKDF16_fEviT5_lT_liPT6_PT4_
    .private_segment_fixed_size: 0
    .sgpr_count:     24
    .sgpr_spill_count: 0
    .symbol:         _ZL24rocblas_dot_kernel_magsqIlLb1ELi1024ELi32ELb0EDF16_PKDF16_fEviT5_lT_liPT6_PT4_.kd
    .uniform_work_group_size: 1
    .uses_dynamic_stack: false
    .vgpr_count:     10
    .vgpr_spill_count: 0
    .wavefront_size: 64
  - .agpr_count:     0
    .args:
      - .offset:         0
        .size:           4
        .value_kind:     by_value
      - .actual_access:  read_only
        .address_space:  global
        .offset:         8
        .size:           8
        .value_kind:     global_buffer
      - .offset:         16
        .size:           8
        .value_kind:     by_value
      - .offset:         24
        .size:           8
        .value_kind:     by_value
      - .offset:         32
        .size:           8
        .value_kind:     by_value
      - .actual_access:  read_only
        .address_space:  global
        .offset:         40
        .size:           8
        .value_kind:     global_buffer
      - .offset:         48
        .size:           8
        .value_kind:     by_value
      - .offset:         56
        .size:           8
        .value_kind:     by_value
      - .offset:         64
        .size:           8
        .value_kind:     by_value
      - .actual_access:  read_only
        .address_space:  global
        .offset:         72
        .size:           8
        .value_kind:     global_buffer
      - .actual_access:  read_only
        .address_space:  global
        .offset:         80
        .size:           8
        .value_kind:     global_buffer
    .group_segment_fixed_size: 0
    .kernarg_segment_align: 8
    .kernarg_segment_size: 88
    .language:       OpenCL C
    .language_version:
      - 2
      - 0
    .max_flat_workgroup_size: 1024
    .name:           _ZL38rocblas_dot_kernel_gfx942_float_doubleIlLi1024EDF16_PKDF16_fEviT2_lT_lS2_lS3_lPT3_PT1_
    .private_segment_fixed_size: 0
    .sgpr_count:     4
    .sgpr_spill_count: 0
    .symbol:         _ZL38rocblas_dot_kernel_gfx942_float_doubleIlLi1024EDF16_PKDF16_fEviT2_lT_lS2_lS3_lPT3_PT1_.kd
    .uniform_work_group_size: 1
    .uses_dynamic_stack: false
    .vgpr_count:     0
    .vgpr_spill_count: 0
    .wavefront_size: 64
  - .agpr_count:     0
    .args:
      - .offset:         0
        .size:           4
        .value_kind:     by_value
      - .actual_access:  read_only
        .address_space:  global
        .offset:         8
        .size:           8
        .value_kind:     global_buffer
      - .offset:         16
        .size:           8
        .value_kind:     by_value
      - .offset:         24
        .size:           8
        .value_kind:     by_value
      - .offset:         32
        .size:           8
        .value_kind:     by_value
      - .actual_access:  read_only
        .address_space:  global
        .offset:         40
        .size:           8
        .value_kind:     global_buffer
      - .offset:         48
        .size:           8
        .value_kind:     by_value
      - .offset:         56
        .size:           8
        .value_kind:     by_value
      - .offset:         64
        .size:           8
        .value_kind:     by_value
      - .offset:         72
        .size:           4
        .value_kind:     by_value
      - .actual_access:  write_only
        .address_space:  global
        .offset:         80
        .size:           8
        .value_kind:     global_buffer
      - .actual_access:  write_only
        .address_space:  global
        .offset:         88
        .size:           8
        .value_kind:     global_buffer
      - .offset:         96
        .size:           4
        .value_kind:     hidden_block_count_x
      - .offset:         100
        .size:           4
        .value_kind:     hidden_block_count_y
      - .offset:         104
        .size:           4
        .value_kind:     hidden_block_count_z
      - .offset:         108
        .size:           2
        .value_kind:     hidden_group_size_x
      - .offset:         110
        .size:           2
        .value_kind:     hidden_group_size_y
      - .offset:         112
        .size:           2
        .value_kind:     hidden_group_size_z
      - .offset:         114
        .size:           2
        .value_kind:     hidden_remainder_x
      - .offset:         116
        .size:           2
        .value_kind:     hidden_remainder_y
      - .offset:         118
        .size:           2
        .value_kind:     hidden_remainder_z
      - .offset:         136
        .size:           8
        .value_kind:     hidden_global_offset_x
      - .offset:         144
        .size:           8
        .value_kind:     hidden_global_offset_y
      - .offset:         152
        .size:           8
        .value_kind:     hidden_global_offset_z
      - .offset:         160
        .size:           2
        .value_kind:     hidden_grid_dims
    .group_segment_fixed_size: 256
    .kernarg_segment_align: 8
    .kernarg_segment_size: 352
    .language:       OpenCL C
    .language_version:
      - 2
      - 0
    .max_flat_workgroup_size: 512
    .name:           _ZL18rocblas_dot_kernelIlLb0ELi512ELi8ELb0EDF16_PKDF16_fEviT5_lT_lS2_lS3_liPT6_PT4_
    .private_segment_fixed_size: 0
    .sgpr_count:     34
    .sgpr_spill_count: 0
    .symbol:         _ZL18rocblas_dot_kernelIlLb0ELi512ELi8ELb0EDF16_PKDF16_fEviT5_lT_lS2_lS3_liPT6_PT4_.kd
    .uniform_work_group_size: 1
    .uses_dynamic_stack: false
    .vgpr_count:     11
    .vgpr_spill_count: 0
    .wavefront_size: 64
  - .agpr_count:     0
    .args:
      - .offset:         0
        .size:           4
        .value_kind:     by_value
      - .actual_access:  read_only
        .address_space:  global
        .offset:         8
        .size:           8
        .value_kind:     global_buffer
      - .offset:         16
        .size:           8
        .value_kind:     by_value
      - .offset:         24
        .size:           8
        .value_kind:     by_value
      - .offset:         32
        .size:           8
        .value_kind:     by_value
      - .offset:         40
        .size:           4
        .value_kind:     by_value
      - .actual_access:  write_only
        .address_space:  global
        .offset:         48
        .size:           8
        .value_kind:     global_buffer
      - .actual_access:  write_only
        .address_space:  global
        .offset:         56
        .size:           8
        .value_kind:     global_buffer
      - .offset:         64
        .size:           4
        .value_kind:     hidden_block_count_x
      - .offset:         68
        .size:           4
        .value_kind:     hidden_block_count_y
      - .offset:         72
        .size:           4
        .value_kind:     hidden_block_count_z
      - .offset:         76
        .size:           2
        .value_kind:     hidden_group_size_x
      - .offset:         78
        .size:           2
        .value_kind:     hidden_group_size_y
      - .offset:         80
        .size:           2
        .value_kind:     hidden_group_size_z
      - .offset:         82
        .size:           2
        .value_kind:     hidden_remainder_x
      - .offset:         84
        .size:           2
        .value_kind:     hidden_remainder_y
      - .offset:         86
        .size:           2
        .value_kind:     hidden_remainder_z
      - .offset:         104
        .size:           8
        .value_kind:     hidden_global_offset_x
      - .offset:         112
        .size:           8
        .value_kind:     hidden_global_offset_y
      - .offset:         120
        .size:           8
        .value_kind:     hidden_global_offset_z
      - .offset:         128
        .size:           2
        .value_kind:     hidden_grid_dims
    .group_segment_fixed_size: 256
    .kernarg_segment_align: 8
    .kernarg_segment_size: 320
    .language:       OpenCL C
    .language_version:
      - 2
      - 0
    .max_flat_workgroup_size: 512
    .name:           _ZL24rocblas_dot_kernel_magsqIlLb0ELi512ELi8ELb0EDF16_PKDF16_fEviT5_lT_liPT6_PT4_
    .private_segment_fixed_size: 0
    .sgpr_count:     28
    .sgpr_spill_count: 0
    .symbol:         _ZL24rocblas_dot_kernel_magsqIlLb0ELi512ELi8ELb0EDF16_PKDF16_fEviT5_lT_liPT6_PT4_.kd
    .uniform_work_group_size: 1
    .uses_dynamic_stack: false
    .vgpr_count:     9
    .vgpr_spill_count: 0
    .wavefront_size: 64
  - .agpr_count:     0
    .args:
      - .offset:         0
        .size:           4
        .value_kind:     by_value
      - .actual_access:  read_only
        .address_space:  global
        .offset:         8
        .size:           8
        .value_kind:     global_buffer
      - .offset:         16
        .size:           8
        .value_kind:     by_value
      - .offset:         24
        .size:           4
        .value_kind:     by_value
      - .offset:         32
        .size:           8
        .value_kind:     by_value
      - .actual_access:  read_only
        .address_space:  global
        .offset:         40
        .size:           8
        .value_kind:     global_buffer
      - .offset:         48
        .size:           8
        .value_kind:     by_value
      - .offset:         56
        .size:           4
        .value_kind:     by_value
      - .offset:         64
        .size:           8
        .value_kind:     by_value
      - .offset:         72
        .size:           4
        .value_kind:     by_value
      - .actual_access:  write_only
        .address_space:  global
        .offset:         80
        .size:           8
        .value_kind:     global_buffer
    .group_segment_fixed_size: 0
    .kernarg_segment_align: 8
    .kernarg_segment_size: 88
    .language:       OpenCL C
    .language_version:
      - 2
      - 0
    .max_flat_workgroup_size: 128
    .name:           _ZL28rocblas_dot_batched_4_kernelIiLi32ELi4ELb0EfDF16_PKPKDF16_EviT5_lT_lS4_lS5_liPT4_
    .private_segment_fixed_size: 0
    .sgpr_count:     22
    .sgpr_spill_count: 0
    .symbol:         _ZL28rocblas_dot_batched_4_kernelIiLi32ELi4ELb0EfDF16_PKPKDF16_EviT5_lT_lS4_lS5_liPT4_.kd
    .uniform_work_group_size: 1
    .uses_dynamic_stack: false
    .vgpr_count:     14
    .vgpr_spill_count: 0
    .wavefront_size: 64
  - .agpr_count:     0
    .args:
      - .offset:         0
        .size:           4
        .value_kind:     by_value
      - .actual_access:  read_only
        .address_space:  global
        .offset:         8
        .size:           8
        .value_kind:     global_buffer
      - .offset:         16
        .size:           8
        .value_kind:     by_value
      - .offset:         24
        .size:           4
        .value_kind:     by_value
      - .offset:         32
        .size:           8
        .value_kind:     by_value
      - .actual_access:  read_only
        .address_space:  global
        .offset:         40
        .size:           8
        .value_kind:     global_buffer
      - .offset:         48
        .size:           8
        .value_kind:     by_value
      - .offset:         56
        .size:           4
        .value_kind:     by_value
      - .offset:         64
        .size:           8
        .value_kind:     by_value
      - .offset:         72
        .size:           4
        .value_kind:     by_value
      - .actual_access:  write_only
        .address_space:  global
        .offset:         80
        .size:           8
        .value_kind:     global_buffer
    .group_segment_fixed_size: 0
    .kernarg_segment_align: 8
    .kernarg_segment_size: 88
    .language:       OpenCL C
    .language_version:
      - 2
      - 0
    .max_flat_workgroup_size: 256
    .name:           _ZL28rocblas_dot_batched_4_kernelIiLi64ELi4ELb0EfDF16_PKPKDF16_EviT5_lT_lS4_lS5_liPT4_
    .private_segment_fixed_size: 0
    .sgpr_count:     22
    .sgpr_spill_count: 0
    .symbol:         _ZL28rocblas_dot_batched_4_kernelIiLi64ELi4ELb0EfDF16_PKPKDF16_EviT5_lT_lS4_lS5_liPT4_.kd
    .uniform_work_group_size: 1
    .uses_dynamic_stack: false
    .vgpr_count:     14
    .vgpr_spill_count: 0
    .wavefront_size: 64
  - .agpr_count:     0
    .args:
      - .offset:         0
        .size:           4
        .value_kind:     by_value
      - .actual_access:  read_only
        .address_space:  global
        .offset:         8
        .size:           8
        .value_kind:     global_buffer
      - .offset:         16
        .size:           8
        .value_kind:     by_value
      - .offset:         24
        .size:           8
        .value_kind:     by_value
      - .actual_access:  read_only
        .address_space:  global
        .offset:         32
        .size:           8
        .value_kind:     global_buffer
      - .offset:         40
        .size:           8
        .value_kind:     by_value
      - .offset:         48
        .size:           8
        .value_kind:     by_value
      - .offset:         56
        .size:           4
        .value_kind:     by_value
      - .actual_access:  read_only
        .address_space:  global
        .offset:         64
        .size:           8
        .value_kind:     global_buffer
      - .actual_access:  write_only
        .address_space:  global
        .offset:         72
        .size:           8
        .value_kind:     global_buffer
    .group_segment_fixed_size: 256
    .kernarg_segment_align: 8
    .kernarg_segment_size: 80
    .language:       OpenCL C
    .language_version:
      - 2
      - 0
    .max_flat_workgroup_size: 1024
    .name:           _ZL26rocblas_dot_kernel_inc1by2ILb1ELi1024ELi32ELb0EDF16_PKPKDF16_fEviT4_llS4_lliPT5_PT3_
    .private_segment_fixed_size: 0
    .sgpr_count:     28
    .sgpr_spill_count: 0
    .symbol:         _ZL26rocblas_dot_kernel_inc1by2ILb1ELi1024ELi32ELb0EDF16_PKPKDF16_fEviT4_llS4_lliPT5_PT3_.kd
    .uniform_work_group_size: 1
    .uses_dynamic_stack: false
    .vgpr_count:     12
    .vgpr_spill_count: 0
    .wavefront_size: 64
  - .agpr_count:     0
    .args:
      - .offset:         0
        .size:           4
        .value_kind:     by_value
      - .actual_access:  read_only
        .address_space:  global
        .offset:         8
        .size:           8
        .value_kind:     global_buffer
      - .offset:         16
        .size:           8
        .value_kind:     by_value
      - .offset:         24
        .size:           4
        .value_kind:     by_value
      - .offset:         32
        .size:           8
        .value_kind:     by_value
      - .actual_access:  read_only
        .address_space:  global
        .offset:         40
        .size:           8
        .value_kind:     global_buffer
      - .offset:         48
        .size:           8
        .value_kind:     by_value
      - .offset:         56
        .size:           4
        .value_kind:     by_value
      - .offset:         64
        .size:           8
        .value_kind:     by_value
      - .offset:         72
        .size:           4
        .value_kind:     by_value
      - .actual_access:  read_only
        .address_space:  global
        .offset:         80
        .size:           8
        .value_kind:     global_buffer
      - .actual_access:  write_only
        .address_space:  global
        .offset:         88
        .size:           8
        .value_kind:     global_buffer
      - .offset:         96
        .size:           4
        .value_kind:     hidden_block_count_x
      - .offset:         100
        .size:           4
        .value_kind:     hidden_block_count_y
      - .offset:         104
        .size:           4
        .value_kind:     hidden_block_count_z
      - .offset:         108
        .size:           2
        .value_kind:     hidden_group_size_x
      - .offset:         110
        .size:           2
        .value_kind:     hidden_group_size_y
      - .offset:         112
        .size:           2
        .value_kind:     hidden_group_size_z
      - .offset:         114
        .size:           2
        .value_kind:     hidden_remainder_x
      - .offset:         116
        .size:           2
        .value_kind:     hidden_remainder_y
      - .offset:         118
        .size:           2
        .value_kind:     hidden_remainder_z
      - .offset:         136
        .size:           8
        .value_kind:     hidden_global_offset_x
      - .offset:         144
        .size:           8
        .value_kind:     hidden_global_offset_y
      - .offset:         152
        .size:           8
        .value_kind:     hidden_global_offset_z
      - .offset:         160
        .size:           2
        .value_kind:     hidden_grid_dims
    .group_segment_fixed_size: 256
    .kernarg_segment_align: 8
    .kernarg_segment_size: 352
    .language:       OpenCL C
    .language_version:
      - 2
      - 0
    .max_flat_workgroup_size: 1024
    .name:           _ZL18rocblas_dot_kernelIiLb1ELi1024ELi32ELb0EDF16_PKPKDF16_fEviT5_lT_lS4_lS5_liPT6_PT4_
    .private_segment_fixed_size: 0
    .sgpr_count:     29
    .sgpr_spill_count: 0
    .symbol:         _ZL18rocblas_dot_kernelIiLb1ELi1024ELi32ELb0EDF16_PKPKDF16_fEviT5_lT_lS4_lS5_liPT6_PT4_.kd
    .uniform_work_group_size: 1
    .uses_dynamic_stack: false
    .vgpr_count:     11
    .vgpr_spill_count: 0
    .wavefront_size: 64
  - .agpr_count:     0
    .args:
      - .offset:         0
        .size:           4
        .value_kind:     by_value
      - .actual_access:  read_only
        .address_space:  global
        .offset:         8
        .size:           8
        .value_kind:     global_buffer
      - .offset:         16
        .size:           8
        .value_kind:     by_value
      - .offset:         24
        .size:           4
        .value_kind:     by_value
      - .offset:         32
        .size:           8
        .value_kind:     by_value
      - .offset:         40
        .size:           4
        .value_kind:     by_value
      - .actual_access:  read_only
        .address_space:  global
        .offset:         48
        .size:           8
        .value_kind:     global_buffer
      - .actual_access:  write_only
        .address_space:  global
        .offset:         56
        .size:           8
        .value_kind:     global_buffer
      - .offset:         64
        .size:           4
        .value_kind:     hidden_block_count_x
      - .offset:         68
        .size:           4
        .value_kind:     hidden_block_count_y
      - .offset:         72
        .size:           4
        .value_kind:     hidden_block_count_z
      - .offset:         76
        .size:           2
        .value_kind:     hidden_group_size_x
      - .offset:         78
        .size:           2
        .value_kind:     hidden_group_size_y
      - .offset:         80
        .size:           2
        .value_kind:     hidden_group_size_z
      - .offset:         82
        .size:           2
        .value_kind:     hidden_remainder_x
      - .offset:         84
        .size:           2
        .value_kind:     hidden_remainder_y
      - .offset:         86
        .size:           2
        .value_kind:     hidden_remainder_z
      - .offset:         104
        .size:           8
        .value_kind:     hidden_global_offset_x
      - .offset:         112
        .size:           8
        .value_kind:     hidden_global_offset_y
      - .offset:         120
        .size:           8
        .value_kind:     hidden_global_offset_z
      - .offset:         128
        .size:           2
        .value_kind:     hidden_grid_dims
    .group_segment_fixed_size: 256
    .kernarg_segment_align: 8
    .kernarg_segment_size: 320
    .language:       OpenCL C
    .language_version:
      - 2
      - 0
    .max_flat_workgroup_size: 1024
    .name:           _ZL24rocblas_dot_kernel_magsqIiLb1ELi1024ELi32ELb0EDF16_PKPKDF16_fEviT5_lT_liPT6_PT4_
    .private_segment_fixed_size: 0
    .sgpr_count:     24
    .sgpr_spill_count: 0
    .symbol:         _ZL24rocblas_dot_kernel_magsqIiLb1ELi1024ELi32ELb0EDF16_PKPKDF16_fEviT5_lT_liPT6_PT4_.kd
    .uniform_work_group_size: 1
    .uses_dynamic_stack: false
    .vgpr_count:     10
    .vgpr_spill_count: 0
    .wavefront_size: 64
  - .agpr_count:     0
    .args:
      - .offset:         0
        .size:           4
        .value_kind:     by_value
      - .actual_access:  read_only
        .address_space:  global
        .offset:         8
        .size:           8
        .value_kind:     global_buffer
      - .offset:         16
        .size:           8
        .value_kind:     by_value
      - .offset:         24
        .size:           4
        .value_kind:     by_value
      - .offset:         32
        .size:           8
        .value_kind:     by_value
      - .actual_access:  read_only
        .address_space:  global
        .offset:         40
        .size:           8
        .value_kind:     global_buffer
      - .offset:         48
        .size:           8
        .value_kind:     by_value
      - .offset:         56
        .size:           4
        .value_kind:     by_value
      - .offset:         64
        .size:           8
        .value_kind:     by_value
      - .actual_access:  read_only
        .address_space:  global
        .offset:         72
        .size:           8
        .value_kind:     global_buffer
      - .actual_access:  read_only
        .address_space:  global
        .offset:         80
        .size:           8
        .value_kind:     global_buffer
    .group_segment_fixed_size: 0
    .kernarg_segment_align: 8
    .kernarg_segment_size: 88
    .language:       OpenCL C
    .language_version:
      - 2
      - 0
    .max_flat_workgroup_size: 1024
    .name:           _ZL38rocblas_dot_kernel_gfx942_float_doubleIiLi1024EDF16_PKPKDF16_fEviT2_lT_lS4_lS5_lPT3_PT1_
    .private_segment_fixed_size: 0
    .sgpr_count:     4
    .sgpr_spill_count: 0
    .symbol:         _ZL38rocblas_dot_kernel_gfx942_float_doubleIiLi1024EDF16_PKPKDF16_fEviT2_lT_lS4_lS5_lPT3_PT1_.kd
    .uniform_work_group_size: 1
    .uses_dynamic_stack: false
    .vgpr_count:     0
    .vgpr_spill_count: 0
    .wavefront_size: 64
  - .agpr_count:     0
    .args:
      - .offset:         0
        .size:           4
        .value_kind:     by_value
      - .actual_access:  read_only
        .address_space:  global
        .offset:         8
        .size:           8
        .value_kind:     global_buffer
      - .offset:         16
        .size:           8
        .value_kind:     by_value
      - .offset:         24
        .size:           8
        .value_kind:     by_value
      - .actual_access:  read_only
        .address_space:  global
        .offset:         32
        .size:           8
        .value_kind:     global_buffer
      - .offset:         40
        .size:           8
        .value_kind:     by_value
      - .offset:         48
        .size:           8
        .value_kind:     by_value
      - .offset:         56
        .size:           4
        .value_kind:     by_value
      - .actual_access:  write_only
        .address_space:  global
        .offset:         64
        .size:           8
        .value_kind:     global_buffer
      - .actual_access:  write_only
        .address_space:  global
        .offset:         72
        .size:           8
        .value_kind:     global_buffer
      - .offset:         80
        .size:           4
        .value_kind:     hidden_block_count_x
      - .offset:         84
        .size:           4
        .value_kind:     hidden_block_count_y
      - .offset:         88
        .size:           4
        .value_kind:     hidden_block_count_z
      - .offset:         92
        .size:           2
        .value_kind:     hidden_group_size_x
      - .offset:         94
        .size:           2
        .value_kind:     hidden_group_size_y
      - .offset:         96
        .size:           2
        .value_kind:     hidden_group_size_z
      - .offset:         98
        .size:           2
        .value_kind:     hidden_remainder_x
      - .offset:         100
        .size:           2
        .value_kind:     hidden_remainder_y
      - .offset:         102
        .size:           2
        .value_kind:     hidden_remainder_z
      - .offset:         120
        .size:           8
        .value_kind:     hidden_global_offset_x
      - .offset:         128
        .size:           8
        .value_kind:     hidden_global_offset_y
      - .offset:         136
        .size:           8
        .value_kind:     hidden_global_offset_z
      - .offset:         144
        .size:           2
        .value_kind:     hidden_grid_dims
    .group_segment_fixed_size: 256
    .kernarg_segment_align: 8
    .kernarg_segment_size: 336
    .language:       OpenCL C
    .language_version:
      - 2
      - 0
    .max_flat_workgroup_size: 512
    .name:           _ZL23rocblas_dot_kernel_inc1ILb0ELi512ELi8ELb0EDF16_PKPKDF16_fEviT4_llS4_lliPT5_PT3_
    .private_segment_fixed_size: 0
    .sgpr_count:     32
    .sgpr_spill_count: 0
    .symbol:         _ZL23rocblas_dot_kernel_inc1ILb0ELi512ELi8ELb0EDF16_PKPKDF16_fEviT4_llS4_lliPT5_PT3_.kd
    .uniform_work_group_size: 1
    .uses_dynamic_stack: false
    .vgpr_count:     14
    .vgpr_spill_count: 0
    .wavefront_size: 64
  - .agpr_count:     0
    .args:
      - .offset:         0
        .size:           4
        .value_kind:     by_value
      - .actual_access:  read_only
        .address_space:  global
        .offset:         8
        .size:           8
        .value_kind:     global_buffer
      - .offset:         16
        .size:           8
        .value_kind:     by_value
      - .offset:         24
        .size:           4
        .value_kind:     by_value
      - .offset:         32
        .size:           8
        .value_kind:     by_value
      - .actual_access:  read_only
        .address_space:  global
        .offset:         40
        .size:           8
        .value_kind:     global_buffer
      - .offset:         48
        .size:           8
        .value_kind:     by_value
      - .offset:         56
        .size:           4
        .value_kind:     by_value
      - .offset:         64
        .size:           8
        .value_kind:     by_value
      - .offset:         72
        .size:           4
        .value_kind:     by_value
      - .actual_access:  write_only
        .address_space:  global
        .offset:         80
        .size:           8
        .value_kind:     global_buffer
      - .actual_access:  write_only
        .address_space:  global
        .offset:         88
        .size:           8
        .value_kind:     global_buffer
      - .offset:         96
        .size:           4
        .value_kind:     hidden_block_count_x
      - .offset:         100
        .size:           4
        .value_kind:     hidden_block_count_y
      - .offset:         104
        .size:           4
        .value_kind:     hidden_block_count_z
      - .offset:         108
        .size:           2
        .value_kind:     hidden_group_size_x
      - .offset:         110
        .size:           2
        .value_kind:     hidden_group_size_y
      - .offset:         112
        .size:           2
        .value_kind:     hidden_group_size_z
      - .offset:         114
        .size:           2
        .value_kind:     hidden_remainder_x
      - .offset:         116
        .size:           2
        .value_kind:     hidden_remainder_y
      - .offset:         118
        .size:           2
        .value_kind:     hidden_remainder_z
      - .offset:         136
        .size:           8
        .value_kind:     hidden_global_offset_x
      - .offset:         144
        .size:           8
        .value_kind:     hidden_global_offset_y
      - .offset:         152
        .size:           8
        .value_kind:     hidden_global_offset_z
      - .offset:         160
        .size:           2
        .value_kind:     hidden_grid_dims
    .group_segment_fixed_size: 256
    .kernarg_segment_align: 8
    .kernarg_segment_size: 352
    .language:       OpenCL C
    .language_version:
      - 2
      - 0
    .max_flat_workgroup_size: 512
    .name:           _ZL18rocblas_dot_kernelIiLb0ELi512ELi8ELb0EDF16_PKPKDF16_fEviT5_lT_lS4_lS5_liPT6_PT4_
    .private_segment_fixed_size: 0
    .sgpr_count:     32
    .sgpr_spill_count: 0
    .symbol:         _ZL18rocblas_dot_kernelIiLb0ELi512ELi8ELb0EDF16_PKPKDF16_fEviT5_lT_lS4_lS5_liPT6_PT4_.kd
    .uniform_work_group_size: 1
    .uses_dynamic_stack: false
    .vgpr_count:     11
    .vgpr_spill_count: 0
    .wavefront_size: 64
  - .agpr_count:     0
    .args:
      - .offset:         0
        .size:           4
        .value_kind:     by_value
      - .actual_access:  read_only
        .address_space:  global
        .offset:         8
        .size:           8
        .value_kind:     global_buffer
      - .offset:         16
        .size:           8
        .value_kind:     by_value
      - .offset:         24
        .size:           4
        .value_kind:     by_value
      - .offset:         32
        .size:           8
        .value_kind:     by_value
      - .offset:         40
        .size:           4
        .value_kind:     by_value
      - .actual_access:  write_only
        .address_space:  global
        .offset:         48
        .size:           8
        .value_kind:     global_buffer
      - .actual_access:  write_only
        .address_space:  global
        .offset:         56
        .size:           8
        .value_kind:     global_buffer
      - .offset:         64
        .size:           4
        .value_kind:     hidden_block_count_x
      - .offset:         68
        .size:           4
        .value_kind:     hidden_block_count_y
      - .offset:         72
        .size:           4
        .value_kind:     hidden_block_count_z
      - .offset:         76
        .size:           2
        .value_kind:     hidden_group_size_x
      - .offset:         78
        .size:           2
        .value_kind:     hidden_group_size_y
      - .offset:         80
        .size:           2
        .value_kind:     hidden_group_size_z
      - .offset:         82
        .size:           2
        .value_kind:     hidden_remainder_x
      - .offset:         84
        .size:           2
        .value_kind:     hidden_remainder_y
      - .offset:         86
        .size:           2
        .value_kind:     hidden_remainder_z
      - .offset:         104
        .size:           8
        .value_kind:     hidden_global_offset_x
      - .offset:         112
        .size:           8
        .value_kind:     hidden_global_offset_y
      - .offset:         120
        .size:           8
        .value_kind:     hidden_global_offset_z
      - .offset:         128
        .size:           2
        .value_kind:     hidden_grid_dims
    .group_segment_fixed_size: 256
    .kernarg_segment_align: 8
    .kernarg_segment_size: 320
    .language:       OpenCL C
    .language_version:
      - 2
      - 0
    .max_flat_workgroup_size: 512
    .name:           _ZL24rocblas_dot_kernel_magsqIiLb0ELi512ELi8ELb0EDF16_PKPKDF16_fEviT5_lT_liPT6_PT4_
    .private_segment_fixed_size: 0
    .sgpr_count:     28
    .sgpr_spill_count: 0
    .symbol:         _ZL24rocblas_dot_kernel_magsqIiLb0ELi512ELi8ELb0EDF16_PKPKDF16_fEviT5_lT_liPT6_PT4_.kd
    .uniform_work_group_size: 1
    .uses_dynamic_stack: false
    .vgpr_count:     9
    .vgpr_spill_count: 0
    .wavefront_size: 64
  - .agpr_count:     0
    .args:
      - .offset:         0
        .size:           4
        .value_kind:     by_value
      - .actual_access:  read_only
        .address_space:  global
        .offset:         8
        .size:           8
        .value_kind:     global_buffer
      - .offset:         16
        .size:           8
        .value_kind:     by_value
      - .offset:         24
        .size:           4
        .value_kind:     by_value
      - .offset:         32
        .size:           8
        .value_kind:     by_value
      - .actual_access:  read_only
        .address_space:  global
        .offset:         40
        .size:           8
        .value_kind:     global_buffer
      - .offset:         48
        .size:           8
        .value_kind:     by_value
      - .offset:         56
        .size:           4
        .value_kind:     by_value
      - .offset:         64
        .size:           8
        .value_kind:     by_value
      - .offset:         72
        .size:           4
        .value_kind:     by_value
      - .actual_access:  write_only
        .address_space:  global
        .offset:         80
        .size:           8
        .value_kind:     global_buffer
    .group_segment_fixed_size: 0
    .kernarg_segment_align: 8
    .kernarg_segment_size: 88
    .language:       OpenCL C
    .language_version:
      - 2
      - 0
    .max_flat_workgroup_size: 128
    .name:           _ZL28rocblas_dot_batched_4_kernelIiLi32ELi4ELb0EffPKPKDF16_EviT5_lT_lS4_lS5_liPT4_
    .private_segment_fixed_size: 0
    .sgpr_count:     22
    .sgpr_spill_count: 0
    .symbol:         _ZL28rocblas_dot_batched_4_kernelIiLi32ELi4ELb0EffPKPKDF16_EviT5_lT_lS4_lS5_liPT4_.kd
    .uniform_work_group_size: 1
    .uses_dynamic_stack: false
    .vgpr_count:     14
    .vgpr_spill_count: 0
    .wavefront_size: 64
  - .agpr_count:     0
    .args:
      - .offset:         0
        .size:           4
        .value_kind:     by_value
      - .actual_access:  read_only
        .address_space:  global
        .offset:         8
        .size:           8
        .value_kind:     global_buffer
      - .offset:         16
        .size:           8
        .value_kind:     by_value
      - .offset:         24
        .size:           4
        .value_kind:     by_value
      - .offset:         32
        .size:           8
        .value_kind:     by_value
      - .actual_access:  read_only
        .address_space:  global
        .offset:         40
        .size:           8
        .value_kind:     global_buffer
      - .offset:         48
        .size:           8
        .value_kind:     by_value
      - .offset:         56
        .size:           4
        .value_kind:     by_value
      - .offset:         64
        .size:           8
        .value_kind:     by_value
      - .offset:         72
        .size:           4
        .value_kind:     by_value
      - .actual_access:  write_only
        .address_space:  global
        .offset:         80
        .size:           8
        .value_kind:     global_buffer
    .group_segment_fixed_size: 0
    .kernarg_segment_align: 8
    .kernarg_segment_size: 88
    .language:       OpenCL C
    .language_version:
      - 2
      - 0
    .max_flat_workgroup_size: 256
    .name:           _ZL28rocblas_dot_batched_4_kernelIiLi64ELi4ELb0EffPKPKDF16_EviT5_lT_lS4_lS5_liPT4_
    .private_segment_fixed_size: 0
    .sgpr_count:     22
    .sgpr_spill_count: 0
    .symbol:         _ZL28rocblas_dot_batched_4_kernelIiLi64ELi4ELb0EffPKPKDF16_EviT5_lT_lS4_lS5_liPT4_.kd
    .uniform_work_group_size: 1
    .uses_dynamic_stack: false
    .vgpr_count:     14
    .vgpr_spill_count: 0
    .wavefront_size: 64
  - .agpr_count:     0
    .args:
      - .offset:         0
        .size:           4
        .value_kind:     by_value
      - .actual_access:  read_only
        .address_space:  global
        .offset:         8
        .size:           8
        .value_kind:     global_buffer
      - .offset:         16
        .size:           8
        .value_kind:     by_value
      - .offset:         24
        .size:           4
        .value_kind:     by_value
      - .offset:         32
        .size:           8
        .value_kind:     by_value
      - .actual_access:  read_only
        .address_space:  global
        .offset:         40
        .size:           8
        .value_kind:     global_buffer
      - .offset:         48
        .size:           8
        .value_kind:     by_value
      - .offset:         56
        .size:           4
        .value_kind:     by_value
      - .offset:         64
        .size:           8
        .value_kind:     by_value
      - .offset:         72
        .size:           4
        .value_kind:     by_value
      - .actual_access:  read_only
        .address_space:  global
        .offset:         80
        .size:           8
        .value_kind:     global_buffer
      - .actual_access:  write_only
        .address_space:  global
        .offset:         88
        .size:           8
        .value_kind:     global_buffer
      - .offset:         96
        .size:           4
        .value_kind:     hidden_block_count_x
      - .offset:         100
        .size:           4
        .value_kind:     hidden_block_count_y
      - .offset:         104
        .size:           4
        .value_kind:     hidden_block_count_z
      - .offset:         108
        .size:           2
        .value_kind:     hidden_group_size_x
      - .offset:         110
        .size:           2
        .value_kind:     hidden_group_size_y
      - .offset:         112
        .size:           2
        .value_kind:     hidden_group_size_z
      - .offset:         114
        .size:           2
        .value_kind:     hidden_remainder_x
      - .offset:         116
        .size:           2
        .value_kind:     hidden_remainder_y
      - .offset:         118
        .size:           2
        .value_kind:     hidden_remainder_z
      - .offset:         136
        .size:           8
        .value_kind:     hidden_global_offset_x
      - .offset:         144
        .size:           8
        .value_kind:     hidden_global_offset_y
      - .offset:         152
        .size:           8
        .value_kind:     hidden_global_offset_z
      - .offset:         160
        .size:           2
        .value_kind:     hidden_grid_dims
    .group_segment_fixed_size: 256
    .kernarg_segment_align: 8
    .kernarg_segment_size: 352
    .language:       OpenCL C
    .language_version:
      - 2
      - 0
    .max_flat_workgroup_size: 1024
    .name:           _ZL18rocblas_dot_kernelIiLb1ELi1024ELi32ELb0EfPKPKDF16_fEviT5_lT_lS4_lS5_liPT6_PT4_
    .private_segment_fixed_size: 0
    .sgpr_count:     29
    .sgpr_spill_count: 0
    .symbol:         _ZL18rocblas_dot_kernelIiLb1ELi1024ELi32ELb0EfPKPKDF16_fEviT5_lT_lS4_lS5_liPT6_PT4_.kd
    .uniform_work_group_size: 1
    .uses_dynamic_stack: false
    .vgpr_count:     11
    .vgpr_spill_count: 0
    .wavefront_size: 64
  - .agpr_count:     0
    .args:
      - .offset:         0
        .size:           4
        .value_kind:     by_value
      - .actual_access:  read_only
        .address_space:  global
        .offset:         8
        .size:           8
        .value_kind:     global_buffer
      - .offset:         16
        .size:           8
        .value_kind:     by_value
      - .offset:         24
        .size:           4
        .value_kind:     by_value
      - .offset:         32
        .size:           8
        .value_kind:     by_value
      - .offset:         40
        .size:           4
        .value_kind:     by_value
      - .actual_access:  read_only
        .address_space:  global
        .offset:         48
        .size:           8
        .value_kind:     global_buffer
      - .actual_access:  write_only
        .address_space:  global
        .offset:         56
        .size:           8
        .value_kind:     global_buffer
      - .offset:         64
        .size:           4
        .value_kind:     hidden_block_count_x
      - .offset:         68
        .size:           4
        .value_kind:     hidden_block_count_y
      - .offset:         72
        .size:           4
        .value_kind:     hidden_block_count_z
      - .offset:         76
        .size:           2
        .value_kind:     hidden_group_size_x
      - .offset:         78
        .size:           2
        .value_kind:     hidden_group_size_y
      - .offset:         80
        .size:           2
        .value_kind:     hidden_group_size_z
      - .offset:         82
        .size:           2
        .value_kind:     hidden_remainder_x
      - .offset:         84
        .size:           2
        .value_kind:     hidden_remainder_y
      - .offset:         86
        .size:           2
        .value_kind:     hidden_remainder_z
      - .offset:         104
        .size:           8
        .value_kind:     hidden_global_offset_x
      - .offset:         112
        .size:           8
        .value_kind:     hidden_global_offset_y
      - .offset:         120
        .size:           8
        .value_kind:     hidden_global_offset_z
      - .offset:         128
        .size:           2
        .value_kind:     hidden_grid_dims
    .group_segment_fixed_size: 256
    .kernarg_segment_align: 8
    .kernarg_segment_size: 320
    .language:       OpenCL C
    .language_version:
      - 2
      - 0
    .max_flat_workgroup_size: 1024
    .name:           _ZL24rocblas_dot_kernel_magsqIiLb1ELi1024ELi32ELb0EfPKPKDF16_fEviT5_lT_liPT6_PT4_
    .private_segment_fixed_size: 0
    .sgpr_count:     24
    .sgpr_spill_count: 0
    .symbol:         _ZL24rocblas_dot_kernel_magsqIiLb1ELi1024ELi32ELb0EfPKPKDF16_fEviT5_lT_liPT6_PT4_.kd
    .uniform_work_group_size: 1
    .uses_dynamic_stack: false
    .vgpr_count:     10
    .vgpr_spill_count: 0
    .wavefront_size: 64
  - .agpr_count:     0
    .args:
      - .offset:         0
        .size:           4
        .value_kind:     by_value
      - .actual_access:  read_only
        .address_space:  global
        .offset:         8
        .size:           8
        .value_kind:     global_buffer
      - .offset:         16
        .size:           8
        .value_kind:     by_value
      - .offset:         24
        .size:           4
        .value_kind:     by_value
      - .offset:         32
        .size:           8
        .value_kind:     by_value
      - .actual_access:  read_only
        .address_space:  global
        .offset:         40
        .size:           8
        .value_kind:     global_buffer
      - .offset:         48
        .size:           8
        .value_kind:     by_value
      - .offset:         56
        .size:           4
        .value_kind:     by_value
      - .offset:         64
        .size:           8
        .value_kind:     by_value
      - .actual_access:  read_only
        .address_space:  global
        .offset:         72
        .size:           8
        .value_kind:     global_buffer
      - .actual_access:  read_only
        .address_space:  global
        .offset:         80
        .size:           8
        .value_kind:     global_buffer
    .group_segment_fixed_size: 0
    .kernarg_segment_align: 8
    .kernarg_segment_size: 88
    .language:       OpenCL C
    .language_version:
      - 2
      - 0
    .max_flat_workgroup_size: 1024
    .name:           _ZL38rocblas_dot_kernel_gfx942_float_doubleIiLi1024EfPKPKDF16_fEviT2_lT_lS4_lS5_lPT3_PT1_
    .private_segment_fixed_size: 0
    .sgpr_count:     4
    .sgpr_spill_count: 0
    .symbol:         _ZL38rocblas_dot_kernel_gfx942_float_doubleIiLi1024EfPKPKDF16_fEviT2_lT_lS4_lS5_lPT3_PT1_.kd
    .uniform_work_group_size: 1
    .uses_dynamic_stack: false
    .vgpr_count:     0
    .vgpr_spill_count: 0
    .wavefront_size: 64
  - .agpr_count:     0
    .args:
      - .offset:         0
        .size:           4
        .value_kind:     by_value
      - .actual_access:  read_only
        .address_space:  global
        .offset:         8
        .size:           8
        .value_kind:     global_buffer
      - .offset:         16
        .size:           8
        .value_kind:     by_value
      - .offset:         24
        .size:           4
        .value_kind:     by_value
      - .offset:         32
        .size:           8
        .value_kind:     by_value
      - .actual_access:  read_only
        .address_space:  global
        .offset:         40
        .size:           8
        .value_kind:     global_buffer
      - .offset:         48
        .size:           8
        .value_kind:     by_value
      - .offset:         56
        .size:           4
        .value_kind:     by_value
      - .offset:         64
        .size:           8
        .value_kind:     by_value
      - .offset:         72
        .size:           4
        .value_kind:     by_value
      - .actual_access:  write_only
        .address_space:  global
        .offset:         80
        .size:           8
        .value_kind:     global_buffer
      - .actual_access:  write_only
        .address_space:  global
        .offset:         88
        .size:           8
        .value_kind:     global_buffer
      - .offset:         96
        .size:           4
        .value_kind:     hidden_block_count_x
      - .offset:         100
        .size:           4
        .value_kind:     hidden_block_count_y
      - .offset:         104
        .size:           4
        .value_kind:     hidden_block_count_z
      - .offset:         108
        .size:           2
        .value_kind:     hidden_group_size_x
      - .offset:         110
        .size:           2
        .value_kind:     hidden_group_size_y
      - .offset:         112
        .size:           2
        .value_kind:     hidden_group_size_z
      - .offset:         114
        .size:           2
        .value_kind:     hidden_remainder_x
      - .offset:         116
        .size:           2
        .value_kind:     hidden_remainder_y
      - .offset:         118
        .size:           2
        .value_kind:     hidden_remainder_z
      - .offset:         136
        .size:           8
        .value_kind:     hidden_global_offset_x
      - .offset:         144
        .size:           8
        .value_kind:     hidden_global_offset_y
      - .offset:         152
        .size:           8
        .value_kind:     hidden_global_offset_z
      - .offset:         160
        .size:           2
        .value_kind:     hidden_grid_dims
    .group_segment_fixed_size: 256
    .kernarg_segment_align: 8
    .kernarg_segment_size: 352
    .language:       OpenCL C
    .language_version:
      - 2
      - 0
    .max_flat_workgroup_size: 512
    .name:           _ZL18rocblas_dot_kernelIiLb0ELi512ELi4ELb0EfPKPKDF16_fEviT5_lT_lS4_lS5_liPT6_PT4_
    .private_segment_fixed_size: 0
    .sgpr_count:     32
    .sgpr_spill_count: 0
    .symbol:         _ZL18rocblas_dot_kernelIiLb0ELi512ELi4ELb0EfPKPKDF16_fEviT5_lT_lS4_lS5_liPT6_PT4_.kd
    .uniform_work_group_size: 1
    .uses_dynamic_stack: false
    .vgpr_count:     11
    .vgpr_spill_count: 0
    .wavefront_size: 64
  - .agpr_count:     0
    .args:
      - .offset:         0
        .size:           4
        .value_kind:     by_value
      - .actual_access:  read_only
        .address_space:  global
        .offset:         8
        .size:           8
        .value_kind:     global_buffer
      - .offset:         16
        .size:           8
        .value_kind:     by_value
      - .offset:         24
        .size:           4
        .value_kind:     by_value
      - .offset:         32
        .size:           8
        .value_kind:     by_value
      - .offset:         40
        .size:           4
        .value_kind:     by_value
      - .actual_access:  write_only
        .address_space:  global
        .offset:         48
        .size:           8
        .value_kind:     global_buffer
      - .actual_access:  write_only
        .address_space:  global
        .offset:         56
        .size:           8
        .value_kind:     global_buffer
      - .offset:         64
        .size:           4
        .value_kind:     hidden_block_count_x
      - .offset:         68
        .size:           4
        .value_kind:     hidden_block_count_y
      - .offset:         72
        .size:           4
        .value_kind:     hidden_block_count_z
      - .offset:         76
        .size:           2
        .value_kind:     hidden_group_size_x
      - .offset:         78
        .size:           2
        .value_kind:     hidden_group_size_y
      - .offset:         80
        .size:           2
        .value_kind:     hidden_group_size_z
      - .offset:         82
        .size:           2
        .value_kind:     hidden_remainder_x
      - .offset:         84
        .size:           2
        .value_kind:     hidden_remainder_y
      - .offset:         86
        .size:           2
        .value_kind:     hidden_remainder_z
      - .offset:         104
        .size:           8
        .value_kind:     hidden_global_offset_x
      - .offset:         112
        .size:           8
        .value_kind:     hidden_global_offset_y
      - .offset:         120
        .size:           8
        .value_kind:     hidden_global_offset_z
      - .offset:         128
        .size:           2
        .value_kind:     hidden_grid_dims
    .group_segment_fixed_size: 256
    .kernarg_segment_align: 8
    .kernarg_segment_size: 320
    .language:       OpenCL C
    .language_version:
      - 2
      - 0
    .max_flat_workgroup_size: 512
    .name:           _ZL24rocblas_dot_kernel_magsqIiLb0ELi512ELi4ELb0EfPKPKDF16_fEviT5_lT_liPT6_PT4_
    .private_segment_fixed_size: 0
    .sgpr_count:     28
    .sgpr_spill_count: 0
    .symbol:         _ZL24rocblas_dot_kernel_magsqIiLb0ELi512ELi4ELb0EfPKPKDF16_fEviT5_lT_liPT6_PT4_.kd
    .uniform_work_group_size: 1
    .uses_dynamic_stack: false
    .vgpr_count:     9
    .vgpr_spill_count: 0
    .wavefront_size: 64
  - .agpr_count:     0
    .args:
      - .offset:         0
        .size:           4
        .value_kind:     by_value
      - .actual_access:  read_only
        .address_space:  global
        .offset:         8
        .size:           8
        .value_kind:     global_buffer
      - .offset:         16
        .size:           8
        .value_kind:     by_value
      - .offset:         24
        .size:           8
        .value_kind:     by_value
      - .offset:         32
        .size:           8
        .value_kind:     by_value
      - .actual_access:  read_only
        .address_space:  global
        .offset:         40
        .size:           8
        .value_kind:     global_buffer
      - .offset:         48
        .size:           8
        .value_kind:     by_value
      - .offset:         56
        .size:           8
        .value_kind:     by_value
      - .offset:         64
        .size:           8
        .value_kind:     by_value
      - .offset:         72
        .size:           4
        .value_kind:     by_value
      - .actual_access:  write_only
        .address_space:  global
        .offset:         80
        .size:           8
        .value_kind:     global_buffer
    .group_segment_fixed_size: 0
    .kernarg_segment_align: 8
    .kernarg_segment_size: 88
    .language:       OpenCL C
    .language_version:
      - 2
      - 0
    .max_flat_workgroup_size: 128
    .name:           _ZL28rocblas_dot_batched_4_kernelIlLi32ELi4ELb0EfDF16_PKPKDF16_EviT5_lT_lS4_lS5_liPT4_
    .private_segment_fixed_size: 0
    .sgpr_count:     24
    .sgpr_spill_count: 0
    .symbol:         _ZL28rocblas_dot_batched_4_kernelIlLi32ELi4ELb0EfDF16_PKPKDF16_EviT5_lT_lS4_lS5_liPT4_.kd
    .uniform_work_group_size: 1
    .uses_dynamic_stack: false
    .vgpr_count:     20
    .vgpr_spill_count: 0
    .wavefront_size: 64
  - .agpr_count:     0
    .args:
      - .offset:         0
        .size:           4
        .value_kind:     by_value
      - .actual_access:  read_only
        .address_space:  global
        .offset:         8
        .size:           8
        .value_kind:     global_buffer
      - .offset:         16
        .size:           8
        .value_kind:     by_value
      - .offset:         24
        .size:           8
        .value_kind:     by_value
      - .offset:         32
        .size:           8
        .value_kind:     by_value
      - .actual_access:  read_only
        .address_space:  global
        .offset:         40
        .size:           8
        .value_kind:     global_buffer
      - .offset:         48
        .size:           8
        .value_kind:     by_value
      - .offset:         56
        .size:           8
        .value_kind:     by_value
      - .offset:         64
        .size:           8
        .value_kind:     by_value
      - .offset:         72
        .size:           4
        .value_kind:     by_value
      - .actual_access:  write_only
        .address_space:  global
        .offset:         80
        .size:           8
        .value_kind:     global_buffer
    .group_segment_fixed_size: 0
    .kernarg_segment_align: 8
    .kernarg_segment_size: 88
    .language:       OpenCL C
    .language_version:
      - 2
      - 0
    .max_flat_workgroup_size: 256
    .name:           _ZL28rocblas_dot_batched_4_kernelIlLi64ELi4ELb0EfDF16_PKPKDF16_EviT5_lT_lS4_lS5_liPT4_
    .private_segment_fixed_size: 0
    .sgpr_count:     24
    .sgpr_spill_count: 0
    .symbol:         _ZL28rocblas_dot_batched_4_kernelIlLi64ELi4ELb0EfDF16_PKPKDF16_EviT5_lT_lS4_lS5_liPT4_.kd
    .uniform_work_group_size: 1
    .uses_dynamic_stack: false
    .vgpr_count:     20
    .vgpr_spill_count: 0
    .wavefront_size: 64
  - .agpr_count:     0
    .args:
      - .offset:         0
        .size:           4
        .value_kind:     by_value
      - .actual_access:  read_only
        .address_space:  global
        .offset:         8
        .size:           8
        .value_kind:     global_buffer
      - .offset:         16
        .size:           8
        .value_kind:     by_value
      - .offset:         24
        .size:           8
        .value_kind:     by_value
      - .offset:         32
        .size:           8
        .value_kind:     by_value
      - .actual_access:  read_only
        .address_space:  global
        .offset:         40
        .size:           8
        .value_kind:     global_buffer
      - .offset:         48
        .size:           8
        .value_kind:     by_value
      - .offset:         56
        .size:           8
        .value_kind:     by_value
      - .offset:         64
        .size:           8
        .value_kind:     by_value
      - .offset:         72
        .size:           4
        .value_kind:     by_value
      - .actual_access:  read_only
        .address_space:  global
        .offset:         80
        .size:           8
        .value_kind:     global_buffer
      - .actual_access:  write_only
        .address_space:  global
        .offset:         88
        .size:           8
        .value_kind:     global_buffer
      - .offset:         96
        .size:           4
        .value_kind:     hidden_block_count_x
      - .offset:         100
        .size:           4
        .value_kind:     hidden_block_count_y
      - .offset:         104
        .size:           4
        .value_kind:     hidden_block_count_z
      - .offset:         108
        .size:           2
        .value_kind:     hidden_group_size_x
      - .offset:         110
        .size:           2
        .value_kind:     hidden_group_size_y
      - .offset:         112
        .size:           2
        .value_kind:     hidden_group_size_z
      - .offset:         114
        .size:           2
        .value_kind:     hidden_remainder_x
      - .offset:         116
        .size:           2
        .value_kind:     hidden_remainder_y
      - .offset:         118
        .size:           2
        .value_kind:     hidden_remainder_z
      - .offset:         136
        .size:           8
        .value_kind:     hidden_global_offset_x
      - .offset:         144
        .size:           8
        .value_kind:     hidden_global_offset_y
      - .offset:         152
        .size:           8
        .value_kind:     hidden_global_offset_z
      - .offset:         160
        .size:           2
        .value_kind:     hidden_grid_dims
    .group_segment_fixed_size: 256
    .kernarg_segment_align: 8
    .kernarg_segment_size: 352
    .language:       OpenCL C
    .language_version:
      - 2
      - 0
    .max_flat_workgroup_size: 1024
    .name:           _ZL18rocblas_dot_kernelIlLb1ELi1024ELi32ELb0EDF16_PKPKDF16_fEviT5_lT_lS4_lS5_liPT6_PT4_
    .private_segment_fixed_size: 0
    .sgpr_count:     30
    .sgpr_spill_count: 0
    .symbol:         _ZL18rocblas_dot_kernelIlLb1ELi1024ELi32ELb0EDF16_PKPKDF16_fEviT5_lT_lS4_lS5_liPT6_PT4_.kd
    .uniform_work_group_size: 1
    .uses_dynamic_stack: false
    .vgpr_count:     11
    .vgpr_spill_count: 0
    .wavefront_size: 64
  - .agpr_count:     0
    .args:
      - .offset:         0
        .size:           4
        .value_kind:     by_value
      - .actual_access:  read_only
        .address_space:  global
        .offset:         8
        .size:           8
        .value_kind:     global_buffer
      - .offset:         16
        .size:           8
        .value_kind:     by_value
      - .offset:         24
        .size:           8
        .value_kind:     by_value
      - .offset:         32
        .size:           8
        .value_kind:     by_value
      - .offset:         40
        .size:           4
        .value_kind:     by_value
      - .actual_access:  read_only
        .address_space:  global
        .offset:         48
        .size:           8
        .value_kind:     global_buffer
      - .actual_access:  write_only
        .address_space:  global
        .offset:         56
        .size:           8
        .value_kind:     global_buffer
      - .offset:         64
        .size:           4
        .value_kind:     hidden_block_count_x
      - .offset:         68
        .size:           4
        .value_kind:     hidden_block_count_y
      - .offset:         72
        .size:           4
        .value_kind:     hidden_block_count_z
      - .offset:         76
        .size:           2
        .value_kind:     hidden_group_size_x
      - .offset:         78
        .size:           2
        .value_kind:     hidden_group_size_y
      - .offset:         80
        .size:           2
        .value_kind:     hidden_group_size_z
      - .offset:         82
        .size:           2
        .value_kind:     hidden_remainder_x
      - .offset:         84
        .size:           2
        .value_kind:     hidden_remainder_y
      - .offset:         86
        .size:           2
        .value_kind:     hidden_remainder_z
      - .offset:         104
        .size:           8
        .value_kind:     hidden_global_offset_x
      - .offset:         112
        .size:           8
        .value_kind:     hidden_global_offset_y
      - .offset:         120
        .size:           8
        .value_kind:     hidden_global_offset_z
      - .offset:         128
        .size:           2
        .value_kind:     hidden_grid_dims
    .group_segment_fixed_size: 256
    .kernarg_segment_align: 8
    .kernarg_segment_size: 320
    .language:       OpenCL C
    .language_version:
      - 2
      - 0
    .max_flat_workgroup_size: 1024
    .name:           _ZL24rocblas_dot_kernel_magsqIlLb1ELi1024ELi32ELb0EDF16_PKPKDF16_fEviT5_lT_liPT6_PT4_
    .private_segment_fixed_size: 0
    .sgpr_count:     24
    .sgpr_spill_count: 0
    .symbol:         _ZL24rocblas_dot_kernel_magsqIlLb1ELi1024ELi32ELb0EDF16_PKPKDF16_fEviT5_lT_liPT6_PT4_.kd
    .uniform_work_group_size: 1
    .uses_dynamic_stack: false
    .vgpr_count:     10
    .vgpr_spill_count: 0
    .wavefront_size: 64
  - .agpr_count:     0
    .args:
      - .offset:         0
        .size:           4
        .value_kind:     by_value
      - .actual_access:  read_only
        .address_space:  global
        .offset:         8
        .size:           8
        .value_kind:     global_buffer
      - .offset:         16
        .size:           8
        .value_kind:     by_value
      - .offset:         24
        .size:           8
        .value_kind:     by_value
      - .offset:         32
        .size:           8
        .value_kind:     by_value
      - .actual_access:  read_only
        .address_space:  global
        .offset:         40
        .size:           8
        .value_kind:     global_buffer
      - .offset:         48
        .size:           8
        .value_kind:     by_value
      - .offset:         56
        .size:           8
        .value_kind:     by_value
      - .offset:         64
        .size:           8
        .value_kind:     by_value
      - .actual_access:  read_only
        .address_space:  global
        .offset:         72
        .size:           8
        .value_kind:     global_buffer
      - .actual_access:  read_only
        .address_space:  global
        .offset:         80
        .size:           8
        .value_kind:     global_buffer
    .group_segment_fixed_size: 0
    .kernarg_segment_align: 8
    .kernarg_segment_size: 88
    .language:       OpenCL C
    .language_version:
      - 2
      - 0
    .max_flat_workgroup_size: 1024
    .name:           _ZL38rocblas_dot_kernel_gfx942_float_doubleIlLi1024EDF16_PKPKDF16_fEviT2_lT_lS4_lS5_lPT3_PT1_
    .private_segment_fixed_size: 0
    .sgpr_count:     4
    .sgpr_spill_count: 0
    .symbol:         _ZL38rocblas_dot_kernel_gfx942_float_doubleIlLi1024EDF16_PKPKDF16_fEviT2_lT_lS4_lS5_lPT3_PT1_.kd
    .uniform_work_group_size: 1
    .uses_dynamic_stack: false
    .vgpr_count:     0
    .vgpr_spill_count: 0
    .wavefront_size: 64
  - .agpr_count:     0
    .args:
      - .offset:         0
        .size:           4
        .value_kind:     by_value
      - .actual_access:  read_only
        .address_space:  global
        .offset:         8
        .size:           8
        .value_kind:     global_buffer
      - .offset:         16
        .size:           8
        .value_kind:     by_value
      - .offset:         24
        .size:           8
        .value_kind:     by_value
      - .offset:         32
        .size:           8
        .value_kind:     by_value
      - .actual_access:  read_only
        .address_space:  global
        .offset:         40
        .size:           8
        .value_kind:     global_buffer
      - .offset:         48
        .size:           8
        .value_kind:     by_value
      - .offset:         56
        .size:           8
        .value_kind:     by_value
      - .offset:         64
        .size:           8
        .value_kind:     by_value
      - .offset:         72
        .size:           4
        .value_kind:     by_value
      - .actual_access:  write_only
        .address_space:  global
        .offset:         80
        .size:           8
        .value_kind:     global_buffer
      - .actual_access:  write_only
        .address_space:  global
        .offset:         88
        .size:           8
        .value_kind:     global_buffer
      - .offset:         96
        .size:           4
        .value_kind:     hidden_block_count_x
      - .offset:         100
        .size:           4
        .value_kind:     hidden_block_count_y
      - .offset:         104
        .size:           4
        .value_kind:     hidden_block_count_z
      - .offset:         108
        .size:           2
        .value_kind:     hidden_group_size_x
      - .offset:         110
        .size:           2
        .value_kind:     hidden_group_size_y
      - .offset:         112
        .size:           2
        .value_kind:     hidden_group_size_z
      - .offset:         114
        .size:           2
        .value_kind:     hidden_remainder_x
      - .offset:         116
        .size:           2
        .value_kind:     hidden_remainder_y
      - .offset:         118
        .size:           2
        .value_kind:     hidden_remainder_z
      - .offset:         136
        .size:           8
        .value_kind:     hidden_global_offset_x
      - .offset:         144
        .size:           8
        .value_kind:     hidden_global_offset_y
      - .offset:         152
        .size:           8
        .value_kind:     hidden_global_offset_z
      - .offset:         160
        .size:           2
        .value_kind:     hidden_grid_dims
    .group_segment_fixed_size: 256
    .kernarg_segment_align: 8
    .kernarg_segment_size: 352
    .language:       OpenCL C
    .language_version:
      - 2
      - 0
    .max_flat_workgroup_size: 512
    .name:           _ZL18rocblas_dot_kernelIlLb0ELi512ELi8ELb0EDF16_PKPKDF16_fEviT5_lT_lS4_lS5_liPT6_PT4_
    .private_segment_fixed_size: 0
    .sgpr_count:     30
    .sgpr_spill_count: 0
    .symbol:         _ZL18rocblas_dot_kernelIlLb0ELi512ELi8ELb0EDF16_PKPKDF16_fEviT5_lT_lS4_lS5_liPT6_PT4_.kd
    .uniform_work_group_size: 1
    .uses_dynamic_stack: false
    .vgpr_count:     11
    .vgpr_spill_count: 0
    .wavefront_size: 64
  - .agpr_count:     0
    .args:
      - .offset:         0
        .size:           4
        .value_kind:     by_value
      - .actual_access:  read_only
        .address_space:  global
        .offset:         8
        .size:           8
        .value_kind:     global_buffer
      - .offset:         16
        .size:           8
        .value_kind:     by_value
      - .offset:         24
        .size:           8
        .value_kind:     by_value
      - .offset:         32
        .size:           8
        .value_kind:     by_value
      - .offset:         40
        .size:           4
        .value_kind:     by_value
      - .actual_access:  write_only
        .address_space:  global
        .offset:         48
        .size:           8
        .value_kind:     global_buffer
      - .actual_access:  write_only
        .address_space:  global
        .offset:         56
        .size:           8
        .value_kind:     global_buffer
      - .offset:         64
        .size:           4
        .value_kind:     hidden_block_count_x
      - .offset:         68
        .size:           4
        .value_kind:     hidden_block_count_y
      - .offset:         72
        .size:           4
        .value_kind:     hidden_block_count_z
      - .offset:         76
        .size:           2
        .value_kind:     hidden_group_size_x
      - .offset:         78
        .size:           2
        .value_kind:     hidden_group_size_y
      - .offset:         80
        .size:           2
        .value_kind:     hidden_group_size_z
      - .offset:         82
        .size:           2
        .value_kind:     hidden_remainder_x
      - .offset:         84
        .size:           2
        .value_kind:     hidden_remainder_y
      - .offset:         86
        .size:           2
        .value_kind:     hidden_remainder_z
      - .offset:         104
        .size:           8
        .value_kind:     hidden_global_offset_x
      - .offset:         112
        .size:           8
        .value_kind:     hidden_global_offset_y
      - .offset:         120
        .size:           8
        .value_kind:     hidden_global_offset_z
      - .offset:         128
        .size:           2
        .value_kind:     hidden_grid_dims
    .group_segment_fixed_size: 256
    .kernarg_segment_align: 8
    .kernarg_segment_size: 320
    .language:       OpenCL C
    .language_version:
      - 2
      - 0
    .max_flat_workgroup_size: 512
    .name:           _ZL24rocblas_dot_kernel_magsqIlLb0ELi512ELi8ELb0EDF16_PKPKDF16_fEviT5_lT_liPT6_PT4_
    .private_segment_fixed_size: 0
    .sgpr_count:     28
    .sgpr_spill_count: 0
    .symbol:         _ZL24rocblas_dot_kernel_magsqIlLb0ELi512ELi8ELb0EDF16_PKPKDF16_fEviT5_lT_liPT6_PT4_.kd
    .uniform_work_group_size: 1
    .uses_dynamic_stack: false
    .vgpr_count:     9
    .vgpr_spill_count: 0
    .wavefront_size: 64
  - .agpr_count:     0
    .args:
      - .offset:         0
        .size:           4
        .value_kind:     by_value
      - .actual_access:  read_only
        .address_space:  global
        .offset:         8
        .size:           8
        .value_kind:     global_buffer
      - .offset:         16
        .size:           8
        .value_kind:     by_value
      - .offset:         24
        .size:           4
        .value_kind:     by_value
      - .offset:         32
        .size:           8
        .value_kind:     by_value
      - .actual_access:  read_only
        .address_space:  global
        .offset:         40
        .size:           8
        .value_kind:     global_buffer
      - .offset:         48
        .size:           8
        .value_kind:     by_value
      - .offset:         56
        .size:           4
        .value_kind:     by_value
      - .offset:         64
        .size:           8
        .value_kind:     by_value
      - .offset:         72
        .size:           4
        .value_kind:     by_value
      - .actual_access:  write_only
        .address_space:  global
        .offset:         80
        .size:           8
        .value_kind:     global_buffer
    .group_segment_fixed_size: 0
    .kernarg_segment_align: 8
    .kernarg_segment_size: 88
    .language:       OpenCL C
    .language_version:
      - 2
      - 0
    .max_flat_workgroup_size: 128
    .name:           _ZL28rocblas_dot_batched_4_kernelIiLi32ELi4ELb0EddPKfEviT5_lT_lS2_lS3_liPT4_
    .private_segment_fixed_size: 0
    .sgpr_count:     28
    .sgpr_spill_count: 0
    .symbol:         _ZL28rocblas_dot_batched_4_kernelIiLi32ELi4ELb0EddPKfEviT5_lT_lS2_lS3_liPT4_.kd
    .uniform_work_group_size: 1
    .uses_dynamic_stack: false
    .vgpr_count:     16
    .vgpr_spill_count: 0
    .wavefront_size: 64
  - .agpr_count:     0
    .args:
      - .offset:         0
        .size:           4
        .value_kind:     by_value
      - .actual_access:  read_only
        .address_space:  global
        .offset:         8
        .size:           8
        .value_kind:     global_buffer
      - .offset:         16
        .size:           8
        .value_kind:     by_value
      - .offset:         24
        .size:           4
        .value_kind:     by_value
      - .offset:         32
        .size:           8
        .value_kind:     by_value
      - .actual_access:  read_only
        .address_space:  global
        .offset:         40
        .size:           8
        .value_kind:     global_buffer
      - .offset:         48
        .size:           8
        .value_kind:     by_value
      - .offset:         56
        .size:           4
        .value_kind:     by_value
      - .offset:         64
        .size:           8
        .value_kind:     by_value
      - .offset:         72
        .size:           4
        .value_kind:     by_value
      - .actual_access:  write_only
        .address_space:  global
        .offset:         80
        .size:           8
        .value_kind:     global_buffer
    .group_segment_fixed_size: 0
    .kernarg_segment_align: 8
    .kernarg_segment_size: 88
    .language:       OpenCL C
    .language_version:
      - 2
      - 0
    .max_flat_workgroup_size: 256
    .name:           _ZL28rocblas_dot_batched_4_kernelIiLi64ELi4ELb0EddPKfEviT5_lT_lS2_lS3_liPT4_
    .private_segment_fixed_size: 0
    .sgpr_count:     28
    .sgpr_spill_count: 0
    .symbol:         _ZL28rocblas_dot_batched_4_kernelIiLi64ELi4ELb0EddPKfEviT5_lT_lS2_lS3_liPT4_.kd
    .uniform_work_group_size: 1
    .uses_dynamic_stack: false
    .vgpr_count:     16
    .vgpr_spill_count: 0
    .wavefront_size: 64
  - .agpr_count:     0
    .args:
      - .offset:         0
        .size:           4
        .value_kind:     by_value
      - .actual_access:  read_only
        .address_space:  global
        .offset:         8
        .size:           8
        .value_kind:     global_buffer
      - .offset:         16
        .size:           8
        .value_kind:     by_value
      - .offset:         24
        .size:           8
        .value_kind:     by_value
      - .actual_access:  read_only
        .address_space:  global
        .offset:         32
        .size:           8
        .value_kind:     global_buffer
      - .offset:         40
        .size:           8
        .value_kind:     by_value
      - .offset:         48
        .size:           8
        .value_kind:     by_value
      - .offset:         56
        .size:           4
        .value_kind:     by_value
      - .actual_access:  read_only
        .address_space:  global
        .offset:         64
        .size:           8
        .value_kind:     global_buffer
      - .actual_access:  write_only
        .address_space:  global
        .offset:         72
        .size:           8
        .value_kind:     global_buffer
    .group_segment_fixed_size: 512
    .kernarg_segment_align: 8
    .kernarg_segment_size: 80
    .language:       OpenCL C
    .language_version:
      - 2
      - 0
    .max_flat_workgroup_size: 1024
    .name:           _ZL26rocblas_dot_kernel_inc1by2ILb1ELi1024ELi32ELb0EdPKfdEviT4_llS2_lliPT5_PT3_
    .private_segment_fixed_size: 0
    .sgpr_count:     26
    .sgpr_spill_count: 0
    .symbol:         _ZL26rocblas_dot_kernel_inc1by2ILb1ELi1024ELi32ELb0EdPKfdEviT4_llS2_lliPT5_PT3_.kd
    .uniform_work_group_size: 1
    .uses_dynamic_stack: false
    .vgpr_count:     12
    .vgpr_spill_count: 0
    .wavefront_size: 64
  - .agpr_count:     0
    .args:
      - .offset:         0
        .size:           4
        .value_kind:     by_value
      - .actual_access:  read_only
        .address_space:  global
        .offset:         8
        .size:           8
        .value_kind:     global_buffer
      - .offset:         16
        .size:           8
        .value_kind:     by_value
      - .offset:         24
        .size:           4
        .value_kind:     by_value
      - .offset:         32
        .size:           8
        .value_kind:     by_value
      - .actual_access:  read_only
        .address_space:  global
        .offset:         40
        .size:           8
        .value_kind:     global_buffer
      - .offset:         48
        .size:           8
        .value_kind:     by_value
      - .offset:         56
        .size:           4
        .value_kind:     by_value
      - .offset:         64
        .size:           8
        .value_kind:     by_value
      - .offset:         72
        .size:           4
        .value_kind:     by_value
      - .actual_access:  read_only
        .address_space:  global
        .offset:         80
        .size:           8
        .value_kind:     global_buffer
      - .actual_access:  write_only
        .address_space:  global
        .offset:         88
        .size:           8
        .value_kind:     global_buffer
      - .offset:         96
        .size:           4
        .value_kind:     hidden_block_count_x
      - .offset:         100
        .size:           4
        .value_kind:     hidden_block_count_y
      - .offset:         104
        .size:           4
        .value_kind:     hidden_block_count_z
      - .offset:         108
        .size:           2
        .value_kind:     hidden_group_size_x
      - .offset:         110
        .size:           2
        .value_kind:     hidden_group_size_y
      - .offset:         112
        .size:           2
        .value_kind:     hidden_group_size_z
      - .offset:         114
        .size:           2
        .value_kind:     hidden_remainder_x
      - .offset:         116
        .size:           2
        .value_kind:     hidden_remainder_y
      - .offset:         118
        .size:           2
        .value_kind:     hidden_remainder_z
      - .offset:         136
        .size:           8
        .value_kind:     hidden_global_offset_x
      - .offset:         144
        .size:           8
        .value_kind:     hidden_global_offset_y
      - .offset:         152
        .size:           8
        .value_kind:     hidden_global_offset_z
      - .offset:         160
        .size:           2
        .value_kind:     hidden_grid_dims
    .group_segment_fixed_size: 512
    .kernarg_segment_align: 8
    .kernarg_segment_size: 352
    .language:       OpenCL C
    .language_version:
      - 2
      - 0
    .max_flat_workgroup_size: 1024
    .name:           _ZL18rocblas_dot_kernelIiLb1ELi1024ELi32ELb0EdPKfdEviT5_lT_lS2_lS3_liPT6_PT4_
    .private_segment_fixed_size: 0
    .sgpr_count:     28
    .sgpr_spill_count: 0
    .symbol:         _ZL18rocblas_dot_kernelIiLb1ELi1024ELi32ELb0EdPKfdEviT5_lT_lS2_lS3_liPT6_PT4_.kd
    .uniform_work_group_size: 1
    .uses_dynamic_stack: false
    .vgpr_count:     14
    .vgpr_spill_count: 0
    .wavefront_size: 64
  - .agpr_count:     0
    .args:
      - .offset:         0
        .size:           4
        .value_kind:     by_value
      - .actual_access:  read_only
        .address_space:  global
        .offset:         8
        .size:           8
        .value_kind:     global_buffer
      - .offset:         16
        .size:           8
        .value_kind:     by_value
      - .offset:         24
        .size:           4
        .value_kind:     by_value
      - .offset:         32
        .size:           8
        .value_kind:     by_value
      - .offset:         40
        .size:           4
        .value_kind:     by_value
      - .actual_access:  read_only
        .address_space:  global
        .offset:         48
        .size:           8
        .value_kind:     global_buffer
      - .actual_access:  write_only
        .address_space:  global
        .offset:         56
        .size:           8
        .value_kind:     global_buffer
      - .offset:         64
        .size:           4
        .value_kind:     hidden_block_count_x
      - .offset:         68
        .size:           4
        .value_kind:     hidden_block_count_y
      - .offset:         72
        .size:           4
        .value_kind:     hidden_block_count_z
      - .offset:         76
        .size:           2
        .value_kind:     hidden_group_size_x
      - .offset:         78
        .size:           2
        .value_kind:     hidden_group_size_y
      - .offset:         80
        .size:           2
        .value_kind:     hidden_group_size_z
      - .offset:         82
        .size:           2
        .value_kind:     hidden_remainder_x
      - .offset:         84
        .size:           2
        .value_kind:     hidden_remainder_y
      - .offset:         86
        .size:           2
        .value_kind:     hidden_remainder_z
      - .offset:         104
        .size:           8
        .value_kind:     hidden_global_offset_x
      - .offset:         112
        .size:           8
        .value_kind:     hidden_global_offset_y
      - .offset:         120
        .size:           8
        .value_kind:     hidden_global_offset_z
      - .offset:         128
        .size:           2
        .value_kind:     hidden_grid_dims
    .group_segment_fixed_size: 512
    .kernarg_segment_align: 8
    .kernarg_segment_size: 320
    .language:       OpenCL C
    .language_version:
      - 2
      - 0
    .max_flat_workgroup_size: 1024
    .name:           _ZL24rocblas_dot_kernel_magsqIiLb1ELi1024ELi32ELb0EdPKfdEviT5_lT_liPT6_PT4_
    .private_segment_fixed_size: 0
    .sgpr_count:     24
    .sgpr_spill_count: 0
    .symbol:         _ZL24rocblas_dot_kernel_magsqIiLb1ELi1024ELi32ELb0EdPKfdEviT5_lT_liPT6_PT4_.kd
    .uniform_work_group_size: 1
    .uses_dynamic_stack: false
    .vgpr_count:     12
    .vgpr_spill_count: 0
    .wavefront_size: 64
  - .agpr_count:     0
    .args:
      - .offset:         0
        .size:           4
        .value_kind:     by_value
      - .actual_access:  read_only
        .address_space:  global
        .offset:         8
        .size:           8
        .value_kind:     global_buffer
      - .offset:         16
        .size:           8
        .value_kind:     by_value
      - .offset:         24
        .size:           4
        .value_kind:     by_value
      - .offset:         32
        .size:           8
        .value_kind:     by_value
      - .actual_access:  read_only
        .address_space:  global
        .offset:         40
        .size:           8
        .value_kind:     global_buffer
      - .offset:         48
        .size:           8
        .value_kind:     by_value
      - .offset:         56
        .size:           4
        .value_kind:     by_value
      - .offset:         64
        .size:           8
        .value_kind:     by_value
      - .actual_access:  read_only
        .address_space:  global
        .offset:         72
        .size:           8
        .value_kind:     global_buffer
      - .actual_access:  read_only
        .address_space:  global
        .offset:         80
        .size:           8
        .value_kind:     global_buffer
    .group_segment_fixed_size: 0
    .kernarg_segment_align: 8
    .kernarg_segment_size: 88
    .language:       OpenCL C
    .language_version:
      - 2
      - 0
    .max_flat_workgroup_size: 1024
    .name:           _ZL38rocblas_dot_kernel_gfx942_float_doubleIiLi1024EdPKfdEviT2_lT_lS2_lS3_lPT3_PT1_
    .private_segment_fixed_size: 0
    .sgpr_count:     4
    .sgpr_spill_count: 0
    .symbol:         _ZL38rocblas_dot_kernel_gfx942_float_doubleIiLi1024EdPKfdEviT2_lT_lS2_lS3_lPT3_PT1_.kd
    .uniform_work_group_size: 1
    .uses_dynamic_stack: false
    .vgpr_count:     0
    .vgpr_spill_count: 0
    .wavefront_size: 64
  - .agpr_count:     0
    .args:
      - .offset:         0
        .size:           4
        .value_kind:     by_value
      - .actual_access:  read_only
        .address_space:  global
        .offset:         8
        .size:           8
        .value_kind:     global_buffer
      - .offset:         16
        .size:           8
        .value_kind:     by_value
      - .offset:         24
        .size:           8
        .value_kind:     by_value
      - .actual_access:  read_only
        .address_space:  global
        .offset:         32
        .size:           8
        .value_kind:     global_buffer
      - .offset:         40
        .size:           8
        .value_kind:     by_value
      - .offset:         48
        .size:           8
        .value_kind:     by_value
      - .offset:         56
        .size:           4
        .value_kind:     by_value
      - .actual_access:  write_only
        .address_space:  global
        .offset:         64
        .size:           8
        .value_kind:     global_buffer
      - .actual_access:  write_only
        .address_space:  global
        .offset:         72
        .size:           8
        .value_kind:     global_buffer
      - .offset:         80
        .size:           4
        .value_kind:     hidden_block_count_x
      - .offset:         84
        .size:           4
        .value_kind:     hidden_block_count_y
      - .offset:         88
        .size:           4
        .value_kind:     hidden_block_count_z
      - .offset:         92
        .size:           2
        .value_kind:     hidden_group_size_x
      - .offset:         94
        .size:           2
        .value_kind:     hidden_group_size_y
      - .offset:         96
        .size:           2
        .value_kind:     hidden_group_size_z
      - .offset:         98
        .size:           2
        .value_kind:     hidden_remainder_x
      - .offset:         100
        .size:           2
        .value_kind:     hidden_remainder_y
      - .offset:         102
        .size:           2
        .value_kind:     hidden_remainder_z
      - .offset:         120
        .size:           8
        .value_kind:     hidden_global_offset_x
      - .offset:         128
        .size:           8
        .value_kind:     hidden_global_offset_y
      - .offset:         136
        .size:           8
        .value_kind:     hidden_global_offset_z
      - .offset:         144
        .size:           2
        .value_kind:     hidden_grid_dims
    .group_segment_fixed_size: 512
    .kernarg_segment_align: 8
    .kernarg_segment_size: 336
    .language:       OpenCL C
    .language_version:
      - 2
      - 0
    .max_flat_workgroup_size: 512
    .name:           _ZL23rocblas_dot_kernel_inc1ILb0ELi512ELi2ELb0EdPKfdEviT4_llS2_lliPT5_PT3_
    .private_segment_fixed_size: 0
    .sgpr_count:     26
    .sgpr_spill_count: 0
    .symbol:         _ZL23rocblas_dot_kernel_inc1ILb0ELi512ELi2ELb0EdPKfdEviT4_llS2_lliPT5_PT3_.kd
    .uniform_work_group_size: 1
    .uses_dynamic_stack: false
    .vgpr_count:     11
    .vgpr_spill_count: 0
    .wavefront_size: 64
  - .agpr_count:     0
    .args:
      - .offset:         0
        .size:           4
        .value_kind:     by_value
      - .actual_access:  read_only
        .address_space:  global
        .offset:         8
        .size:           8
        .value_kind:     global_buffer
      - .offset:         16
        .size:           8
        .value_kind:     by_value
      - .offset:         24
        .size:           4
        .value_kind:     by_value
      - .offset:         32
        .size:           8
        .value_kind:     by_value
      - .actual_access:  read_only
        .address_space:  global
        .offset:         40
        .size:           8
        .value_kind:     global_buffer
      - .offset:         48
        .size:           8
        .value_kind:     by_value
      - .offset:         56
        .size:           4
        .value_kind:     by_value
      - .offset:         64
        .size:           8
        .value_kind:     by_value
      - .offset:         72
        .size:           4
        .value_kind:     by_value
      - .actual_access:  write_only
        .address_space:  global
        .offset:         80
        .size:           8
        .value_kind:     global_buffer
      - .actual_access:  write_only
        .address_space:  global
        .offset:         88
        .size:           8
        .value_kind:     global_buffer
      - .offset:         96
        .size:           4
        .value_kind:     hidden_block_count_x
      - .offset:         100
        .size:           4
        .value_kind:     hidden_block_count_y
      - .offset:         104
        .size:           4
        .value_kind:     hidden_block_count_z
      - .offset:         108
        .size:           2
        .value_kind:     hidden_group_size_x
      - .offset:         110
        .size:           2
        .value_kind:     hidden_group_size_y
      - .offset:         112
        .size:           2
        .value_kind:     hidden_group_size_z
      - .offset:         114
        .size:           2
        .value_kind:     hidden_remainder_x
      - .offset:         116
        .size:           2
        .value_kind:     hidden_remainder_y
      - .offset:         118
        .size:           2
        .value_kind:     hidden_remainder_z
      - .offset:         136
        .size:           8
        .value_kind:     hidden_global_offset_x
      - .offset:         144
        .size:           8
        .value_kind:     hidden_global_offset_y
      - .offset:         152
        .size:           8
        .value_kind:     hidden_global_offset_z
      - .offset:         160
        .size:           2
        .value_kind:     hidden_grid_dims
    .group_segment_fixed_size: 512
    .kernarg_segment_align: 8
    .kernarg_segment_size: 352
    .language:       OpenCL C
    .language_version:
      - 2
      - 0
    .max_flat_workgroup_size: 512
    .name:           _ZL18rocblas_dot_kernelIiLb0ELi512ELi2ELb0EdPKfdEviT5_lT_lS2_lS3_liPT6_PT4_
    .private_segment_fixed_size: 0
    .sgpr_count:     30
    .sgpr_spill_count: 0
    .symbol:         _ZL18rocblas_dot_kernelIiLb0ELi512ELi2ELb0EdPKfdEviT5_lT_lS2_lS3_liPT6_PT4_.kd
    .uniform_work_group_size: 1
    .uses_dynamic_stack: false
    .vgpr_count:     11
    .vgpr_spill_count: 0
    .wavefront_size: 64
  - .agpr_count:     0
    .args:
      - .offset:         0
        .size:           4
        .value_kind:     by_value
      - .actual_access:  read_only
        .address_space:  global
        .offset:         8
        .size:           8
        .value_kind:     global_buffer
      - .offset:         16
        .size:           8
        .value_kind:     by_value
      - .offset:         24
        .size:           4
        .value_kind:     by_value
      - .offset:         32
        .size:           8
        .value_kind:     by_value
      - .offset:         40
        .size:           4
        .value_kind:     by_value
      - .actual_access:  write_only
        .address_space:  global
        .offset:         48
        .size:           8
        .value_kind:     global_buffer
      - .actual_access:  write_only
        .address_space:  global
        .offset:         56
        .size:           8
        .value_kind:     global_buffer
      - .offset:         64
        .size:           4
        .value_kind:     hidden_block_count_x
      - .offset:         68
        .size:           4
        .value_kind:     hidden_block_count_y
      - .offset:         72
        .size:           4
        .value_kind:     hidden_block_count_z
      - .offset:         76
        .size:           2
        .value_kind:     hidden_group_size_x
      - .offset:         78
        .size:           2
        .value_kind:     hidden_group_size_y
      - .offset:         80
        .size:           2
        .value_kind:     hidden_group_size_z
      - .offset:         82
        .size:           2
        .value_kind:     hidden_remainder_x
      - .offset:         84
        .size:           2
        .value_kind:     hidden_remainder_y
      - .offset:         86
        .size:           2
        .value_kind:     hidden_remainder_z
      - .offset:         104
        .size:           8
        .value_kind:     hidden_global_offset_x
      - .offset:         112
        .size:           8
        .value_kind:     hidden_global_offset_y
      - .offset:         120
        .size:           8
        .value_kind:     hidden_global_offset_z
      - .offset:         128
        .size:           2
        .value_kind:     hidden_grid_dims
    .group_segment_fixed_size: 512
    .kernarg_segment_align: 8
    .kernarg_segment_size: 320
    .language:       OpenCL C
    .language_version:
      - 2
      - 0
    .max_flat_workgroup_size: 512
    .name:           _ZL24rocblas_dot_kernel_magsqIiLb0ELi512ELi2ELb0EdPKfdEviT5_lT_liPT6_PT4_
    .private_segment_fixed_size: 0
    .sgpr_count:     21
    .sgpr_spill_count: 0
    .symbol:         _ZL24rocblas_dot_kernel_magsqIiLb0ELi512ELi2ELb0EdPKfdEviT5_lT_liPT6_PT4_.kd
    .uniform_work_group_size: 1
    .uses_dynamic_stack: false
    .vgpr_count:     11
    .vgpr_spill_count: 0
    .wavefront_size: 64
  - .agpr_count:     0
    .args:
      - .offset:         0
        .size:           4
        .value_kind:     by_value
      - .actual_access:  read_only
        .address_space:  global
        .offset:         8
        .size:           8
        .value_kind:     global_buffer
      - .actual_access:  write_only
        .address_space:  global
        .offset:         16
        .size:           8
        .value_kind:     global_buffer
    .group_segment_fixed_size: 512
    .kernarg_segment_align: 8
    .kernarg_segment_size: 24
    .language:       OpenCL C
    .language_version:
      - 2
      - 0
    .max_flat_workgroup_size: 512
    .name:           _ZL30rocblas_reduction_kernel_part2ILi512ELi2E25rocblas_finalize_identityddEviPT2_PT3_
    .private_segment_fixed_size: 0
    .sgpr_count:     18
    .sgpr_spill_count: 0
    .symbol:         _ZL30rocblas_reduction_kernel_part2ILi512ELi2E25rocblas_finalize_identityddEviPT2_PT3_.kd
    .uniform_work_group_size: 1
    .uses_dynamic_stack: false
    .vgpr_count:     11
    .vgpr_spill_count: 0
    .wavefront_size: 64
  - .agpr_count:     0
    .args:
      - .offset:         0
        .size:           4
        .value_kind:     by_value
      - .actual_access:  read_only
        .address_space:  global
        .offset:         8
        .size:           8
        .value_kind:     global_buffer
      - .offset:         16
        .size:           8
        .value_kind:     by_value
      - .offset:         24
        .size:           8
        .value_kind:     by_value
      - .offset:         32
        .size:           8
        .value_kind:     by_value
      - .actual_access:  read_only
        .address_space:  global
        .offset:         40
        .size:           8
        .value_kind:     global_buffer
      - .offset:         48
        .size:           8
        .value_kind:     by_value
      - .offset:         56
        .size:           8
        .value_kind:     by_value
      - .offset:         64
        .size:           8
        .value_kind:     by_value
      - .offset:         72
        .size:           4
        .value_kind:     by_value
      - .actual_access:  write_only
        .address_space:  global
        .offset:         80
        .size:           8
        .value_kind:     global_buffer
    .group_segment_fixed_size: 0
    .kernarg_segment_align: 8
    .kernarg_segment_size: 88
    .language:       OpenCL C
    .language_version:
      - 2
      - 0
    .max_flat_workgroup_size: 128
    .name:           _ZL28rocblas_dot_batched_4_kernelIlLi32ELi4ELb0EddPKfEviT5_lT_lS2_lS3_liPT4_
    .private_segment_fixed_size: 0
    .sgpr_count:     28
    .sgpr_spill_count: 0
    .symbol:         _ZL28rocblas_dot_batched_4_kernelIlLi32ELi4ELb0EddPKfEviT5_lT_lS2_lS3_liPT4_.kd
    .uniform_work_group_size: 1
    .uses_dynamic_stack: false
    .vgpr_count:     16
    .vgpr_spill_count: 0
    .wavefront_size: 64
  - .agpr_count:     0
    .args:
      - .offset:         0
        .size:           4
        .value_kind:     by_value
      - .actual_access:  read_only
        .address_space:  global
        .offset:         8
        .size:           8
        .value_kind:     global_buffer
      - .offset:         16
        .size:           8
        .value_kind:     by_value
      - .offset:         24
        .size:           8
        .value_kind:     by_value
      - .offset:         32
        .size:           8
        .value_kind:     by_value
      - .actual_access:  read_only
        .address_space:  global
        .offset:         40
        .size:           8
        .value_kind:     global_buffer
      - .offset:         48
        .size:           8
        .value_kind:     by_value
      - .offset:         56
        .size:           8
        .value_kind:     by_value
      - .offset:         64
        .size:           8
        .value_kind:     by_value
      - .offset:         72
        .size:           4
        .value_kind:     by_value
      - .actual_access:  write_only
        .address_space:  global
        .offset:         80
        .size:           8
        .value_kind:     global_buffer
    .group_segment_fixed_size: 0
    .kernarg_segment_align: 8
    .kernarg_segment_size: 88
    .language:       OpenCL C
    .language_version:
      - 2
      - 0
    .max_flat_workgroup_size: 256
    .name:           _ZL28rocblas_dot_batched_4_kernelIlLi64ELi4ELb0EddPKfEviT5_lT_lS2_lS3_liPT4_
    .private_segment_fixed_size: 0
    .sgpr_count:     28
    .sgpr_spill_count: 0
    .symbol:         _ZL28rocblas_dot_batched_4_kernelIlLi64ELi4ELb0EddPKfEviT5_lT_lS2_lS3_liPT4_.kd
    .uniform_work_group_size: 1
    .uses_dynamic_stack: false
    .vgpr_count:     16
    .vgpr_spill_count: 0
    .wavefront_size: 64
  - .agpr_count:     0
    .args:
      - .offset:         0
        .size:           4
        .value_kind:     by_value
      - .actual_access:  read_only
        .address_space:  global
        .offset:         8
        .size:           8
        .value_kind:     global_buffer
      - .offset:         16
        .size:           8
        .value_kind:     by_value
      - .offset:         24
        .size:           8
        .value_kind:     by_value
      - .offset:         32
        .size:           8
        .value_kind:     by_value
      - .actual_access:  read_only
        .address_space:  global
        .offset:         40
        .size:           8
        .value_kind:     global_buffer
      - .offset:         48
        .size:           8
        .value_kind:     by_value
      - .offset:         56
        .size:           8
        .value_kind:     by_value
      - .offset:         64
        .size:           8
        .value_kind:     by_value
      - .offset:         72
        .size:           4
        .value_kind:     by_value
      - .actual_access:  read_only
        .address_space:  global
        .offset:         80
        .size:           8
        .value_kind:     global_buffer
      - .actual_access:  write_only
        .address_space:  global
        .offset:         88
        .size:           8
        .value_kind:     global_buffer
      - .offset:         96
        .size:           4
        .value_kind:     hidden_block_count_x
      - .offset:         100
        .size:           4
        .value_kind:     hidden_block_count_y
      - .offset:         104
        .size:           4
        .value_kind:     hidden_block_count_z
      - .offset:         108
        .size:           2
        .value_kind:     hidden_group_size_x
      - .offset:         110
        .size:           2
        .value_kind:     hidden_group_size_y
      - .offset:         112
        .size:           2
        .value_kind:     hidden_group_size_z
      - .offset:         114
        .size:           2
        .value_kind:     hidden_remainder_x
      - .offset:         116
        .size:           2
        .value_kind:     hidden_remainder_y
      - .offset:         118
        .size:           2
        .value_kind:     hidden_remainder_z
      - .offset:         136
        .size:           8
        .value_kind:     hidden_global_offset_x
      - .offset:         144
        .size:           8
        .value_kind:     hidden_global_offset_y
      - .offset:         152
        .size:           8
        .value_kind:     hidden_global_offset_z
      - .offset:         160
        .size:           2
        .value_kind:     hidden_grid_dims
    .group_segment_fixed_size: 512
    .kernarg_segment_align: 8
    .kernarg_segment_size: 352
    .language:       OpenCL C
    .language_version:
      - 2
      - 0
    .max_flat_workgroup_size: 1024
    .name:           _ZL18rocblas_dot_kernelIlLb1ELi1024ELi32ELb0EdPKfdEviT5_lT_lS2_lS3_liPT6_PT4_
    .private_segment_fixed_size: 0
    .sgpr_count:     30
    .sgpr_spill_count: 0
    .symbol:         _ZL18rocblas_dot_kernelIlLb1ELi1024ELi32ELb0EdPKfdEviT5_lT_lS2_lS3_liPT6_PT4_.kd
    .uniform_work_group_size: 1
    .uses_dynamic_stack: false
    .vgpr_count:     14
    .vgpr_spill_count: 0
    .wavefront_size: 64
  - .agpr_count:     0
    .args:
      - .offset:         0
        .size:           4
        .value_kind:     by_value
      - .actual_access:  read_only
        .address_space:  global
        .offset:         8
        .size:           8
        .value_kind:     global_buffer
      - .offset:         16
        .size:           8
        .value_kind:     by_value
      - .offset:         24
        .size:           8
        .value_kind:     by_value
      - .offset:         32
        .size:           8
        .value_kind:     by_value
      - .offset:         40
        .size:           4
        .value_kind:     by_value
      - .actual_access:  read_only
        .address_space:  global
        .offset:         48
        .size:           8
        .value_kind:     global_buffer
      - .actual_access:  write_only
        .address_space:  global
        .offset:         56
        .size:           8
        .value_kind:     global_buffer
      - .offset:         64
        .size:           4
        .value_kind:     hidden_block_count_x
      - .offset:         68
        .size:           4
        .value_kind:     hidden_block_count_y
      - .offset:         72
        .size:           4
        .value_kind:     hidden_block_count_z
      - .offset:         76
        .size:           2
        .value_kind:     hidden_group_size_x
      - .offset:         78
        .size:           2
        .value_kind:     hidden_group_size_y
      - .offset:         80
        .size:           2
        .value_kind:     hidden_group_size_z
      - .offset:         82
        .size:           2
        .value_kind:     hidden_remainder_x
      - .offset:         84
        .size:           2
        .value_kind:     hidden_remainder_y
      - .offset:         86
        .size:           2
        .value_kind:     hidden_remainder_z
      - .offset:         104
        .size:           8
        .value_kind:     hidden_global_offset_x
      - .offset:         112
        .size:           8
        .value_kind:     hidden_global_offset_y
      - .offset:         120
        .size:           8
        .value_kind:     hidden_global_offset_z
      - .offset:         128
        .size:           2
        .value_kind:     hidden_grid_dims
    .group_segment_fixed_size: 512
    .kernarg_segment_align: 8
    .kernarg_segment_size: 320
    .language:       OpenCL C
    .language_version:
      - 2
      - 0
    .max_flat_workgroup_size: 1024
    .name:           _ZL24rocblas_dot_kernel_magsqIlLb1ELi1024ELi32ELb0EdPKfdEviT5_lT_liPT6_PT4_
    .private_segment_fixed_size: 0
    .sgpr_count:     24
    .sgpr_spill_count: 0
    .symbol:         _ZL24rocblas_dot_kernel_magsqIlLb1ELi1024ELi32ELb0EdPKfdEviT5_lT_liPT6_PT4_.kd
    .uniform_work_group_size: 1
    .uses_dynamic_stack: false
    .vgpr_count:     12
    .vgpr_spill_count: 0
    .wavefront_size: 64
  - .agpr_count:     0
    .args:
      - .offset:         0
        .size:           4
        .value_kind:     by_value
      - .actual_access:  read_only
        .address_space:  global
        .offset:         8
        .size:           8
        .value_kind:     global_buffer
      - .offset:         16
        .size:           8
        .value_kind:     by_value
      - .offset:         24
        .size:           8
        .value_kind:     by_value
      - .offset:         32
        .size:           8
        .value_kind:     by_value
      - .actual_access:  read_only
        .address_space:  global
        .offset:         40
        .size:           8
        .value_kind:     global_buffer
      - .offset:         48
        .size:           8
        .value_kind:     by_value
      - .offset:         56
        .size:           8
        .value_kind:     by_value
      - .offset:         64
        .size:           8
        .value_kind:     by_value
      - .actual_access:  read_only
        .address_space:  global
        .offset:         72
        .size:           8
        .value_kind:     global_buffer
      - .actual_access:  read_only
        .address_space:  global
        .offset:         80
        .size:           8
        .value_kind:     global_buffer
    .group_segment_fixed_size: 0
    .kernarg_segment_align: 8
    .kernarg_segment_size: 88
    .language:       OpenCL C
    .language_version:
      - 2
      - 0
    .max_flat_workgroup_size: 1024
    .name:           _ZL38rocblas_dot_kernel_gfx942_float_doubleIlLi1024EdPKfdEviT2_lT_lS2_lS3_lPT3_PT1_
    .private_segment_fixed_size: 0
    .sgpr_count:     4
    .sgpr_spill_count: 0
    .symbol:         _ZL38rocblas_dot_kernel_gfx942_float_doubleIlLi1024EdPKfdEviT2_lT_lS2_lS3_lPT3_PT1_.kd
    .uniform_work_group_size: 1
    .uses_dynamic_stack: false
    .vgpr_count:     0
    .vgpr_spill_count: 0
    .wavefront_size: 64
  - .agpr_count:     0
    .args:
      - .offset:         0
        .size:           4
        .value_kind:     by_value
      - .actual_access:  read_only
        .address_space:  global
        .offset:         8
        .size:           8
        .value_kind:     global_buffer
      - .offset:         16
        .size:           8
        .value_kind:     by_value
      - .offset:         24
        .size:           8
        .value_kind:     by_value
      - .offset:         32
        .size:           8
        .value_kind:     by_value
      - .actual_access:  read_only
        .address_space:  global
        .offset:         40
        .size:           8
        .value_kind:     global_buffer
      - .offset:         48
        .size:           8
        .value_kind:     by_value
      - .offset:         56
        .size:           8
        .value_kind:     by_value
      - .offset:         64
        .size:           8
        .value_kind:     by_value
      - .offset:         72
        .size:           4
        .value_kind:     by_value
      - .actual_access:  write_only
        .address_space:  global
        .offset:         80
        .size:           8
        .value_kind:     global_buffer
      - .actual_access:  write_only
        .address_space:  global
        .offset:         88
        .size:           8
        .value_kind:     global_buffer
      - .offset:         96
        .size:           4
        .value_kind:     hidden_block_count_x
      - .offset:         100
        .size:           4
        .value_kind:     hidden_block_count_y
      - .offset:         104
        .size:           4
        .value_kind:     hidden_block_count_z
      - .offset:         108
        .size:           2
        .value_kind:     hidden_group_size_x
      - .offset:         110
        .size:           2
        .value_kind:     hidden_group_size_y
      - .offset:         112
        .size:           2
        .value_kind:     hidden_group_size_z
      - .offset:         114
        .size:           2
        .value_kind:     hidden_remainder_x
      - .offset:         116
        .size:           2
        .value_kind:     hidden_remainder_y
      - .offset:         118
        .size:           2
        .value_kind:     hidden_remainder_z
      - .offset:         136
        .size:           8
        .value_kind:     hidden_global_offset_x
      - .offset:         144
        .size:           8
        .value_kind:     hidden_global_offset_y
      - .offset:         152
        .size:           8
        .value_kind:     hidden_global_offset_z
      - .offset:         160
        .size:           2
        .value_kind:     hidden_grid_dims
    .group_segment_fixed_size: 512
    .kernarg_segment_align: 8
    .kernarg_segment_size: 352
    .language:       OpenCL C
    .language_version:
      - 2
      - 0
    .max_flat_workgroup_size: 512
    .name:           _ZL18rocblas_dot_kernelIlLb0ELi512ELi2ELb0EdPKfdEviT5_lT_lS2_lS3_liPT6_PT4_
    .private_segment_fixed_size: 0
    .sgpr_count:     30
    .sgpr_spill_count: 0
    .symbol:         _ZL18rocblas_dot_kernelIlLb0ELi512ELi2ELb0EdPKfdEviT5_lT_lS2_lS3_liPT6_PT4_.kd
    .uniform_work_group_size: 1
    .uses_dynamic_stack: false
    .vgpr_count:     11
    .vgpr_spill_count: 0
    .wavefront_size: 64
  - .agpr_count:     0
    .args:
      - .offset:         0
        .size:           4
        .value_kind:     by_value
      - .actual_access:  read_only
        .address_space:  global
        .offset:         8
        .size:           8
        .value_kind:     global_buffer
      - .offset:         16
        .size:           8
        .value_kind:     by_value
      - .offset:         24
        .size:           8
        .value_kind:     by_value
      - .offset:         32
        .size:           8
        .value_kind:     by_value
      - .offset:         40
        .size:           4
        .value_kind:     by_value
      - .actual_access:  write_only
        .address_space:  global
        .offset:         48
        .size:           8
        .value_kind:     global_buffer
      - .actual_access:  write_only
        .address_space:  global
        .offset:         56
        .size:           8
        .value_kind:     global_buffer
      - .offset:         64
        .size:           4
        .value_kind:     hidden_block_count_x
      - .offset:         68
        .size:           4
        .value_kind:     hidden_block_count_y
      - .offset:         72
        .size:           4
        .value_kind:     hidden_block_count_z
      - .offset:         76
        .size:           2
        .value_kind:     hidden_group_size_x
      - .offset:         78
        .size:           2
        .value_kind:     hidden_group_size_y
      - .offset:         80
        .size:           2
        .value_kind:     hidden_group_size_z
      - .offset:         82
        .size:           2
        .value_kind:     hidden_remainder_x
      - .offset:         84
        .size:           2
        .value_kind:     hidden_remainder_y
      - .offset:         86
        .size:           2
        .value_kind:     hidden_remainder_z
      - .offset:         104
        .size:           8
        .value_kind:     hidden_global_offset_x
      - .offset:         112
        .size:           8
        .value_kind:     hidden_global_offset_y
      - .offset:         120
        .size:           8
        .value_kind:     hidden_global_offset_z
      - .offset:         128
        .size:           2
        .value_kind:     hidden_grid_dims
    .group_segment_fixed_size: 512
    .kernarg_segment_align: 8
    .kernarg_segment_size: 320
    .language:       OpenCL C
    .language_version:
      - 2
      - 0
    .max_flat_workgroup_size: 512
    .name:           _ZL24rocblas_dot_kernel_magsqIlLb0ELi512ELi2ELb0EdPKfdEviT5_lT_liPT6_PT4_
    .private_segment_fixed_size: 0
    .sgpr_count:     22
    .sgpr_spill_count: 0
    .symbol:         _ZL24rocblas_dot_kernel_magsqIlLb0ELi512ELi2ELb0EdPKfdEviT5_lT_liPT6_PT4_.kd
    .uniform_work_group_size: 1
    .uses_dynamic_stack: false
    .vgpr_count:     11
    .vgpr_spill_count: 0
    .wavefront_size: 64
  - .agpr_count:     0
    .args:
      - .offset:         0
        .size:           4
        .value_kind:     by_value
      - .actual_access:  read_only
        .address_space:  global
        .offset:         8
        .size:           8
        .value_kind:     global_buffer
      - .offset:         16
        .size:           8
        .value_kind:     by_value
      - .offset:         24
        .size:           4
        .value_kind:     by_value
      - .offset:         32
        .size:           8
        .value_kind:     by_value
      - .actual_access:  read_only
        .address_space:  global
        .offset:         40
        .size:           8
        .value_kind:     global_buffer
      - .offset:         48
        .size:           8
        .value_kind:     by_value
      - .offset:         56
        .size:           4
        .value_kind:     by_value
      - .offset:         64
        .size:           8
        .value_kind:     by_value
      - .offset:         72
        .size:           4
        .value_kind:     by_value
      - .actual_access:  write_only
        .address_space:  global
        .offset:         80
        .size:           8
        .value_kind:     global_buffer
    .group_segment_fixed_size: 0
    .kernarg_segment_align: 8
    .kernarg_segment_size: 88
    .language:       OpenCL C
    .language_version:
      - 2
      - 0
    .max_flat_workgroup_size: 128
    .name:           _ZL28rocblas_dot_batched_4_kernelIiLi32ELi4ELb0EddPKPKfEviT5_lT_lS4_lS5_liPT4_
    .private_segment_fixed_size: 0
    .sgpr_count:     22
    .sgpr_spill_count: 0
    .symbol:         _ZL28rocblas_dot_batched_4_kernelIiLi32ELi4ELb0EddPKPKfEviT5_lT_lS4_lS5_liPT4_.kd
    .uniform_work_group_size: 1
    .uses_dynamic_stack: false
    .vgpr_count:     16
    .vgpr_spill_count: 0
    .wavefront_size: 64
  - .agpr_count:     0
    .args:
      - .offset:         0
        .size:           4
        .value_kind:     by_value
      - .actual_access:  read_only
        .address_space:  global
        .offset:         8
        .size:           8
        .value_kind:     global_buffer
      - .offset:         16
        .size:           8
        .value_kind:     by_value
      - .offset:         24
        .size:           4
        .value_kind:     by_value
      - .offset:         32
        .size:           8
        .value_kind:     by_value
      - .actual_access:  read_only
        .address_space:  global
        .offset:         40
        .size:           8
        .value_kind:     global_buffer
      - .offset:         48
        .size:           8
        .value_kind:     by_value
      - .offset:         56
        .size:           4
        .value_kind:     by_value
      - .offset:         64
        .size:           8
        .value_kind:     by_value
      - .offset:         72
        .size:           4
        .value_kind:     by_value
      - .actual_access:  write_only
        .address_space:  global
        .offset:         80
        .size:           8
        .value_kind:     global_buffer
    .group_segment_fixed_size: 0
    .kernarg_segment_align: 8
    .kernarg_segment_size: 88
    .language:       OpenCL C
    .language_version:
      - 2
      - 0
    .max_flat_workgroup_size: 256
    .name:           _ZL28rocblas_dot_batched_4_kernelIiLi64ELi4ELb0EddPKPKfEviT5_lT_lS4_lS5_liPT4_
    .private_segment_fixed_size: 0
    .sgpr_count:     22
    .sgpr_spill_count: 0
    .symbol:         _ZL28rocblas_dot_batched_4_kernelIiLi64ELi4ELb0EddPKPKfEviT5_lT_lS4_lS5_liPT4_.kd
    .uniform_work_group_size: 1
    .uses_dynamic_stack: false
    .vgpr_count:     16
    .vgpr_spill_count: 0
    .wavefront_size: 64
  - .agpr_count:     0
    .args:
      - .offset:         0
        .size:           4
        .value_kind:     by_value
      - .actual_access:  read_only
        .address_space:  global
        .offset:         8
        .size:           8
        .value_kind:     global_buffer
      - .offset:         16
        .size:           8
        .value_kind:     by_value
      - .offset:         24
        .size:           8
        .value_kind:     by_value
      - .actual_access:  read_only
        .address_space:  global
        .offset:         32
        .size:           8
        .value_kind:     global_buffer
      - .offset:         40
        .size:           8
        .value_kind:     by_value
      - .offset:         48
        .size:           8
        .value_kind:     by_value
      - .offset:         56
        .size:           4
        .value_kind:     by_value
      - .actual_access:  read_only
        .address_space:  global
        .offset:         64
        .size:           8
        .value_kind:     global_buffer
      - .actual_access:  write_only
        .address_space:  global
        .offset:         72
        .size:           8
        .value_kind:     global_buffer
    .group_segment_fixed_size: 512
    .kernarg_segment_align: 8
    .kernarg_segment_size: 80
    .language:       OpenCL C
    .language_version:
      - 2
      - 0
    .max_flat_workgroup_size: 1024
    .name:           _ZL26rocblas_dot_kernel_inc1by2ILb1ELi1024ELi32ELb0EdPKPKfdEviT4_llS4_lliPT5_PT3_
    .private_segment_fixed_size: 0
    .sgpr_count:     24
    .sgpr_spill_count: 0
    .symbol:         _ZL26rocblas_dot_kernel_inc1by2ILb1ELi1024ELi32ELb0EdPKPKfdEviT4_llS4_lliPT5_PT3_.kd
    .uniform_work_group_size: 1
    .uses_dynamic_stack: false
    .vgpr_count:     12
    .vgpr_spill_count: 0
    .wavefront_size: 64
  - .agpr_count:     0
    .args:
      - .offset:         0
        .size:           4
        .value_kind:     by_value
      - .actual_access:  read_only
        .address_space:  global
        .offset:         8
        .size:           8
        .value_kind:     global_buffer
      - .offset:         16
        .size:           8
        .value_kind:     by_value
      - .offset:         24
        .size:           4
        .value_kind:     by_value
      - .offset:         32
        .size:           8
        .value_kind:     by_value
      - .actual_access:  read_only
        .address_space:  global
        .offset:         40
        .size:           8
        .value_kind:     global_buffer
      - .offset:         48
        .size:           8
        .value_kind:     by_value
      - .offset:         56
        .size:           4
        .value_kind:     by_value
      - .offset:         64
        .size:           8
        .value_kind:     by_value
      - .offset:         72
        .size:           4
        .value_kind:     by_value
      - .actual_access:  read_only
        .address_space:  global
        .offset:         80
        .size:           8
        .value_kind:     global_buffer
      - .actual_access:  write_only
        .address_space:  global
        .offset:         88
        .size:           8
        .value_kind:     global_buffer
      - .offset:         96
        .size:           4
        .value_kind:     hidden_block_count_x
      - .offset:         100
        .size:           4
        .value_kind:     hidden_block_count_y
      - .offset:         104
        .size:           4
        .value_kind:     hidden_block_count_z
      - .offset:         108
        .size:           2
        .value_kind:     hidden_group_size_x
      - .offset:         110
        .size:           2
        .value_kind:     hidden_group_size_y
      - .offset:         112
        .size:           2
        .value_kind:     hidden_group_size_z
      - .offset:         114
        .size:           2
        .value_kind:     hidden_remainder_x
      - .offset:         116
        .size:           2
        .value_kind:     hidden_remainder_y
      - .offset:         118
        .size:           2
        .value_kind:     hidden_remainder_z
      - .offset:         136
        .size:           8
        .value_kind:     hidden_global_offset_x
      - .offset:         144
        .size:           8
        .value_kind:     hidden_global_offset_y
      - .offset:         152
        .size:           8
        .value_kind:     hidden_global_offset_z
      - .offset:         160
        .size:           2
        .value_kind:     hidden_grid_dims
    .group_segment_fixed_size: 512
    .kernarg_segment_align: 8
    .kernarg_segment_size: 352
    .language:       OpenCL C
    .language_version:
      - 2
      - 0
    .max_flat_workgroup_size: 1024
    .name:           _ZL18rocblas_dot_kernelIiLb1ELi1024ELi32ELb0EdPKPKfdEviT5_lT_lS4_lS5_liPT6_PT4_
    .private_segment_fixed_size: 0
    .sgpr_count:     29
    .sgpr_spill_count: 0
    .symbol:         _ZL18rocblas_dot_kernelIiLb1ELi1024ELi32ELb0EdPKPKfdEviT5_lT_lS4_lS5_liPT6_PT4_.kd
    .uniform_work_group_size: 1
    .uses_dynamic_stack: false
    .vgpr_count:     14
    .vgpr_spill_count: 0
    .wavefront_size: 64
  - .agpr_count:     0
    .args:
      - .offset:         0
        .size:           4
        .value_kind:     by_value
      - .actual_access:  read_only
        .address_space:  global
        .offset:         8
        .size:           8
        .value_kind:     global_buffer
      - .offset:         16
        .size:           8
        .value_kind:     by_value
      - .offset:         24
        .size:           4
        .value_kind:     by_value
      - .offset:         32
        .size:           8
        .value_kind:     by_value
      - .offset:         40
        .size:           4
        .value_kind:     by_value
      - .actual_access:  read_only
        .address_space:  global
        .offset:         48
        .size:           8
        .value_kind:     global_buffer
      - .actual_access:  write_only
        .address_space:  global
        .offset:         56
        .size:           8
        .value_kind:     global_buffer
      - .offset:         64
        .size:           4
        .value_kind:     hidden_block_count_x
      - .offset:         68
        .size:           4
        .value_kind:     hidden_block_count_y
      - .offset:         72
        .size:           4
        .value_kind:     hidden_block_count_z
      - .offset:         76
        .size:           2
        .value_kind:     hidden_group_size_x
      - .offset:         78
        .size:           2
        .value_kind:     hidden_group_size_y
      - .offset:         80
        .size:           2
        .value_kind:     hidden_group_size_z
      - .offset:         82
        .size:           2
        .value_kind:     hidden_remainder_x
      - .offset:         84
        .size:           2
        .value_kind:     hidden_remainder_y
      - .offset:         86
        .size:           2
        .value_kind:     hidden_remainder_z
      - .offset:         104
        .size:           8
        .value_kind:     hidden_global_offset_x
      - .offset:         112
        .size:           8
        .value_kind:     hidden_global_offset_y
      - .offset:         120
        .size:           8
        .value_kind:     hidden_global_offset_z
      - .offset:         128
        .size:           2
        .value_kind:     hidden_grid_dims
    .group_segment_fixed_size: 512
    .kernarg_segment_align: 8
    .kernarg_segment_size: 320
    .language:       OpenCL C
    .language_version:
      - 2
      - 0
    .max_flat_workgroup_size: 1024
    .name:           _ZL24rocblas_dot_kernel_magsqIiLb1ELi1024ELi32ELb0EdPKPKfdEviT5_lT_liPT6_PT4_
    .private_segment_fixed_size: 0
    .sgpr_count:     24
    .sgpr_spill_count: 0
    .symbol:         _ZL24rocblas_dot_kernel_magsqIiLb1ELi1024ELi32ELb0EdPKPKfdEviT5_lT_liPT6_PT4_.kd
    .uniform_work_group_size: 1
    .uses_dynamic_stack: false
    .vgpr_count:     12
    .vgpr_spill_count: 0
    .wavefront_size: 64
  - .agpr_count:     0
    .args:
      - .offset:         0
        .size:           4
        .value_kind:     by_value
      - .actual_access:  read_only
        .address_space:  global
        .offset:         8
        .size:           8
        .value_kind:     global_buffer
      - .offset:         16
        .size:           8
        .value_kind:     by_value
      - .offset:         24
        .size:           4
        .value_kind:     by_value
      - .offset:         32
        .size:           8
        .value_kind:     by_value
      - .actual_access:  read_only
        .address_space:  global
        .offset:         40
        .size:           8
        .value_kind:     global_buffer
      - .offset:         48
        .size:           8
        .value_kind:     by_value
      - .offset:         56
        .size:           4
        .value_kind:     by_value
      - .offset:         64
        .size:           8
        .value_kind:     by_value
      - .actual_access:  read_only
        .address_space:  global
        .offset:         72
        .size:           8
        .value_kind:     global_buffer
      - .actual_access:  read_only
        .address_space:  global
        .offset:         80
        .size:           8
        .value_kind:     global_buffer
    .group_segment_fixed_size: 0
    .kernarg_segment_align: 8
    .kernarg_segment_size: 88
    .language:       OpenCL C
    .language_version:
      - 2
      - 0
    .max_flat_workgroup_size: 1024
    .name:           _ZL38rocblas_dot_kernel_gfx942_float_doubleIiLi1024EdPKPKfdEviT2_lT_lS4_lS5_lPT3_PT1_
    .private_segment_fixed_size: 0
    .sgpr_count:     4
    .sgpr_spill_count: 0
    .symbol:         _ZL38rocblas_dot_kernel_gfx942_float_doubleIiLi1024EdPKPKfdEviT2_lT_lS4_lS5_lPT3_PT1_.kd
    .uniform_work_group_size: 1
    .uses_dynamic_stack: false
    .vgpr_count:     0
    .vgpr_spill_count: 0
    .wavefront_size: 64
  - .agpr_count:     0
    .args:
      - .offset:         0
        .size:           4
        .value_kind:     by_value
      - .actual_access:  read_only
        .address_space:  global
        .offset:         8
        .size:           8
        .value_kind:     global_buffer
      - .offset:         16
        .size:           8
        .value_kind:     by_value
      - .offset:         24
        .size:           8
        .value_kind:     by_value
      - .actual_access:  read_only
        .address_space:  global
        .offset:         32
        .size:           8
        .value_kind:     global_buffer
      - .offset:         40
        .size:           8
        .value_kind:     by_value
      - .offset:         48
        .size:           8
        .value_kind:     by_value
      - .offset:         56
        .size:           4
        .value_kind:     by_value
      - .actual_access:  write_only
        .address_space:  global
        .offset:         64
        .size:           8
        .value_kind:     global_buffer
      - .actual_access:  write_only
        .address_space:  global
        .offset:         72
        .size:           8
        .value_kind:     global_buffer
      - .offset:         80
        .size:           4
        .value_kind:     hidden_block_count_x
      - .offset:         84
        .size:           4
        .value_kind:     hidden_block_count_y
      - .offset:         88
        .size:           4
        .value_kind:     hidden_block_count_z
      - .offset:         92
        .size:           2
        .value_kind:     hidden_group_size_x
      - .offset:         94
        .size:           2
        .value_kind:     hidden_group_size_y
      - .offset:         96
        .size:           2
        .value_kind:     hidden_group_size_z
      - .offset:         98
        .size:           2
        .value_kind:     hidden_remainder_x
      - .offset:         100
        .size:           2
        .value_kind:     hidden_remainder_y
      - .offset:         102
        .size:           2
        .value_kind:     hidden_remainder_z
      - .offset:         120
        .size:           8
        .value_kind:     hidden_global_offset_x
      - .offset:         128
        .size:           8
        .value_kind:     hidden_global_offset_y
      - .offset:         136
        .size:           8
        .value_kind:     hidden_global_offset_z
      - .offset:         144
        .size:           2
        .value_kind:     hidden_grid_dims
    .group_segment_fixed_size: 512
    .kernarg_segment_align: 8
    .kernarg_segment_size: 336
    .language:       OpenCL C
    .language_version:
      - 2
      - 0
    .max_flat_workgroup_size: 512
    .name:           _ZL23rocblas_dot_kernel_inc1ILb0ELi512ELi2ELb0EdPKPKfdEviT4_llS4_lliPT5_PT3_
    .private_segment_fixed_size: 0
    .sgpr_count:     24
    .sgpr_spill_count: 0
    .symbol:         _ZL23rocblas_dot_kernel_inc1ILb0ELi512ELi2ELb0EdPKPKfdEviT4_llS4_lliPT5_PT3_.kd
    .uniform_work_group_size: 1
    .uses_dynamic_stack: false
    .vgpr_count:     11
    .vgpr_spill_count: 0
    .wavefront_size: 64
  - .agpr_count:     0
    .args:
      - .offset:         0
        .size:           4
        .value_kind:     by_value
      - .actual_access:  read_only
        .address_space:  global
        .offset:         8
        .size:           8
        .value_kind:     global_buffer
      - .offset:         16
        .size:           8
        .value_kind:     by_value
      - .offset:         24
        .size:           4
        .value_kind:     by_value
      - .offset:         32
        .size:           8
        .value_kind:     by_value
      - .actual_access:  read_only
        .address_space:  global
        .offset:         40
        .size:           8
        .value_kind:     global_buffer
      - .offset:         48
        .size:           8
        .value_kind:     by_value
      - .offset:         56
        .size:           4
        .value_kind:     by_value
      - .offset:         64
        .size:           8
        .value_kind:     by_value
      - .offset:         72
        .size:           4
        .value_kind:     by_value
      - .actual_access:  write_only
        .address_space:  global
        .offset:         80
        .size:           8
        .value_kind:     global_buffer
      - .actual_access:  write_only
        .address_space:  global
        .offset:         88
        .size:           8
        .value_kind:     global_buffer
      - .offset:         96
        .size:           4
        .value_kind:     hidden_block_count_x
      - .offset:         100
        .size:           4
        .value_kind:     hidden_block_count_y
      - .offset:         104
        .size:           4
        .value_kind:     hidden_block_count_z
      - .offset:         108
        .size:           2
        .value_kind:     hidden_group_size_x
      - .offset:         110
        .size:           2
        .value_kind:     hidden_group_size_y
      - .offset:         112
        .size:           2
        .value_kind:     hidden_group_size_z
      - .offset:         114
        .size:           2
        .value_kind:     hidden_remainder_x
      - .offset:         116
        .size:           2
        .value_kind:     hidden_remainder_y
      - .offset:         118
        .size:           2
        .value_kind:     hidden_remainder_z
      - .offset:         136
        .size:           8
        .value_kind:     hidden_global_offset_x
      - .offset:         144
        .size:           8
        .value_kind:     hidden_global_offset_y
      - .offset:         152
        .size:           8
        .value_kind:     hidden_global_offset_z
      - .offset:         160
        .size:           2
        .value_kind:     hidden_grid_dims
    .group_segment_fixed_size: 512
    .kernarg_segment_align: 8
    .kernarg_segment_size: 352
    .language:       OpenCL C
    .language_version:
      - 2
      - 0
    .max_flat_workgroup_size: 512
    .name:           _ZL18rocblas_dot_kernelIiLb0ELi512ELi2ELb0EdPKPKfdEviT5_lT_lS4_lS5_liPT6_PT4_
    .private_segment_fixed_size: 0
    .sgpr_count:     30
    .sgpr_spill_count: 0
    .symbol:         _ZL18rocblas_dot_kernelIiLb0ELi512ELi2ELb0EdPKPKfdEviT5_lT_lS4_lS5_liPT6_PT4_.kd
    .uniform_work_group_size: 1
    .uses_dynamic_stack: false
    .vgpr_count:     11
    .vgpr_spill_count: 0
    .wavefront_size: 64
  - .agpr_count:     0
    .args:
      - .offset:         0
        .size:           4
        .value_kind:     by_value
      - .actual_access:  read_only
        .address_space:  global
        .offset:         8
        .size:           8
        .value_kind:     global_buffer
      - .offset:         16
        .size:           8
        .value_kind:     by_value
      - .offset:         24
        .size:           4
        .value_kind:     by_value
      - .offset:         32
        .size:           8
        .value_kind:     by_value
      - .offset:         40
        .size:           4
        .value_kind:     by_value
      - .actual_access:  write_only
        .address_space:  global
        .offset:         48
        .size:           8
        .value_kind:     global_buffer
      - .actual_access:  write_only
        .address_space:  global
        .offset:         56
        .size:           8
        .value_kind:     global_buffer
      - .offset:         64
        .size:           4
        .value_kind:     hidden_block_count_x
      - .offset:         68
        .size:           4
        .value_kind:     hidden_block_count_y
      - .offset:         72
        .size:           4
        .value_kind:     hidden_block_count_z
      - .offset:         76
        .size:           2
        .value_kind:     hidden_group_size_x
      - .offset:         78
        .size:           2
        .value_kind:     hidden_group_size_y
      - .offset:         80
        .size:           2
        .value_kind:     hidden_group_size_z
      - .offset:         82
        .size:           2
        .value_kind:     hidden_remainder_x
      - .offset:         84
        .size:           2
        .value_kind:     hidden_remainder_y
      - .offset:         86
        .size:           2
        .value_kind:     hidden_remainder_z
      - .offset:         104
        .size:           8
        .value_kind:     hidden_global_offset_x
      - .offset:         112
        .size:           8
        .value_kind:     hidden_global_offset_y
      - .offset:         120
        .size:           8
        .value_kind:     hidden_global_offset_z
      - .offset:         128
        .size:           2
        .value_kind:     hidden_grid_dims
    .group_segment_fixed_size: 512
    .kernarg_segment_align: 8
    .kernarg_segment_size: 320
    .language:       OpenCL C
    .language_version:
      - 2
      - 0
    .max_flat_workgroup_size: 512
    .name:           _ZL24rocblas_dot_kernel_magsqIiLb0ELi512ELi2ELb0EdPKPKfdEviT5_lT_liPT6_PT4_
    .private_segment_fixed_size: 0
    .sgpr_count:     20
    .sgpr_spill_count: 0
    .symbol:         _ZL24rocblas_dot_kernel_magsqIiLb0ELi512ELi2ELb0EdPKPKfdEviT5_lT_liPT6_PT4_.kd
    .uniform_work_group_size: 1
    .uses_dynamic_stack: false
    .vgpr_count:     11
    .vgpr_spill_count: 0
    .wavefront_size: 64
  - .agpr_count:     0
    .args:
      - .offset:         0
        .size:           4
        .value_kind:     by_value
      - .actual_access:  read_only
        .address_space:  global
        .offset:         8
        .size:           8
        .value_kind:     global_buffer
      - .offset:         16
        .size:           8
        .value_kind:     by_value
      - .offset:         24
        .size:           8
        .value_kind:     by_value
      - .offset:         32
        .size:           8
        .value_kind:     by_value
      - .actual_access:  read_only
        .address_space:  global
        .offset:         40
        .size:           8
        .value_kind:     global_buffer
      - .offset:         48
        .size:           8
        .value_kind:     by_value
      - .offset:         56
        .size:           8
        .value_kind:     by_value
      - .offset:         64
        .size:           8
        .value_kind:     by_value
      - .offset:         72
        .size:           4
        .value_kind:     by_value
      - .actual_access:  write_only
        .address_space:  global
        .offset:         80
        .size:           8
        .value_kind:     global_buffer
    .group_segment_fixed_size: 0
    .kernarg_segment_align: 8
    .kernarg_segment_size: 88
    .language:       OpenCL C
    .language_version:
      - 2
      - 0
    .max_flat_workgroup_size: 128
    .name:           _ZL28rocblas_dot_batched_4_kernelIlLi32ELi4ELb0EddPKPKfEviT5_lT_lS4_lS5_liPT4_
    .private_segment_fixed_size: 0
    .sgpr_count:     24
    .sgpr_spill_count: 0
    .symbol:         _ZL28rocblas_dot_batched_4_kernelIlLi32ELi4ELb0EddPKPKfEviT5_lT_lS4_lS5_liPT4_.kd
    .uniform_work_group_size: 1
    .uses_dynamic_stack: false
    .vgpr_count:     21
    .vgpr_spill_count: 0
    .wavefront_size: 64
  - .agpr_count:     0
    .args:
      - .offset:         0
        .size:           4
        .value_kind:     by_value
      - .actual_access:  read_only
        .address_space:  global
        .offset:         8
        .size:           8
        .value_kind:     global_buffer
      - .offset:         16
        .size:           8
        .value_kind:     by_value
      - .offset:         24
        .size:           8
        .value_kind:     by_value
      - .offset:         32
        .size:           8
        .value_kind:     by_value
      - .actual_access:  read_only
        .address_space:  global
        .offset:         40
        .size:           8
        .value_kind:     global_buffer
      - .offset:         48
        .size:           8
        .value_kind:     by_value
      - .offset:         56
        .size:           8
        .value_kind:     by_value
      - .offset:         64
        .size:           8
        .value_kind:     by_value
      - .offset:         72
        .size:           4
        .value_kind:     by_value
      - .actual_access:  write_only
        .address_space:  global
        .offset:         80
        .size:           8
        .value_kind:     global_buffer
    .group_segment_fixed_size: 0
    .kernarg_segment_align: 8
    .kernarg_segment_size: 88
    .language:       OpenCL C
    .language_version:
      - 2
      - 0
    .max_flat_workgroup_size: 256
    .name:           _ZL28rocblas_dot_batched_4_kernelIlLi64ELi4ELb0EddPKPKfEviT5_lT_lS4_lS5_liPT4_
    .private_segment_fixed_size: 0
    .sgpr_count:     24
    .sgpr_spill_count: 0
    .symbol:         _ZL28rocblas_dot_batched_4_kernelIlLi64ELi4ELb0EddPKPKfEviT5_lT_lS4_lS5_liPT4_.kd
    .uniform_work_group_size: 1
    .uses_dynamic_stack: false
    .vgpr_count:     21
    .vgpr_spill_count: 0
    .wavefront_size: 64
  - .agpr_count:     0
    .args:
      - .offset:         0
        .size:           4
        .value_kind:     by_value
      - .actual_access:  read_only
        .address_space:  global
        .offset:         8
        .size:           8
        .value_kind:     global_buffer
      - .offset:         16
        .size:           8
        .value_kind:     by_value
      - .offset:         24
        .size:           8
        .value_kind:     by_value
      - .offset:         32
        .size:           8
        .value_kind:     by_value
      - .actual_access:  read_only
        .address_space:  global
        .offset:         40
        .size:           8
        .value_kind:     global_buffer
      - .offset:         48
        .size:           8
        .value_kind:     by_value
      - .offset:         56
        .size:           8
        .value_kind:     by_value
      - .offset:         64
        .size:           8
        .value_kind:     by_value
      - .offset:         72
        .size:           4
        .value_kind:     by_value
      - .actual_access:  read_only
        .address_space:  global
        .offset:         80
        .size:           8
        .value_kind:     global_buffer
      - .actual_access:  write_only
        .address_space:  global
        .offset:         88
        .size:           8
        .value_kind:     global_buffer
      - .offset:         96
        .size:           4
        .value_kind:     hidden_block_count_x
      - .offset:         100
        .size:           4
        .value_kind:     hidden_block_count_y
      - .offset:         104
        .size:           4
        .value_kind:     hidden_block_count_z
      - .offset:         108
        .size:           2
        .value_kind:     hidden_group_size_x
      - .offset:         110
        .size:           2
        .value_kind:     hidden_group_size_y
      - .offset:         112
        .size:           2
        .value_kind:     hidden_group_size_z
      - .offset:         114
        .size:           2
        .value_kind:     hidden_remainder_x
      - .offset:         116
        .size:           2
        .value_kind:     hidden_remainder_y
      - .offset:         118
        .size:           2
        .value_kind:     hidden_remainder_z
      - .offset:         136
        .size:           8
        .value_kind:     hidden_global_offset_x
      - .offset:         144
        .size:           8
        .value_kind:     hidden_global_offset_y
      - .offset:         152
        .size:           8
        .value_kind:     hidden_global_offset_z
      - .offset:         160
        .size:           2
        .value_kind:     hidden_grid_dims
    .group_segment_fixed_size: 512
    .kernarg_segment_align: 8
    .kernarg_segment_size: 352
    .language:       OpenCL C
    .language_version:
      - 2
      - 0
    .max_flat_workgroup_size: 1024
    .name:           _ZL18rocblas_dot_kernelIlLb1ELi1024ELi32ELb0EdPKPKfdEviT5_lT_lS4_lS5_liPT6_PT4_
    .private_segment_fixed_size: 0
    .sgpr_count:     30
    .sgpr_spill_count: 0
    .symbol:         _ZL18rocblas_dot_kernelIlLb1ELi1024ELi32ELb0EdPKPKfdEviT5_lT_lS4_lS5_liPT6_PT4_.kd
    .uniform_work_group_size: 1
    .uses_dynamic_stack: false
    .vgpr_count:     14
    .vgpr_spill_count: 0
    .wavefront_size: 64
  - .agpr_count:     0
    .args:
      - .offset:         0
        .size:           4
        .value_kind:     by_value
      - .actual_access:  read_only
        .address_space:  global
        .offset:         8
        .size:           8
        .value_kind:     global_buffer
      - .offset:         16
        .size:           8
        .value_kind:     by_value
      - .offset:         24
        .size:           8
        .value_kind:     by_value
      - .offset:         32
        .size:           8
        .value_kind:     by_value
      - .offset:         40
        .size:           4
        .value_kind:     by_value
      - .actual_access:  read_only
        .address_space:  global
        .offset:         48
        .size:           8
        .value_kind:     global_buffer
      - .actual_access:  write_only
        .address_space:  global
        .offset:         56
        .size:           8
        .value_kind:     global_buffer
      - .offset:         64
        .size:           4
        .value_kind:     hidden_block_count_x
      - .offset:         68
        .size:           4
        .value_kind:     hidden_block_count_y
      - .offset:         72
        .size:           4
        .value_kind:     hidden_block_count_z
      - .offset:         76
        .size:           2
        .value_kind:     hidden_group_size_x
      - .offset:         78
        .size:           2
        .value_kind:     hidden_group_size_y
      - .offset:         80
        .size:           2
        .value_kind:     hidden_group_size_z
      - .offset:         82
        .size:           2
        .value_kind:     hidden_remainder_x
      - .offset:         84
        .size:           2
        .value_kind:     hidden_remainder_y
      - .offset:         86
        .size:           2
        .value_kind:     hidden_remainder_z
      - .offset:         104
        .size:           8
        .value_kind:     hidden_global_offset_x
      - .offset:         112
        .size:           8
        .value_kind:     hidden_global_offset_y
      - .offset:         120
        .size:           8
        .value_kind:     hidden_global_offset_z
      - .offset:         128
        .size:           2
        .value_kind:     hidden_grid_dims
    .group_segment_fixed_size: 512
    .kernarg_segment_align: 8
    .kernarg_segment_size: 320
    .language:       OpenCL C
    .language_version:
      - 2
      - 0
    .max_flat_workgroup_size: 1024
    .name:           _ZL24rocblas_dot_kernel_magsqIlLb1ELi1024ELi32ELb0EdPKPKfdEviT5_lT_liPT6_PT4_
    .private_segment_fixed_size: 0
    .sgpr_count:     24
    .sgpr_spill_count: 0
    .symbol:         _ZL24rocblas_dot_kernel_magsqIlLb1ELi1024ELi32ELb0EdPKPKfdEviT5_lT_liPT6_PT4_.kd
    .uniform_work_group_size: 1
    .uses_dynamic_stack: false
    .vgpr_count:     12
    .vgpr_spill_count: 0
    .wavefront_size: 64
  - .agpr_count:     0
    .args:
      - .offset:         0
        .size:           4
        .value_kind:     by_value
      - .actual_access:  read_only
        .address_space:  global
        .offset:         8
        .size:           8
        .value_kind:     global_buffer
      - .offset:         16
        .size:           8
        .value_kind:     by_value
      - .offset:         24
        .size:           8
        .value_kind:     by_value
      - .offset:         32
        .size:           8
        .value_kind:     by_value
      - .actual_access:  read_only
        .address_space:  global
        .offset:         40
        .size:           8
        .value_kind:     global_buffer
      - .offset:         48
        .size:           8
        .value_kind:     by_value
      - .offset:         56
        .size:           8
        .value_kind:     by_value
      - .offset:         64
        .size:           8
        .value_kind:     by_value
      - .actual_access:  read_only
        .address_space:  global
        .offset:         72
        .size:           8
        .value_kind:     global_buffer
      - .actual_access:  read_only
        .address_space:  global
        .offset:         80
        .size:           8
        .value_kind:     global_buffer
    .group_segment_fixed_size: 0
    .kernarg_segment_align: 8
    .kernarg_segment_size: 88
    .language:       OpenCL C
    .language_version:
      - 2
      - 0
    .max_flat_workgroup_size: 1024
    .name:           _ZL38rocblas_dot_kernel_gfx942_float_doubleIlLi1024EdPKPKfdEviT2_lT_lS4_lS5_lPT3_PT1_
    .private_segment_fixed_size: 0
    .sgpr_count:     4
    .sgpr_spill_count: 0
    .symbol:         _ZL38rocblas_dot_kernel_gfx942_float_doubleIlLi1024EdPKPKfdEviT2_lT_lS4_lS5_lPT3_PT1_.kd
    .uniform_work_group_size: 1
    .uses_dynamic_stack: false
    .vgpr_count:     0
    .vgpr_spill_count: 0
    .wavefront_size: 64
  - .agpr_count:     0
    .args:
      - .offset:         0
        .size:           4
        .value_kind:     by_value
      - .actual_access:  read_only
        .address_space:  global
        .offset:         8
        .size:           8
        .value_kind:     global_buffer
      - .offset:         16
        .size:           8
        .value_kind:     by_value
      - .offset:         24
        .size:           8
        .value_kind:     by_value
      - .offset:         32
        .size:           8
        .value_kind:     by_value
      - .actual_access:  read_only
        .address_space:  global
        .offset:         40
        .size:           8
        .value_kind:     global_buffer
      - .offset:         48
        .size:           8
        .value_kind:     by_value
      - .offset:         56
        .size:           8
        .value_kind:     by_value
      - .offset:         64
        .size:           8
        .value_kind:     by_value
      - .offset:         72
        .size:           4
        .value_kind:     by_value
      - .actual_access:  write_only
        .address_space:  global
        .offset:         80
        .size:           8
        .value_kind:     global_buffer
      - .actual_access:  write_only
        .address_space:  global
        .offset:         88
        .size:           8
        .value_kind:     global_buffer
      - .offset:         96
        .size:           4
        .value_kind:     hidden_block_count_x
      - .offset:         100
        .size:           4
        .value_kind:     hidden_block_count_y
      - .offset:         104
        .size:           4
        .value_kind:     hidden_block_count_z
      - .offset:         108
        .size:           2
        .value_kind:     hidden_group_size_x
      - .offset:         110
        .size:           2
        .value_kind:     hidden_group_size_y
      - .offset:         112
        .size:           2
        .value_kind:     hidden_group_size_z
      - .offset:         114
        .size:           2
        .value_kind:     hidden_remainder_x
      - .offset:         116
        .size:           2
        .value_kind:     hidden_remainder_y
      - .offset:         118
        .size:           2
        .value_kind:     hidden_remainder_z
      - .offset:         136
        .size:           8
        .value_kind:     hidden_global_offset_x
      - .offset:         144
        .size:           8
        .value_kind:     hidden_global_offset_y
      - .offset:         152
        .size:           8
        .value_kind:     hidden_global_offset_z
      - .offset:         160
        .size:           2
        .value_kind:     hidden_grid_dims
    .group_segment_fixed_size: 512
    .kernarg_segment_align: 8
    .kernarg_segment_size: 352
    .language:       OpenCL C
    .language_version:
      - 2
      - 0
    .max_flat_workgroup_size: 512
    .name:           _ZL18rocblas_dot_kernelIlLb0ELi512ELi2ELb0EdPKPKfdEviT5_lT_lS4_lS5_liPT6_PT4_
    .private_segment_fixed_size: 0
    .sgpr_count:     28
    .sgpr_spill_count: 0
    .symbol:         _ZL18rocblas_dot_kernelIlLb0ELi512ELi2ELb0EdPKPKfdEviT5_lT_lS4_lS5_liPT6_PT4_.kd
    .uniform_work_group_size: 1
    .uses_dynamic_stack: false
    .vgpr_count:     11
    .vgpr_spill_count: 0
    .wavefront_size: 64
  - .agpr_count:     0
    .args:
      - .offset:         0
        .size:           4
        .value_kind:     by_value
      - .actual_access:  read_only
        .address_space:  global
        .offset:         8
        .size:           8
        .value_kind:     global_buffer
      - .offset:         16
        .size:           8
        .value_kind:     by_value
      - .offset:         24
        .size:           8
        .value_kind:     by_value
      - .offset:         32
        .size:           8
        .value_kind:     by_value
      - .offset:         40
        .size:           4
        .value_kind:     by_value
      - .actual_access:  write_only
        .address_space:  global
        .offset:         48
        .size:           8
        .value_kind:     global_buffer
      - .actual_access:  write_only
        .address_space:  global
        .offset:         56
        .size:           8
        .value_kind:     global_buffer
      - .offset:         64
        .size:           4
        .value_kind:     hidden_block_count_x
      - .offset:         68
        .size:           4
        .value_kind:     hidden_block_count_y
      - .offset:         72
        .size:           4
        .value_kind:     hidden_block_count_z
      - .offset:         76
        .size:           2
        .value_kind:     hidden_group_size_x
      - .offset:         78
        .size:           2
        .value_kind:     hidden_group_size_y
      - .offset:         80
        .size:           2
        .value_kind:     hidden_group_size_z
      - .offset:         82
        .size:           2
        .value_kind:     hidden_remainder_x
      - .offset:         84
        .size:           2
        .value_kind:     hidden_remainder_y
      - .offset:         86
        .size:           2
        .value_kind:     hidden_remainder_z
      - .offset:         104
        .size:           8
        .value_kind:     hidden_global_offset_x
      - .offset:         112
        .size:           8
        .value_kind:     hidden_global_offset_y
      - .offset:         120
        .size:           8
        .value_kind:     hidden_global_offset_z
      - .offset:         128
        .size:           2
        .value_kind:     hidden_grid_dims
    .group_segment_fixed_size: 512
    .kernarg_segment_align: 8
    .kernarg_segment_size: 320
    .language:       OpenCL C
    .language_version:
      - 2
      - 0
    .max_flat_workgroup_size: 512
    .name:           _ZL24rocblas_dot_kernel_magsqIlLb0ELi512ELi2ELb0EdPKPKfdEviT5_lT_liPT6_PT4_
    .private_segment_fixed_size: 0
    .sgpr_count:     22
    .sgpr_spill_count: 0
    .symbol:         _ZL24rocblas_dot_kernel_magsqIlLb0ELi512ELi2ELb0EdPKPKfdEviT5_lT_liPT6_PT4_.kd
    .uniform_work_group_size: 1
    .uses_dynamic_stack: false
    .vgpr_count:     11
    .vgpr_spill_count: 0
    .wavefront_size: 64
  - .agpr_count:     0
    .args:
      - .offset:         0
        .size:           4
        .value_kind:     by_value
      - .actual_access:  read_only
        .address_space:  global
        .offset:         8
        .size:           8
        .value_kind:     global_buffer
      - .offset:         16
        .size:           8
        .value_kind:     by_value
      - .offset:         24
        .size:           4
        .value_kind:     by_value
      - .offset:         32
        .size:           8
        .value_kind:     by_value
      - .actual_access:  read_only
        .address_space:  global
        .offset:         40
        .size:           8
        .value_kind:     global_buffer
      - .offset:         48
        .size:           8
        .value_kind:     by_value
      - .offset:         56
        .size:           4
        .value_kind:     by_value
      - .offset:         64
        .size:           8
        .value_kind:     by_value
      - .offset:         72
        .size:           4
        .value_kind:     by_value
      - .actual_access:  write_only
        .address_space:  global
        .offset:         80
        .size:           8
        .value_kind:     global_buffer
    .group_segment_fixed_size: 0
    .kernarg_segment_align: 8
    .kernarg_segment_size: 88
    .language:       OpenCL C
    .language_version:
      - 2
      - 0
    .max_flat_workgroup_size: 128
    .name:           _ZL28rocblas_dot_batched_4_kernelIiLi32ELi4ELb1EfDF16_PKDF16_EviT5_lT_lS2_lS3_liPT4_
    .private_segment_fixed_size: 0
    .sgpr_count:     28
    .sgpr_spill_count: 0
    .symbol:         _ZL28rocblas_dot_batched_4_kernelIiLi32ELi4ELb1EfDF16_PKDF16_EviT5_lT_lS2_lS3_liPT4_.kd
    .uniform_work_group_size: 1
    .uses_dynamic_stack: false
    .vgpr_count:     13
    .vgpr_spill_count: 0
    .wavefront_size: 64
  - .agpr_count:     0
    .args:
      - .offset:         0
        .size:           4
        .value_kind:     by_value
      - .actual_access:  read_only
        .address_space:  global
        .offset:         8
        .size:           8
        .value_kind:     global_buffer
      - .offset:         16
        .size:           8
        .value_kind:     by_value
      - .offset:         24
        .size:           4
        .value_kind:     by_value
      - .offset:         32
        .size:           8
        .value_kind:     by_value
      - .actual_access:  read_only
        .address_space:  global
        .offset:         40
        .size:           8
        .value_kind:     global_buffer
      - .offset:         48
        .size:           8
        .value_kind:     by_value
      - .offset:         56
        .size:           4
        .value_kind:     by_value
      - .offset:         64
        .size:           8
        .value_kind:     by_value
      - .offset:         72
        .size:           4
        .value_kind:     by_value
      - .actual_access:  write_only
        .address_space:  global
        .offset:         80
        .size:           8
        .value_kind:     global_buffer
    .group_segment_fixed_size: 0
    .kernarg_segment_align: 8
    .kernarg_segment_size: 88
    .language:       OpenCL C
    .language_version:
      - 2
      - 0
    .max_flat_workgroup_size: 256
    .name:           _ZL28rocblas_dot_batched_4_kernelIiLi64ELi4ELb1EfDF16_PKDF16_EviT5_lT_lS2_lS3_liPT4_
    .private_segment_fixed_size: 0
    .sgpr_count:     28
    .sgpr_spill_count: 0
    .symbol:         _ZL28rocblas_dot_batched_4_kernelIiLi64ELi4ELb1EfDF16_PKDF16_EviT5_lT_lS2_lS3_liPT4_.kd
    .uniform_work_group_size: 1
    .uses_dynamic_stack: false
    .vgpr_count:     13
    .vgpr_spill_count: 0
    .wavefront_size: 64
  - .agpr_count:     0
    .args:
      - .offset:         0
        .size:           4
        .value_kind:     by_value
      - .actual_access:  read_only
        .address_space:  global
        .offset:         8
        .size:           8
        .value_kind:     global_buffer
      - .offset:         16
        .size:           8
        .value_kind:     by_value
      - .offset:         24
        .size:           8
        .value_kind:     by_value
      - .actual_access:  read_only
        .address_space:  global
        .offset:         32
        .size:           8
        .value_kind:     global_buffer
      - .offset:         40
        .size:           8
        .value_kind:     by_value
      - .offset:         48
        .size:           8
        .value_kind:     by_value
      - .offset:         56
        .size:           4
        .value_kind:     by_value
      - .actual_access:  read_only
        .address_space:  global
        .offset:         64
        .size:           8
        .value_kind:     global_buffer
      - .actual_access:  write_only
        .address_space:  global
        .offset:         72
        .size:           8
        .value_kind:     global_buffer
    .group_segment_fixed_size: 256
    .kernarg_segment_align: 8
    .kernarg_segment_size: 80
    .language:       OpenCL C
    .language_version:
      - 2
      - 0
    .max_flat_workgroup_size: 1024
    .name:           _ZL26rocblas_dot_kernel_inc1by2ILb1ELi1024ELi32ELb1EDF16_PKDF16_fEviT4_llS2_lliPT5_PT3_
    .private_segment_fixed_size: 0
    .sgpr_count:     32
    .sgpr_spill_count: 0
    .symbol:         _ZL26rocblas_dot_kernel_inc1by2ILb1ELi1024ELi32ELb1EDF16_PKDF16_fEviT4_llS2_lliPT5_PT3_.kd
    .uniform_work_group_size: 1
    .uses_dynamic_stack: false
    .vgpr_count:     12
    .vgpr_spill_count: 0
    .wavefront_size: 64
  - .agpr_count:     0
    .args:
      - .offset:         0
        .size:           4
        .value_kind:     by_value
      - .actual_access:  read_only
        .address_space:  global
        .offset:         8
        .size:           8
        .value_kind:     global_buffer
      - .offset:         16
        .size:           8
        .value_kind:     by_value
      - .offset:         24
        .size:           4
        .value_kind:     by_value
      - .offset:         32
        .size:           8
        .value_kind:     by_value
      - .actual_access:  read_only
        .address_space:  global
        .offset:         40
        .size:           8
        .value_kind:     global_buffer
      - .offset:         48
        .size:           8
        .value_kind:     by_value
      - .offset:         56
        .size:           4
        .value_kind:     by_value
      - .offset:         64
        .size:           8
        .value_kind:     by_value
      - .offset:         72
        .size:           4
        .value_kind:     by_value
      - .actual_access:  read_only
        .address_space:  global
        .offset:         80
        .size:           8
        .value_kind:     global_buffer
      - .actual_access:  write_only
        .address_space:  global
        .offset:         88
        .size:           8
        .value_kind:     global_buffer
      - .offset:         96
        .size:           4
        .value_kind:     hidden_block_count_x
      - .offset:         100
        .size:           4
        .value_kind:     hidden_block_count_y
      - .offset:         104
        .size:           4
        .value_kind:     hidden_block_count_z
      - .offset:         108
        .size:           2
        .value_kind:     hidden_group_size_x
      - .offset:         110
        .size:           2
        .value_kind:     hidden_group_size_y
      - .offset:         112
        .size:           2
        .value_kind:     hidden_group_size_z
      - .offset:         114
        .size:           2
        .value_kind:     hidden_remainder_x
      - .offset:         116
        .size:           2
        .value_kind:     hidden_remainder_y
      - .offset:         118
        .size:           2
        .value_kind:     hidden_remainder_z
      - .offset:         136
        .size:           8
        .value_kind:     hidden_global_offset_x
      - .offset:         144
        .size:           8
        .value_kind:     hidden_global_offset_y
      - .offset:         152
        .size:           8
        .value_kind:     hidden_global_offset_z
      - .offset:         160
        .size:           2
        .value_kind:     hidden_grid_dims
    .group_segment_fixed_size: 256
    .kernarg_segment_align: 8
    .kernarg_segment_size: 352
    .language:       OpenCL C
    .language_version:
      - 2
      - 0
    .max_flat_workgroup_size: 1024
    .name:           _ZL18rocblas_dot_kernelIiLb1ELi1024ELi32ELb1EDF16_PKDF16_fEviT5_lT_lS2_lS3_liPT6_PT4_
    .private_segment_fixed_size: 0
    .sgpr_count:     28
    .sgpr_spill_count: 0
    .symbol:         _ZL18rocblas_dot_kernelIiLb1ELi1024ELi32ELb1EDF16_PKDF16_fEviT5_lT_lS2_lS3_liPT6_PT4_.kd
    .uniform_work_group_size: 1
    .uses_dynamic_stack: false
    .vgpr_count:     11
    .vgpr_spill_count: 0
    .wavefront_size: 64
  - .agpr_count:     0
    .args:
      - .offset:         0
        .size:           4
        .value_kind:     by_value
      - .actual_access:  read_only
        .address_space:  global
        .offset:         8
        .size:           8
        .value_kind:     global_buffer
      - .offset:         16
        .size:           8
        .value_kind:     by_value
      - .offset:         24
        .size:           4
        .value_kind:     by_value
      - .offset:         32
        .size:           8
        .value_kind:     by_value
      - .offset:         40
        .size:           4
        .value_kind:     by_value
      - .actual_access:  read_only
        .address_space:  global
        .offset:         48
        .size:           8
        .value_kind:     global_buffer
      - .actual_access:  write_only
        .address_space:  global
        .offset:         56
        .size:           8
        .value_kind:     global_buffer
      - .offset:         64
        .size:           4
        .value_kind:     hidden_block_count_x
      - .offset:         68
        .size:           4
        .value_kind:     hidden_block_count_y
      - .offset:         72
        .size:           4
        .value_kind:     hidden_block_count_z
      - .offset:         76
        .size:           2
        .value_kind:     hidden_group_size_x
      - .offset:         78
        .size:           2
        .value_kind:     hidden_group_size_y
      - .offset:         80
        .size:           2
        .value_kind:     hidden_group_size_z
      - .offset:         82
        .size:           2
        .value_kind:     hidden_remainder_x
      - .offset:         84
        .size:           2
        .value_kind:     hidden_remainder_y
      - .offset:         86
        .size:           2
        .value_kind:     hidden_remainder_z
      - .offset:         104
        .size:           8
        .value_kind:     hidden_global_offset_x
      - .offset:         112
        .size:           8
        .value_kind:     hidden_global_offset_y
      - .offset:         120
        .size:           8
        .value_kind:     hidden_global_offset_z
      - .offset:         128
        .size:           2
        .value_kind:     hidden_grid_dims
    .group_segment_fixed_size: 256
    .kernarg_segment_align: 8
    .kernarg_segment_size: 320
    .language:       OpenCL C
    .language_version:
      - 2
      - 0
    .max_flat_workgroup_size: 1024
    .name:           _ZL24rocblas_dot_kernel_magsqIiLb1ELi1024ELi32ELb1EDF16_PKDF16_fEviT5_lT_liPT6_PT4_
    .private_segment_fixed_size: 0
    .sgpr_count:     24
    .sgpr_spill_count: 0
    .symbol:         _ZL24rocblas_dot_kernel_magsqIiLb1ELi1024ELi32ELb1EDF16_PKDF16_fEviT5_lT_liPT6_PT4_.kd
    .uniform_work_group_size: 1
    .uses_dynamic_stack: false
    .vgpr_count:     10
    .vgpr_spill_count: 0
    .wavefront_size: 64
  - .agpr_count:     0
    .args:
      - .offset:         0
        .size:           4
        .value_kind:     by_value
      - .actual_access:  read_only
        .address_space:  global
        .offset:         8
        .size:           8
        .value_kind:     global_buffer
      - .offset:         16
        .size:           8
        .value_kind:     by_value
      - .offset:         24
        .size:           8
        .value_kind:     by_value
      - .actual_access:  read_only
        .address_space:  global
        .offset:         32
        .size:           8
        .value_kind:     global_buffer
      - .offset:         40
        .size:           8
        .value_kind:     by_value
      - .offset:         48
        .size:           8
        .value_kind:     by_value
      - .offset:         56
        .size:           4
        .value_kind:     by_value
      - .actual_access:  write_only
        .address_space:  global
        .offset:         64
        .size:           8
        .value_kind:     global_buffer
      - .actual_access:  write_only
        .address_space:  global
        .offset:         72
        .size:           8
        .value_kind:     global_buffer
      - .offset:         80
        .size:           4
        .value_kind:     hidden_block_count_x
      - .offset:         84
        .size:           4
        .value_kind:     hidden_block_count_y
      - .offset:         88
        .size:           4
        .value_kind:     hidden_block_count_z
      - .offset:         92
        .size:           2
        .value_kind:     hidden_group_size_x
      - .offset:         94
        .size:           2
        .value_kind:     hidden_group_size_y
      - .offset:         96
        .size:           2
        .value_kind:     hidden_group_size_z
      - .offset:         98
        .size:           2
        .value_kind:     hidden_remainder_x
      - .offset:         100
        .size:           2
        .value_kind:     hidden_remainder_y
      - .offset:         102
        .size:           2
        .value_kind:     hidden_remainder_z
      - .offset:         120
        .size:           8
        .value_kind:     hidden_global_offset_x
      - .offset:         128
        .size:           8
        .value_kind:     hidden_global_offset_y
      - .offset:         136
        .size:           8
        .value_kind:     hidden_global_offset_z
      - .offset:         144
        .size:           2
        .value_kind:     hidden_grid_dims
    .group_segment_fixed_size: 256
    .kernarg_segment_align: 8
    .kernarg_segment_size: 336
    .language:       OpenCL C
    .language_version:
      - 2
      - 0
    .max_flat_workgroup_size: 512
    .name:           _ZL23rocblas_dot_kernel_inc1ILb0ELi512ELi8ELb1EDF16_PKDF16_fEviT4_llS2_lliPT5_PT3_
    .private_segment_fixed_size: 0
    .sgpr_count:     32
    .sgpr_spill_count: 0
    .symbol:         _ZL23rocblas_dot_kernel_inc1ILb0ELi512ELi8ELb1EDF16_PKDF16_fEviT4_llS2_lliPT5_PT3_.kd
    .uniform_work_group_size: 1
    .uses_dynamic_stack: false
    .vgpr_count:     14
    .vgpr_spill_count: 0
    .wavefront_size: 64
  - .agpr_count:     0
    .args:
      - .offset:         0
        .size:           4
        .value_kind:     by_value
      - .actual_access:  read_only
        .address_space:  global
        .offset:         8
        .size:           8
        .value_kind:     global_buffer
      - .offset:         16
        .size:           8
        .value_kind:     by_value
      - .offset:         24
        .size:           4
        .value_kind:     by_value
      - .offset:         32
        .size:           8
        .value_kind:     by_value
      - .actual_access:  read_only
        .address_space:  global
        .offset:         40
        .size:           8
        .value_kind:     global_buffer
      - .offset:         48
        .size:           8
        .value_kind:     by_value
      - .offset:         56
        .size:           4
        .value_kind:     by_value
      - .offset:         64
        .size:           8
        .value_kind:     by_value
      - .offset:         72
        .size:           4
        .value_kind:     by_value
      - .actual_access:  write_only
        .address_space:  global
        .offset:         80
        .size:           8
        .value_kind:     global_buffer
      - .actual_access:  write_only
        .address_space:  global
        .offset:         88
        .size:           8
        .value_kind:     global_buffer
      - .offset:         96
        .size:           4
        .value_kind:     hidden_block_count_x
      - .offset:         100
        .size:           4
        .value_kind:     hidden_block_count_y
      - .offset:         104
        .size:           4
        .value_kind:     hidden_block_count_z
      - .offset:         108
        .size:           2
        .value_kind:     hidden_group_size_x
      - .offset:         110
        .size:           2
        .value_kind:     hidden_group_size_y
      - .offset:         112
        .size:           2
        .value_kind:     hidden_group_size_z
      - .offset:         114
        .size:           2
        .value_kind:     hidden_remainder_x
      - .offset:         116
        .size:           2
        .value_kind:     hidden_remainder_y
      - .offset:         118
        .size:           2
        .value_kind:     hidden_remainder_z
      - .offset:         136
        .size:           8
        .value_kind:     hidden_global_offset_x
      - .offset:         144
        .size:           8
        .value_kind:     hidden_global_offset_y
      - .offset:         152
        .size:           8
        .value_kind:     hidden_global_offset_z
      - .offset:         160
        .size:           2
        .value_kind:     hidden_grid_dims
    .group_segment_fixed_size: 256
    .kernarg_segment_align: 8
    .kernarg_segment_size: 352
    .language:       OpenCL C
    .language_version:
      - 2
      - 0
    .max_flat_workgroup_size: 512
    .name:           _ZL18rocblas_dot_kernelIiLb0ELi512ELi8ELb1EDF16_PKDF16_fEviT5_lT_lS2_lS3_liPT6_PT4_
    .private_segment_fixed_size: 0
    .sgpr_count:     32
    .sgpr_spill_count: 0
    .symbol:         _ZL18rocblas_dot_kernelIiLb0ELi512ELi8ELb1EDF16_PKDF16_fEviT5_lT_lS2_lS3_liPT6_PT4_.kd
    .uniform_work_group_size: 1
    .uses_dynamic_stack: false
    .vgpr_count:     11
    .vgpr_spill_count: 0
    .wavefront_size: 64
  - .agpr_count:     0
    .args:
      - .offset:         0
        .size:           4
        .value_kind:     by_value
      - .actual_access:  read_only
        .address_space:  global
        .offset:         8
        .size:           8
        .value_kind:     global_buffer
      - .offset:         16
        .size:           8
        .value_kind:     by_value
      - .offset:         24
        .size:           4
        .value_kind:     by_value
      - .offset:         32
        .size:           8
        .value_kind:     by_value
      - .offset:         40
        .size:           4
        .value_kind:     by_value
      - .actual_access:  write_only
        .address_space:  global
        .offset:         48
        .size:           8
        .value_kind:     global_buffer
      - .actual_access:  write_only
        .address_space:  global
        .offset:         56
        .size:           8
        .value_kind:     global_buffer
      - .offset:         64
        .size:           4
        .value_kind:     hidden_block_count_x
      - .offset:         68
        .size:           4
        .value_kind:     hidden_block_count_y
      - .offset:         72
        .size:           4
        .value_kind:     hidden_block_count_z
      - .offset:         76
        .size:           2
        .value_kind:     hidden_group_size_x
      - .offset:         78
        .size:           2
        .value_kind:     hidden_group_size_y
      - .offset:         80
        .size:           2
        .value_kind:     hidden_group_size_z
      - .offset:         82
        .size:           2
        .value_kind:     hidden_remainder_x
      - .offset:         84
        .size:           2
        .value_kind:     hidden_remainder_y
      - .offset:         86
        .size:           2
        .value_kind:     hidden_remainder_z
      - .offset:         104
        .size:           8
        .value_kind:     hidden_global_offset_x
      - .offset:         112
        .size:           8
        .value_kind:     hidden_global_offset_y
      - .offset:         120
        .size:           8
        .value_kind:     hidden_global_offset_z
      - .offset:         128
        .size:           2
        .value_kind:     hidden_grid_dims
    .group_segment_fixed_size: 256
    .kernarg_segment_align: 8
    .kernarg_segment_size: 320
    .language:       OpenCL C
    .language_version:
      - 2
      - 0
    .max_flat_workgroup_size: 512
    .name:           _ZL24rocblas_dot_kernel_magsqIiLb0ELi512ELi8ELb1EDF16_PKDF16_fEviT5_lT_liPT6_PT4_
    .private_segment_fixed_size: 0
    .sgpr_count:     28
    .sgpr_spill_count: 0
    .symbol:         _ZL24rocblas_dot_kernel_magsqIiLb0ELi512ELi8ELb1EDF16_PKDF16_fEviT5_lT_liPT6_PT4_.kd
    .uniform_work_group_size: 1
    .uses_dynamic_stack: false
    .vgpr_count:     9
    .vgpr_spill_count: 0
    .wavefront_size: 64
  - .agpr_count:     0
    .args:
      - .offset:         0
        .size:           4
        .value_kind:     by_value
      - .actual_access:  read_only
        .address_space:  global
        .offset:         8
        .size:           8
        .value_kind:     global_buffer
      - .offset:         16
        .size:           8
        .value_kind:     by_value
      - .offset:         24
        .size:           4
        .value_kind:     by_value
      - .offset:         32
        .size:           8
        .value_kind:     by_value
      - .actual_access:  read_only
        .address_space:  global
        .offset:         40
        .size:           8
        .value_kind:     global_buffer
      - .offset:         48
        .size:           8
        .value_kind:     by_value
      - .offset:         56
        .size:           4
        .value_kind:     by_value
      - .offset:         64
        .size:           8
        .value_kind:     by_value
      - .offset:         72
        .size:           4
        .value_kind:     by_value
      - .actual_access:  write_only
        .address_space:  global
        .offset:         80
        .size:           8
        .value_kind:     global_buffer
    .group_segment_fixed_size: 0
    .kernarg_segment_align: 8
    .kernarg_segment_size: 88
    .language:       OpenCL C
    .language_version:
      - 2
      - 0
    .max_flat_workgroup_size: 128
    .name:           _ZL28rocblas_dot_batched_4_kernelIiLi32ELi4ELb1EffPKDF16_EviT5_lT_lS2_lS3_liPT4_
    .private_segment_fixed_size: 0
    .sgpr_count:     28
    .sgpr_spill_count: 0
    .symbol:         _ZL28rocblas_dot_batched_4_kernelIiLi32ELi4ELb1EffPKDF16_EviT5_lT_lS2_lS3_liPT4_.kd
    .uniform_work_group_size: 1
    .uses_dynamic_stack: false
    .vgpr_count:     13
    .vgpr_spill_count: 0
    .wavefront_size: 64
  - .agpr_count:     0
    .args:
      - .offset:         0
        .size:           4
        .value_kind:     by_value
      - .actual_access:  read_only
        .address_space:  global
        .offset:         8
        .size:           8
        .value_kind:     global_buffer
      - .offset:         16
        .size:           8
        .value_kind:     by_value
      - .offset:         24
        .size:           4
        .value_kind:     by_value
      - .offset:         32
        .size:           8
        .value_kind:     by_value
      - .actual_access:  read_only
        .address_space:  global
        .offset:         40
        .size:           8
        .value_kind:     global_buffer
      - .offset:         48
        .size:           8
        .value_kind:     by_value
      - .offset:         56
        .size:           4
        .value_kind:     by_value
      - .offset:         64
        .size:           8
        .value_kind:     by_value
      - .offset:         72
        .size:           4
        .value_kind:     by_value
      - .actual_access:  write_only
        .address_space:  global
        .offset:         80
        .size:           8
        .value_kind:     global_buffer
    .group_segment_fixed_size: 0
    .kernarg_segment_align: 8
    .kernarg_segment_size: 88
    .language:       OpenCL C
    .language_version:
      - 2
      - 0
    .max_flat_workgroup_size: 256
    .name:           _ZL28rocblas_dot_batched_4_kernelIiLi64ELi4ELb1EffPKDF16_EviT5_lT_lS2_lS3_liPT4_
    .private_segment_fixed_size: 0
    .sgpr_count:     28
    .sgpr_spill_count: 0
    .symbol:         _ZL28rocblas_dot_batched_4_kernelIiLi64ELi4ELb1EffPKDF16_EviT5_lT_lS2_lS3_liPT4_.kd
    .uniform_work_group_size: 1
    .uses_dynamic_stack: false
    .vgpr_count:     13
    .vgpr_spill_count: 0
    .wavefront_size: 64
  - .agpr_count:     0
    .args:
      - .offset:         0
        .size:           4
        .value_kind:     by_value
      - .actual_access:  read_only
        .address_space:  global
        .offset:         8
        .size:           8
        .value_kind:     global_buffer
      - .offset:         16
        .size:           8
        .value_kind:     by_value
      - .offset:         24
        .size:           4
        .value_kind:     by_value
      - .offset:         32
        .size:           8
        .value_kind:     by_value
      - .actual_access:  read_only
        .address_space:  global
        .offset:         40
        .size:           8
        .value_kind:     global_buffer
      - .offset:         48
        .size:           8
        .value_kind:     by_value
      - .offset:         56
        .size:           4
        .value_kind:     by_value
      - .offset:         64
        .size:           8
        .value_kind:     by_value
      - .offset:         72
        .size:           4
        .value_kind:     by_value
      - .actual_access:  read_only
        .address_space:  global
        .offset:         80
        .size:           8
        .value_kind:     global_buffer
      - .actual_access:  write_only
        .address_space:  global
        .offset:         88
        .size:           8
        .value_kind:     global_buffer
      - .offset:         96
        .size:           4
        .value_kind:     hidden_block_count_x
      - .offset:         100
        .size:           4
        .value_kind:     hidden_block_count_y
      - .offset:         104
        .size:           4
        .value_kind:     hidden_block_count_z
      - .offset:         108
        .size:           2
        .value_kind:     hidden_group_size_x
      - .offset:         110
        .size:           2
        .value_kind:     hidden_group_size_y
      - .offset:         112
        .size:           2
        .value_kind:     hidden_group_size_z
      - .offset:         114
        .size:           2
        .value_kind:     hidden_remainder_x
      - .offset:         116
        .size:           2
        .value_kind:     hidden_remainder_y
      - .offset:         118
        .size:           2
        .value_kind:     hidden_remainder_z
      - .offset:         136
        .size:           8
        .value_kind:     hidden_global_offset_x
      - .offset:         144
        .size:           8
        .value_kind:     hidden_global_offset_y
      - .offset:         152
        .size:           8
        .value_kind:     hidden_global_offset_z
      - .offset:         160
        .size:           2
        .value_kind:     hidden_grid_dims
    .group_segment_fixed_size: 256
    .kernarg_segment_align: 8
    .kernarg_segment_size: 352
    .language:       OpenCL C
    .language_version:
      - 2
      - 0
    .max_flat_workgroup_size: 1024
    .name:           _ZL18rocblas_dot_kernelIiLb1ELi1024ELi32ELb1EfPKDF16_fEviT5_lT_lS2_lS3_liPT6_PT4_
    .private_segment_fixed_size: 0
    .sgpr_count:     28
    .sgpr_spill_count: 0
    .symbol:         _ZL18rocblas_dot_kernelIiLb1ELi1024ELi32ELb1EfPKDF16_fEviT5_lT_lS2_lS3_liPT6_PT4_.kd
    .uniform_work_group_size: 1
    .uses_dynamic_stack: false
    .vgpr_count:     11
    .vgpr_spill_count: 0
    .wavefront_size: 64
  - .agpr_count:     0
    .args:
      - .offset:         0
        .size:           4
        .value_kind:     by_value
      - .actual_access:  read_only
        .address_space:  global
        .offset:         8
        .size:           8
        .value_kind:     global_buffer
      - .offset:         16
        .size:           8
        .value_kind:     by_value
      - .offset:         24
        .size:           4
        .value_kind:     by_value
      - .offset:         32
        .size:           8
        .value_kind:     by_value
      - .offset:         40
        .size:           4
        .value_kind:     by_value
      - .actual_access:  read_only
        .address_space:  global
        .offset:         48
        .size:           8
        .value_kind:     global_buffer
      - .actual_access:  write_only
        .address_space:  global
        .offset:         56
        .size:           8
        .value_kind:     global_buffer
      - .offset:         64
        .size:           4
        .value_kind:     hidden_block_count_x
      - .offset:         68
        .size:           4
        .value_kind:     hidden_block_count_y
      - .offset:         72
        .size:           4
        .value_kind:     hidden_block_count_z
      - .offset:         76
        .size:           2
        .value_kind:     hidden_group_size_x
      - .offset:         78
        .size:           2
        .value_kind:     hidden_group_size_y
      - .offset:         80
        .size:           2
        .value_kind:     hidden_group_size_z
      - .offset:         82
        .size:           2
        .value_kind:     hidden_remainder_x
      - .offset:         84
        .size:           2
        .value_kind:     hidden_remainder_y
      - .offset:         86
        .size:           2
        .value_kind:     hidden_remainder_z
      - .offset:         104
        .size:           8
        .value_kind:     hidden_global_offset_x
      - .offset:         112
        .size:           8
        .value_kind:     hidden_global_offset_y
      - .offset:         120
        .size:           8
        .value_kind:     hidden_global_offset_z
      - .offset:         128
        .size:           2
        .value_kind:     hidden_grid_dims
    .group_segment_fixed_size: 256
    .kernarg_segment_align: 8
    .kernarg_segment_size: 320
    .language:       OpenCL C
    .language_version:
      - 2
      - 0
    .max_flat_workgroup_size: 1024
    .name:           _ZL24rocblas_dot_kernel_magsqIiLb1ELi1024ELi32ELb1EfPKDF16_fEviT5_lT_liPT6_PT4_
    .private_segment_fixed_size: 0
    .sgpr_count:     24
    .sgpr_spill_count: 0
    .symbol:         _ZL24rocblas_dot_kernel_magsqIiLb1ELi1024ELi32ELb1EfPKDF16_fEviT5_lT_liPT6_PT4_.kd
    .uniform_work_group_size: 1
    .uses_dynamic_stack: false
    .vgpr_count:     10
    .vgpr_spill_count: 0
    .wavefront_size: 64
  - .agpr_count:     0
    .args:
      - .offset:         0
        .size:           4
        .value_kind:     by_value
      - .actual_access:  read_only
        .address_space:  global
        .offset:         8
        .size:           8
        .value_kind:     global_buffer
      - .offset:         16
        .size:           8
        .value_kind:     by_value
      - .offset:         24
        .size:           4
        .value_kind:     by_value
      - .offset:         32
        .size:           8
        .value_kind:     by_value
      - .actual_access:  read_only
        .address_space:  global
        .offset:         40
        .size:           8
        .value_kind:     global_buffer
      - .offset:         48
        .size:           8
        .value_kind:     by_value
      - .offset:         56
        .size:           4
        .value_kind:     by_value
      - .offset:         64
        .size:           8
        .value_kind:     by_value
      - .offset:         72
        .size:           4
        .value_kind:     by_value
      - .actual_access:  write_only
        .address_space:  global
        .offset:         80
        .size:           8
        .value_kind:     global_buffer
      - .actual_access:  write_only
        .address_space:  global
        .offset:         88
        .size:           8
        .value_kind:     global_buffer
      - .offset:         96
        .size:           4
        .value_kind:     hidden_block_count_x
      - .offset:         100
        .size:           4
        .value_kind:     hidden_block_count_y
      - .offset:         104
        .size:           4
        .value_kind:     hidden_block_count_z
      - .offset:         108
        .size:           2
        .value_kind:     hidden_group_size_x
      - .offset:         110
        .size:           2
        .value_kind:     hidden_group_size_y
      - .offset:         112
        .size:           2
        .value_kind:     hidden_group_size_z
      - .offset:         114
        .size:           2
        .value_kind:     hidden_remainder_x
      - .offset:         116
        .size:           2
        .value_kind:     hidden_remainder_y
      - .offset:         118
        .size:           2
        .value_kind:     hidden_remainder_z
      - .offset:         136
        .size:           8
        .value_kind:     hidden_global_offset_x
      - .offset:         144
        .size:           8
        .value_kind:     hidden_global_offset_y
      - .offset:         152
        .size:           8
        .value_kind:     hidden_global_offset_z
      - .offset:         160
        .size:           2
        .value_kind:     hidden_grid_dims
    .group_segment_fixed_size: 256
    .kernarg_segment_align: 8
    .kernarg_segment_size: 352
    .language:       OpenCL C
    .language_version:
      - 2
      - 0
    .max_flat_workgroup_size: 512
    .name:           _ZL18rocblas_dot_kernelIiLb0ELi512ELi4ELb1EfPKDF16_fEviT5_lT_lS2_lS3_liPT6_PT4_
    .private_segment_fixed_size: 0
    .sgpr_count:     32
    .sgpr_spill_count: 0
    .symbol:         _ZL18rocblas_dot_kernelIiLb0ELi512ELi4ELb1EfPKDF16_fEviT5_lT_lS2_lS3_liPT6_PT4_.kd
    .uniform_work_group_size: 1
    .uses_dynamic_stack: false
    .vgpr_count:     11
    .vgpr_spill_count: 0
    .wavefront_size: 64
  - .agpr_count:     0
    .args:
      - .offset:         0
        .size:           4
        .value_kind:     by_value
      - .actual_access:  read_only
        .address_space:  global
        .offset:         8
        .size:           8
        .value_kind:     global_buffer
      - .offset:         16
        .size:           8
        .value_kind:     by_value
      - .offset:         24
        .size:           4
        .value_kind:     by_value
      - .offset:         32
        .size:           8
        .value_kind:     by_value
      - .offset:         40
        .size:           4
        .value_kind:     by_value
      - .actual_access:  write_only
        .address_space:  global
        .offset:         48
        .size:           8
        .value_kind:     global_buffer
      - .actual_access:  write_only
        .address_space:  global
        .offset:         56
        .size:           8
        .value_kind:     global_buffer
      - .offset:         64
        .size:           4
        .value_kind:     hidden_block_count_x
      - .offset:         68
        .size:           4
        .value_kind:     hidden_block_count_y
      - .offset:         72
        .size:           4
        .value_kind:     hidden_block_count_z
      - .offset:         76
        .size:           2
        .value_kind:     hidden_group_size_x
      - .offset:         78
        .size:           2
        .value_kind:     hidden_group_size_y
      - .offset:         80
        .size:           2
        .value_kind:     hidden_group_size_z
      - .offset:         82
        .size:           2
        .value_kind:     hidden_remainder_x
      - .offset:         84
        .size:           2
        .value_kind:     hidden_remainder_y
      - .offset:         86
        .size:           2
        .value_kind:     hidden_remainder_z
      - .offset:         104
        .size:           8
        .value_kind:     hidden_global_offset_x
      - .offset:         112
        .size:           8
        .value_kind:     hidden_global_offset_y
      - .offset:         120
        .size:           8
        .value_kind:     hidden_global_offset_z
      - .offset:         128
        .size:           2
        .value_kind:     hidden_grid_dims
    .group_segment_fixed_size: 256
    .kernarg_segment_align: 8
    .kernarg_segment_size: 320
    .language:       OpenCL C
    .language_version:
      - 2
      - 0
    .max_flat_workgroup_size: 512
    .name:           _ZL24rocblas_dot_kernel_magsqIiLb0ELi512ELi4ELb1EfPKDF16_fEviT5_lT_liPT6_PT4_
    .private_segment_fixed_size: 0
    .sgpr_count:     28
    .sgpr_spill_count: 0
    .symbol:         _ZL24rocblas_dot_kernel_magsqIiLb0ELi512ELi4ELb1EfPKDF16_fEviT5_lT_liPT6_PT4_.kd
    .uniform_work_group_size: 1
    .uses_dynamic_stack: false
    .vgpr_count:     9
    .vgpr_spill_count: 0
    .wavefront_size: 64
  - .agpr_count:     0
    .args:
      - .offset:         0
        .size:           4
        .value_kind:     by_value
      - .actual_access:  read_only
        .address_space:  global
        .offset:         8
        .size:           8
        .value_kind:     global_buffer
      - .offset:         16
        .size:           8
        .value_kind:     by_value
      - .offset:         24
        .size:           8
        .value_kind:     by_value
      - .offset:         32
        .size:           8
        .value_kind:     by_value
      - .actual_access:  read_only
        .address_space:  global
        .offset:         40
        .size:           8
        .value_kind:     global_buffer
      - .offset:         48
        .size:           8
        .value_kind:     by_value
      - .offset:         56
        .size:           8
        .value_kind:     by_value
      - .offset:         64
        .size:           8
        .value_kind:     by_value
      - .offset:         72
        .size:           4
        .value_kind:     by_value
      - .actual_access:  write_only
        .address_space:  global
        .offset:         80
        .size:           8
        .value_kind:     global_buffer
    .group_segment_fixed_size: 0
    .kernarg_segment_align: 8
    .kernarg_segment_size: 88
    .language:       OpenCL C
    .language_version:
      - 2
      - 0
    .max_flat_workgroup_size: 128
    .name:           _ZL28rocblas_dot_batched_4_kernelIlLi32ELi4ELb1EfDF16_PKDF16_EviT5_lT_lS2_lS3_liPT4_
    .private_segment_fixed_size: 0
    .sgpr_count:     28
    .sgpr_spill_count: 0
    .symbol:         _ZL28rocblas_dot_batched_4_kernelIlLi32ELi4ELb1EfDF16_PKDF16_EviT5_lT_lS2_lS3_liPT4_.kd
    .uniform_work_group_size: 1
    .uses_dynamic_stack: false
    .vgpr_count:     13
    .vgpr_spill_count: 0
    .wavefront_size: 64
  - .agpr_count:     0
    .args:
      - .offset:         0
        .size:           4
        .value_kind:     by_value
      - .actual_access:  read_only
        .address_space:  global
        .offset:         8
        .size:           8
        .value_kind:     global_buffer
      - .offset:         16
        .size:           8
        .value_kind:     by_value
      - .offset:         24
        .size:           8
        .value_kind:     by_value
      - .offset:         32
        .size:           8
        .value_kind:     by_value
      - .actual_access:  read_only
        .address_space:  global
        .offset:         40
        .size:           8
        .value_kind:     global_buffer
      - .offset:         48
        .size:           8
        .value_kind:     by_value
      - .offset:         56
        .size:           8
        .value_kind:     by_value
      - .offset:         64
        .size:           8
        .value_kind:     by_value
      - .offset:         72
        .size:           4
        .value_kind:     by_value
      - .actual_access:  write_only
        .address_space:  global
        .offset:         80
        .size:           8
        .value_kind:     global_buffer
    .group_segment_fixed_size: 0
    .kernarg_segment_align: 8
    .kernarg_segment_size: 88
    .language:       OpenCL C
    .language_version:
      - 2
      - 0
    .max_flat_workgroup_size: 256
    .name:           _ZL28rocblas_dot_batched_4_kernelIlLi64ELi4ELb1EfDF16_PKDF16_EviT5_lT_lS2_lS3_liPT4_
    .private_segment_fixed_size: 0
    .sgpr_count:     28
    .sgpr_spill_count: 0
    .symbol:         _ZL28rocblas_dot_batched_4_kernelIlLi64ELi4ELb1EfDF16_PKDF16_EviT5_lT_lS2_lS3_liPT4_.kd
    .uniform_work_group_size: 1
    .uses_dynamic_stack: false
    .vgpr_count:     13
    .vgpr_spill_count: 0
    .wavefront_size: 64
  - .agpr_count:     0
    .args:
      - .offset:         0
        .size:           4
        .value_kind:     by_value
      - .actual_access:  read_only
        .address_space:  global
        .offset:         8
        .size:           8
        .value_kind:     global_buffer
      - .offset:         16
        .size:           8
        .value_kind:     by_value
      - .offset:         24
        .size:           8
        .value_kind:     by_value
      - .offset:         32
        .size:           8
        .value_kind:     by_value
      - .actual_access:  read_only
        .address_space:  global
        .offset:         40
        .size:           8
        .value_kind:     global_buffer
      - .offset:         48
        .size:           8
        .value_kind:     by_value
      - .offset:         56
        .size:           8
        .value_kind:     by_value
      - .offset:         64
        .size:           8
        .value_kind:     by_value
      - .offset:         72
        .size:           4
        .value_kind:     by_value
      - .actual_access:  read_only
        .address_space:  global
        .offset:         80
        .size:           8
        .value_kind:     global_buffer
      - .actual_access:  write_only
        .address_space:  global
        .offset:         88
        .size:           8
        .value_kind:     global_buffer
      - .offset:         96
        .size:           4
        .value_kind:     hidden_block_count_x
      - .offset:         100
        .size:           4
        .value_kind:     hidden_block_count_y
      - .offset:         104
        .size:           4
        .value_kind:     hidden_block_count_z
      - .offset:         108
        .size:           2
        .value_kind:     hidden_group_size_x
      - .offset:         110
        .size:           2
        .value_kind:     hidden_group_size_y
      - .offset:         112
        .size:           2
        .value_kind:     hidden_group_size_z
      - .offset:         114
        .size:           2
        .value_kind:     hidden_remainder_x
      - .offset:         116
        .size:           2
        .value_kind:     hidden_remainder_y
      - .offset:         118
        .size:           2
        .value_kind:     hidden_remainder_z
      - .offset:         136
        .size:           8
        .value_kind:     hidden_global_offset_x
      - .offset:         144
        .size:           8
        .value_kind:     hidden_global_offset_y
      - .offset:         152
        .size:           8
        .value_kind:     hidden_global_offset_z
      - .offset:         160
        .size:           2
        .value_kind:     hidden_grid_dims
    .group_segment_fixed_size: 256
    .kernarg_segment_align: 8
    .kernarg_segment_size: 352
    .language:       OpenCL C
    .language_version:
      - 2
      - 0
    .max_flat_workgroup_size: 1024
    .name:           _ZL18rocblas_dot_kernelIlLb1ELi1024ELi32ELb1EDF16_PKDF16_fEviT5_lT_lS2_lS3_liPT6_PT4_
    .private_segment_fixed_size: 0
    .sgpr_count:     30
    .sgpr_spill_count: 0
    .symbol:         _ZL18rocblas_dot_kernelIlLb1ELi1024ELi32ELb1EDF16_PKDF16_fEviT5_lT_lS2_lS3_liPT6_PT4_.kd
    .uniform_work_group_size: 1
    .uses_dynamic_stack: false
    .vgpr_count:     11
    .vgpr_spill_count: 0
    .wavefront_size: 64
  - .agpr_count:     0
    .args:
      - .offset:         0
        .size:           4
        .value_kind:     by_value
      - .actual_access:  read_only
        .address_space:  global
        .offset:         8
        .size:           8
        .value_kind:     global_buffer
      - .offset:         16
        .size:           8
        .value_kind:     by_value
      - .offset:         24
        .size:           8
        .value_kind:     by_value
      - .offset:         32
        .size:           8
        .value_kind:     by_value
      - .offset:         40
        .size:           4
        .value_kind:     by_value
      - .actual_access:  read_only
        .address_space:  global
        .offset:         48
        .size:           8
        .value_kind:     global_buffer
      - .actual_access:  write_only
        .address_space:  global
        .offset:         56
        .size:           8
        .value_kind:     global_buffer
      - .offset:         64
        .size:           4
        .value_kind:     hidden_block_count_x
      - .offset:         68
        .size:           4
        .value_kind:     hidden_block_count_y
      - .offset:         72
        .size:           4
        .value_kind:     hidden_block_count_z
      - .offset:         76
        .size:           2
        .value_kind:     hidden_group_size_x
      - .offset:         78
        .size:           2
        .value_kind:     hidden_group_size_y
      - .offset:         80
        .size:           2
        .value_kind:     hidden_group_size_z
      - .offset:         82
        .size:           2
        .value_kind:     hidden_remainder_x
      - .offset:         84
        .size:           2
        .value_kind:     hidden_remainder_y
      - .offset:         86
        .size:           2
        .value_kind:     hidden_remainder_z
      - .offset:         104
        .size:           8
        .value_kind:     hidden_global_offset_x
      - .offset:         112
        .size:           8
        .value_kind:     hidden_global_offset_y
      - .offset:         120
        .size:           8
        .value_kind:     hidden_global_offset_z
      - .offset:         128
        .size:           2
        .value_kind:     hidden_grid_dims
    .group_segment_fixed_size: 256
    .kernarg_segment_align: 8
    .kernarg_segment_size: 320
    .language:       OpenCL C
    .language_version:
      - 2
      - 0
    .max_flat_workgroup_size: 1024
    .name:           _ZL24rocblas_dot_kernel_magsqIlLb1ELi1024ELi32ELb1EDF16_PKDF16_fEviT5_lT_liPT6_PT4_
    .private_segment_fixed_size: 0
    .sgpr_count:     24
    .sgpr_spill_count: 0
    .symbol:         _ZL24rocblas_dot_kernel_magsqIlLb1ELi1024ELi32ELb1EDF16_PKDF16_fEviT5_lT_liPT6_PT4_.kd
    .uniform_work_group_size: 1
    .uses_dynamic_stack: false
    .vgpr_count:     10
    .vgpr_spill_count: 0
    .wavefront_size: 64
  - .agpr_count:     0
    .args:
      - .offset:         0
        .size:           4
        .value_kind:     by_value
      - .actual_access:  read_only
        .address_space:  global
        .offset:         8
        .size:           8
        .value_kind:     global_buffer
      - .offset:         16
        .size:           8
        .value_kind:     by_value
      - .offset:         24
        .size:           8
        .value_kind:     by_value
      - .offset:         32
        .size:           8
        .value_kind:     by_value
      - .actual_access:  read_only
        .address_space:  global
        .offset:         40
        .size:           8
        .value_kind:     global_buffer
      - .offset:         48
        .size:           8
        .value_kind:     by_value
      - .offset:         56
        .size:           8
        .value_kind:     by_value
      - .offset:         64
        .size:           8
        .value_kind:     by_value
      - .offset:         72
        .size:           4
        .value_kind:     by_value
      - .actual_access:  write_only
        .address_space:  global
        .offset:         80
        .size:           8
        .value_kind:     global_buffer
      - .actual_access:  write_only
        .address_space:  global
        .offset:         88
        .size:           8
        .value_kind:     global_buffer
      - .offset:         96
        .size:           4
        .value_kind:     hidden_block_count_x
      - .offset:         100
        .size:           4
        .value_kind:     hidden_block_count_y
      - .offset:         104
        .size:           4
        .value_kind:     hidden_block_count_z
      - .offset:         108
        .size:           2
        .value_kind:     hidden_group_size_x
      - .offset:         110
        .size:           2
        .value_kind:     hidden_group_size_y
      - .offset:         112
        .size:           2
        .value_kind:     hidden_group_size_z
      - .offset:         114
        .size:           2
        .value_kind:     hidden_remainder_x
      - .offset:         116
        .size:           2
        .value_kind:     hidden_remainder_y
      - .offset:         118
        .size:           2
        .value_kind:     hidden_remainder_z
      - .offset:         136
        .size:           8
        .value_kind:     hidden_global_offset_x
      - .offset:         144
        .size:           8
        .value_kind:     hidden_global_offset_y
      - .offset:         152
        .size:           8
        .value_kind:     hidden_global_offset_z
      - .offset:         160
        .size:           2
        .value_kind:     hidden_grid_dims
    .group_segment_fixed_size: 256
    .kernarg_segment_align: 8
    .kernarg_segment_size: 352
    .language:       OpenCL C
    .language_version:
      - 2
      - 0
    .max_flat_workgroup_size: 512
    .name:           _ZL18rocblas_dot_kernelIlLb0ELi512ELi8ELb1EDF16_PKDF16_fEviT5_lT_lS2_lS3_liPT6_PT4_
    .private_segment_fixed_size: 0
    .sgpr_count:     34
    .sgpr_spill_count: 0
    .symbol:         _ZL18rocblas_dot_kernelIlLb0ELi512ELi8ELb1EDF16_PKDF16_fEviT5_lT_lS2_lS3_liPT6_PT4_.kd
    .uniform_work_group_size: 1
    .uses_dynamic_stack: false
    .vgpr_count:     11
    .vgpr_spill_count: 0
    .wavefront_size: 64
  - .agpr_count:     0
    .args:
      - .offset:         0
        .size:           4
        .value_kind:     by_value
      - .actual_access:  read_only
        .address_space:  global
        .offset:         8
        .size:           8
        .value_kind:     global_buffer
      - .offset:         16
        .size:           8
        .value_kind:     by_value
      - .offset:         24
        .size:           8
        .value_kind:     by_value
      - .offset:         32
        .size:           8
        .value_kind:     by_value
      - .offset:         40
        .size:           4
        .value_kind:     by_value
      - .actual_access:  write_only
        .address_space:  global
        .offset:         48
        .size:           8
        .value_kind:     global_buffer
      - .actual_access:  write_only
        .address_space:  global
        .offset:         56
        .size:           8
        .value_kind:     global_buffer
      - .offset:         64
        .size:           4
        .value_kind:     hidden_block_count_x
      - .offset:         68
        .size:           4
        .value_kind:     hidden_block_count_y
      - .offset:         72
        .size:           4
        .value_kind:     hidden_block_count_z
      - .offset:         76
        .size:           2
        .value_kind:     hidden_group_size_x
      - .offset:         78
        .size:           2
        .value_kind:     hidden_group_size_y
      - .offset:         80
        .size:           2
        .value_kind:     hidden_group_size_z
      - .offset:         82
        .size:           2
        .value_kind:     hidden_remainder_x
      - .offset:         84
        .size:           2
        .value_kind:     hidden_remainder_y
      - .offset:         86
        .size:           2
        .value_kind:     hidden_remainder_z
      - .offset:         104
        .size:           8
        .value_kind:     hidden_global_offset_x
      - .offset:         112
        .size:           8
        .value_kind:     hidden_global_offset_y
      - .offset:         120
        .size:           8
        .value_kind:     hidden_global_offset_z
      - .offset:         128
        .size:           2
        .value_kind:     hidden_grid_dims
    .group_segment_fixed_size: 256
    .kernarg_segment_align: 8
    .kernarg_segment_size: 320
    .language:       OpenCL C
    .language_version:
      - 2
      - 0
    .max_flat_workgroup_size: 512
    .name:           _ZL24rocblas_dot_kernel_magsqIlLb0ELi512ELi8ELb1EDF16_PKDF16_fEviT5_lT_liPT6_PT4_
    .private_segment_fixed_size: 0
    .sgpr_count:     28
    .sgpr_spill_count: 0
    .symbol:         _ZL24rocblas_dot_kernel_magsqIlLb0ELi512ELi8ELb1EDF16_PKDF16_fEviT5_lT_liPT6_PT4_.kd
    .uniform_work_group_size: 1
    .uses_dynamic_stack: false
    .vgpr_count:     9
    .vgpr_spill_count: 0
    .wavefront_size: 64
  - .agpr_count:     0
    .args:
      - .offset:         0
        .size:           4
        .value_kind:     by_value
      - .actual_access:  read_only
        .address_space:  global
        .offset:         8
        .size:           8
        .value_kind:     global_buffer
      - .offset:         16
        .size:           8
        .value_kind:     by_value
      - .offset:         24
        .size:           4
        .value_kind:     by_value
      - .offset:         32
        .size:           8
        .value_kind:     by_value
      - .actual_access:  read_only
        .address_space:  global
        .offset:         40
        .size:           8
        .value_kind:     global_buffer
      - .offset:         48
        .size:           8
        .value_kind:     by_value
      - .offset:         56
        .size:           4
        .value_kind:     by_value
      - .offset:         64
        .size:           8
        .value_kind:     by_value
      - .offset:         72
        .size:           4
        .value_kind:     by_value
      - .actual_access:  write_only
        .address_space:  global
        .offset:         80
        .size:           8
        .value_kind:     global_buffer
    .group_segment_fixed_size: 0
    .kernarg_segment_align: 8
    .kernarg_segment_size: 88
    .language:       OpenCL C
    .language_version:
      - 2
      - 0
    .max_flat_workgroup_size: 128
    .name:           _ZL28rocblas_dot_batched_4_kernelIiLi32ELi4ELb1EfDF16_PKPKDF16_EviT5_lT_lS4_lS5_liPT4_
    .private_segment_fixed_size: 0
    .sgpr_count:     22
    .sgpr_spill_count: 0
    .symbol:         _ZL28rocblas_dot_batched_4_kernelIiLi32ELi4ELb1EfDF16_PKPKDF16_EviT5_lT_lS4_lS5_liPT4_.kd
    .uniform_work_group_size: 1
    .uses_dynamic_stack: false
    .vgpr_count:     14
    .vgpr_spill_count: 0
    .wavefront_size: 64
  - .agpr_count:     0
    .args:
      - .offset:         0
        .size:           4
        .value_kind:     by_value
      - .actual_access:  read_only
        .address_space:  global
        .offset:         8
        .size:           8
        .value_kind:     global_buffer
      - .offset:         16
        .size:           8
        .value_kind:     by_value
      - .offset:         24
        .size:           4
        .value_kind:     by_value
      - .offset:         32
        .size:           8
        .value_kind:     by_value
      - .actual_access:  read_only
        .address_space:  global
        .offset:         40
        .size:           8
        .value_kind:     global_buffer
      - .offset:         48
        .size:           8
        .value_kind:     by_value
      - .offset:         56
        .size:           4
        .value_kind:     by_value
      - .offset:         64
        .size:           8
        .value_kind:     by_value
      - .offset:         72
        .size:           4
        .value_kind:     by_value
      - .actual_access:  write_only
        .address_space:  global
        .offset:         80
        .size:           8
        .value_kind:     global_buffer
    .group_segment_fixed_size: 0
    .kernarg_segment_align: 8
    .kernarg_segment_size: 88
    .language:       OpenCL C
    .language_version:
      - 2
      - 0
    .max_flat_workgroup_size: 256
    .name:           _ZL28rocblas_dot_batched_4_kernelIiLi64ELi4ELb1EfDF16_PKPKDF16_EviT5_lT_lS4_lS5_liPT4_
    .private_segment_fixed_size: 0
    .sgpr_count:     22
    .sgpr_spill_count: 0
    .symbol:         _ZL28rocblas_dot_batched_4_kernelIiLi64ELi4ELb1EfDF16_PKPKDF16_EviT5_lT_lS4_lS5_liPT4_.kd
    .uniform_work_group_size: 1
    .uses_dynamic_stack: false
    .vgpr_count:     14
    .vgpr_spill_count: 0
    .wavefront_size: 64
  - .agpr_count:     0
    .args:
      - .offset:         0
        .size:           4
        .value_kind:     by_value
      - .actual_access:  read_only
        .address_space:  global
        .offset:         8
        .size:           8
        .value_kind:     global_buffer
      - .offset:         16
        .size:           8
        .value_kind:     by_value
      - .offset:         24
        .size:           8
        .value_kind:     by_value
      - .actual_access:  read_only
        .address_space:  global
        .offset:         32
        .size:           8
        .value_kind:     global_buffer
      - .offset:         40
        .size:           8
        .value_kind:     by_value
      - .offset:         48
        .size:           8
        .value_kind:     by_value
      - .offset:         56
        .size:           4
        .value_kind:     by_value
      - .actual_access:  read_only
        .address_space:  global
        .offset:         64
        .size:           8
        .value_kind:     global_buffer
      - .actual_access:  write_only
        .address_space:  global
        .offset:         72
        .size:           8
        .value_kind:     global_buffer
    .group_segment_fixed_size: 256
    .kernarg_segment_align: 8
    .kernarg_segment_size: 80
    .language:       OpenCL C
    .language_version:
      - 2
      - 0
    .max_flat_workgroup_size: 1024
    .name:           _ZL26rocblas_dot_kernel_inc1by2ILb1ELi1024ELi32ELb1EDF16_PKPKDF16_fEviT4_llS4_lliPT5_PT3_
    .private_segment_fixed_size: 0
    .sgpr_count:     28
    .sgpr_spill_count: 0
    .symbol:         _ZL26rocblas_dot_kernel_inc1by2ILb1ELi1024ELi32ELb1EDF16_PKPKDF16_fEviT4_llS4_lliPT5_PT3_.kd
    .uniform_work_group_size: 1
    .uses_dynamic_stack: false
    .vgpr_count:     12
    .vgpr_spill_count: 0
    .wavefront_size: 64
  - .agpr_count:     0
    .args:
      - .offset:         0
        .size:           4
        .value_kind:     by_value
      - .actual_access:  read_only
        .address_space:  global
        .offset:         8
        .size:           8
        .value_kind:     global_buffer
      - .offset:         16
        .size:           8
        .value_kind:     by_value
      - .offset:         24
        .size:           4
        .value_kind:     by_value
      - .offset:         32
        .size:           8
        .value_kind:     by_value
      - .actual_access:  read_only
        .address_space:  global
        .offset:         40
        .size:           8
        .value_kind:     global_buffer
      - .offset:         48
        .size:           8
        .value_kind:     by_value
      - .offset:         56
        .size:           4
        .value_kind:     by_value
      - .offset:         64
        .size:           8
        .value_kind:     by_value
      - .offset:         72
        .size:           4
        .value_kind:     by_value
      - .actual_access:  read_only
        .address_space:  global
        .offset:         80
        .size:           8
        .value_kind:     global_buffer
      - .actual_access:  write_only
        .address_space:  global
        .offset:         88
        .size:           8
        .value_kind:     global_buffer
      - .offset:         96
        .size:           4
        .value_kind:     hidden_block_count_x
      - .offset:         100
        .size:           4
        .value_kind:     hidden_block_count_y
      - .offset:         104
        .size:           4
        .value_kind:     hidden_block_count_z
      - .offset:         108
        .size:           2
        .value_kind:     hidden_group_size_x
      - .offset:         110
        .size:           2
        .value_kind:     hidden_group_size_y
      - .offset:         112
        .size:           2
        .value_kind:     hidden_group_size_z
      - .offset:         114
        .size:           2
        .value_kind:     hidden_remainder_x
      - .offset:         116
        .size:           2
        .value_kind:     hidden_remainder_y
      - .offset:         118
        .size:           2
        .value_kind:     hidden_remainder_z
      - .offset:         136
        .size:           8
        .value_kind:     hidden_global_offset_x
      - .offset:         144
        .size:           8
        .value_kind:     hidden_global_offset_y
      - .offset:         152
        .size:           8
        .value_kind:     hidden_global_offset_z
      - .offset:         160
        .size:           2
        .value_kind:     hidden_grid_dims
    .group_segment_fixed_size: 256
    .kernarg_segment_align: 8
    .kernarg_segment_size: 352
    .language:       OpenCL C
    .language_version:
      - 2
      - 0
    .max_flat_workgroup_size: 1024
    .name:           _ZL18rocblas_dot_kernelIiLb1ELi1024ELi32ELb1EDF16_PKPKDF16_fEviT5_lT_lS4_lS5_liPT6_PT4_
    .private_segment_fixed_size: 0
    .sgpr_count:     29
    .sgpr_spill_count: 0
    .symbol:         _ZL18rocblas_dot_kernelIiLb1ELi1024ELi32ELb1EDF16_PKPKDF16_fEviT5_lT_lS4_lS5_liPT6_PT4_.kd
    .uniform_work_group_size: 1
    .uses_dynamic_stack: false
    .vgpr_count:     11
    .vgpr_spill_count: 0
    .wavefront_size: 64
  - .agpr_count:     0
    .args:
      - .offset:         0
        .size:           4
        .value_kind:     by_value
      - .actual_access:  read_only
        .address_space:  global
        .offset:         8
        .size:           8
        .value_kind:     global_buffer
      - .offset:         16
        .size:           8
        .value_kind:     by_value
      - .offset:         24
        .size:           4
        .value_kind:     by_value
      - .offset:         32
        .size:           8
        .value_kind:     by_value
      - .offset:         40
        .size:           4
        .value_kind:     by_value
      - .actual_access:  read_only
        .address_space:  global
        .offset:         48
        .size:           8
        .value_kind:     global_buffer
      - .actual_access:  write_only
        .address_space:  global
        .offset:         56
        .size:           8
        .value_kind:     global_buffer
      - .offset:         64
        .size:           4
        .value_kind:     hidden_block_count_x
      - .offset:         68
        .size:           4
        .value_kind:     hidden_block_count_y
      - .offset:         72
        .size:           4
        .value_kind:     hidden_block_count_z
      - .offset:         76
        .size:           2
        .value_kind:     hidden_group_size_x
      - .offset:         78
        .size:           2
        .value_kind:     hidden_group_size_y
      - .offset:         80
        .size:           2
        .value_kind:     hidden_group_size_z
      - .offset:         82
        .size:           2
        .value_kind:     hidden_remainder_x
      - .offset:         84
        .size:           2
        .value_kind:     hidden_remainder_y
      - .offset:         86
        .size:           2
        .value_kind:     hidden_remainder_z
      - .offset:         104
        .size:           8
        .value_kind:     hidden_global_offset_x
      - .offset:         112
        .size:           8
        .value_kind:     hidden_global_offset_y
      - .offset:         120
        .size:           8
        .value_kind:     hidden_global_offset_z
      - .offset:         128
        .size:           2
        .value_kind:     hidden_grid_dims
    .group_segment_fixed_size: 256
    .kernarg_segment_align: 8
    .kernarg_segment_size: 320
    .language:       OpenCL C
    .language_version:
      - 2
      - 0
    .max_flat_workgroup_size: 1024
    .name:           _ZL24rocblas_dot_kernel_magsqIiLb1ELi1024ELi32ELb1EDF16_PKPKDF16_fEviT5_lT_liPT6_PT4_
    .private_segment_fixed_size: 0
    .sgpr_count:     24
    .sgpr_spill_count: 0
    .symbol:         _ZL24rocblas_dot_kernel_magsqIiLb1ELi1024ELi32ELb1EDF16_PKPKDF16_fEviT5_lT_liPT6_PT4_.kd
    .uniform_work_group_size: 1
    .uses_dynamic_stack: false
    .vgpr_count:     10
    .vgpr_spill_count: 0
    .wavefront_size: 64
  - .agpr_count:     0
    .args:
      - .offset:         0
        .size:           4
        .value_kind:     by_value
      - .actual_access:  read_only
        .address_space:  global
        .offset:         8
        .size:           8
        .value_kind:     global_buffer
      - .offset:         16
        .size:           8
        .value_kind:     by_value
      - .offset:         24
        .size:           8
        .value_kind:     by_value
      - .actual_access:  read_only
        .address_space:  global
        .offset:         32
        .size:           8
        .value_kind:     global_buffer
      - .offset:         40
        .size:           8
        .value_kind:     by_value
      - .offset:         48
        .size:           8
        .value_kind:     by_value
      - .offset:         56
        .size:           4
        .value_kind:     by_value
      - .actual_access:  write_only
        .address_space:  global
        .offset:         64
        .size:           8
        .value_kind:     global_buffer
      - .actual_access:  write_only
        .address_space:  global
        .offset:         72
        .size:           8
        .value_kind:     global_buffer
      - .offset:         80
        .size:           4
        .value_kind:     hidden_block_count_x
      - .offset:         84
        .size:           4
        .value_kind:     hidden_block_count_y
      - .offset:         88
        .size:           4
        .value_kind:     hidden_block_count_z
      - .offset:         92
        .size:           2
        .value_kind:     hidden_group_size_x
      - .offset:         94
        .size:           2
        .value_kind:     hidden_group_size_y
      - .offset:         96
        .size:           2
        .value_kind:     hidden_group_size_z
      - .offset:         98
        .size:           2
        .value_kind:     hidden_remainder_x
      - .offset:         100
        .size:           2
        .value_kind:     hidden_remainder_y
      - .offset:         102
        .size:           2
        .value_kind:     hidden_remainder_z
      - .offset:         120
        .size:           8
        .value_kind:     hidden_global_offset_x
      - .offset:         128
        .size:           8
        .value_kind:     hidden_global_offset_y
      - .offset:         136
        .size:           8
        .value_kind:     hidden_global_offset_z
      - .offset:         144
        .size:           2
        .value_kind:     hidden_grid_dims
    .group_segment_fixed_size: 256
    .kernarg_segment_align: 8
    .kernarg_segment_size: 336
    .language:       OpenCL C
    .language_version:
      - 2
      - 0
    .max_flat_workgroup_size: 512
    .name:           _ZL23rocblas_dot_kernel_inc1ILb0ELi512ELi8ELb1EDF16_PKPKDF16_fEviT4_llS4_lliPT5_PT3_
    .private_segment_fixed_size: 0
    .sgpr_count:     32
    .sgpr_spill_count: 0
    .symbol:         _ZL23rocblas_dot_kernel_inc1ILb0ELi512ELi8ELb1EDF16_PKPKDF16_fEviT4_llS4_lliPT5_PT3_.kd
    .uniform_work_group_size: 1
    .uses_dynamic_stack: false
    .vgpr_count:     14
    .vgpr_spill_count: 0
    .wavefront_size: 64
  - .agpr_count:     0
    .args:
      - .offset:         0
        .size:           4
        .value_kind:     by_value
      - .actual_access:  read_only
        .address_space:  global
        .offset:         8
        .size:           8
        .value_kind:     global_buffer
      - .offset:         16
        .size:           8
        .value_kind:     by_value
      - .offset:         24
        .size:           4
        .value_kind:     by_value
      - .offset:         32
        .size:           8
        .value_kind:     by_value
      - .actual_access:  read_only
        .address_space:  global
        .offset:         40
        .size:           8
        .value_kind:     global_buffer
      - .offset:         48
        .size:           8
        .value_kind:     by_value
      - .offset:         56
        .size:           4
        .value_kind:     by_value
      - .offset:         64
        .size:           8
        .value_kind:     by_value
      - .offset:         72
        .size:           4
        .value_kind:     by_value
      - .actual_access:  write_only
        .address_space:  global
        .offset:         80
        .size:           8
        .value_kind:     global_buffer
      - .actual_access:  write_only
        .address_space:  global
        .offset:         88
        .size:           8
        .value_kind:     global_buffer
      - .offset:         96
        .size:           4
        .value_kind:     hidden_block_count_x
      - .offset:         100
        .size:           4
        .value_kind:     hidden_block_count_y
      - .offset:         104
        .size:           4
        .value_kind:     hidden_block_count_z
      - .offset:         108
        .size:           2
        .value_kind:     hidden_group_size_x
      - .offset:         110
        .size:           2
        .value_kind:     hidden_group_size_y
      - .offset:         112
        .size:           2
        .value_kind:     hidden_group_size_z
      - .offset:         114
        .size:           2
        .value_kind:     hidden_remainder_x
      - .offset:         116
        .size:           2
        .value_kind:     hidden_remainder_y
      - .offset:         118
        .size:           2
        .value_kind:     hidden_remainder_z
      - .offset:         136
        .size:           8
        .value_kind:     hidden_global_offset_x
      - .offset:         144
        .size:           8
        .value_kind:     hidden_global_offset_y
      - .offset:         152
        .size:           8
        .value_kind:     hidden_global_offset_z
      - .offset:         160
        .size:           2
        .value_kind:     hidden_grid_dims
    .group_segment_fixed_size: 256
    .kernarg_segment_align: 8
    .kernarg_segment_size: 352
    .language:       OpenCL C
    .language_version:
      - 2
      - 0
    .max_flat_workgroup_size: 512
    .name:           _ZL18rocblas_dot_kernelIiLb0ELi512ELi8ELb1EDF16_PKPKDF16_fEviT5_lT_lS4_lS5_liPT6_PT4_
    .private_segment_fixed_size: 0
    .sgpr_count:     32
    .sgpr_spill_count: 0
    .symbol:         _ZL18rocblas_dot_kernelIiLb0ELi512ELi8ELb1EDF16_PKPKDF16_fEviT5_lT_lS4_lS5_liPT6_PT4_.kd
    .uniform_work_group_size: 1
    .uses_dynamic_stack: false
    .vgpr_count:     11
    .vgpr_spill_count: 0
    .wavefront_size: 64
  - .agpr_count:     0
    .args:
      - .offset:         0
        .size:           4
        .value_kind:     by_value
      - .actual_access:  read_only
        .address_space:  global
        .offset:         8
        .size:           8
        .value_kind:     global_buffer
      - .offset:         16
        .size:           8
        .value_kind:     by_value
      - .offset:         24
        .size:           4
        .value_kind:     by_value
      - .offset:         32
        .size:           8
        .value_kind:     by_value
      - .offset:         40
        .size:           4
        .value_kind:     by_value
      - .actual_access:  write_only
        .address_space:  global
        .offset:         48
        .size:           8
        .value_kind:     global_buffer
      - .actual_access:  write_only
        .address_space:  global
        .offset:         56
        .size:           8
        .value_kind:     global_buffer
      - .offset:         64
        .size:           4
        .value_kind:     hidden_block_count_x
      - .offset:         68
        .size:           4
        .value_kind:     hidden_block_count_y
      - .offset:         72
        .size:           4
        .value_kind:     hidden_block_count_z
      - .offset:         76
        .size:           2
        .value_kind:     hidden_group_size_x
      - .offset:         78
        .size:           2
        .value_kind:     hidden_group_size_y
      - .offset:         80
        .size:           2
        .value_kind:     hidden_group_size_z
      - .offset:         82
        .size:           2
        .value_kind:     hidden_remainder_x
      - .offset:         84
        .size:           2
        .value_kind:     hidden_remainder_y
      - .offset:         86
        .size:           2
        .value_kind:     hidden_remainder_z
      - .offset:         104
        .size:           8
        .value_kind:     hidden_global_offset_x
      - .offset:         112
        .size:           8
        .value_kind:     hidden_global_offset_y
      - .offset:         120
        .size:           8
        .value_kind:     hidden_global_offset_z
      - .offset:         128
        .size:           2
        .value_kind:     hidden_grid_dims
    .group_segment_fixed_size: 256
    .kernarg_segment_align: 8
    .kernarg_segment_size: 320
    .language:       OpenCL C
    .language_version:
      - 2
      - 0
    .max_flat_workgroup_size: 512
    .name:           _ZL24rocblas_dot_kernel_magsqIiLb0ELi512ELi8ELb1EDF16_PKPKDF16_fEviT5_lT_liPT6_PT4_
    .private_segment_fixed_size: 0
    .sgpr_count:     28
    .sgpr_spill_count: 0
    .symbol:         _ZL24rocblas_dot_kernel_magsqIiLb0ELi512ELi8ELb1EDF16_PKPKDF16_fEviT5_lT_liPT6_PT4_.kd
    .uniform_work_group_size: 1
    .uses_dynamic_stack: false
    .vgpr_count:     9
    .vgpr_spill_count: 0
    .wavefront_size: 64
  - .agpr_count:     0
    .args:
      - .offset:         0
        .size:           4
        .value_kind:     by_value
      - .actual_access:  read_only
        .address_space:  global
        .offset:         8
        .size:           8
        .value_kind:     global_buffer
      - .offset:         16
        .size:           8
        .value_kind:     by_value
      - .offset:         24
        .size:           4
        .value_kind:     by_value
      - .offset:         32
        .size:           8
        .value_kind:     by_value
      - .actual_access:  read_only
        .address_space:  global
        .offset:         40
        .size:           8
        .value_kind:     global_buffer
      - .offset:         48
        .size:           8
        .value_kind:     by_value
      - .offset:         56
        .size:           4
        .value_kind:     by_value
      - .offset:         64
        .size:           8
        .value_kind:     by_value
      - .offset:         72
        .size:           4
        .value_kind:     by_value
      - .actual_access:  write_only
        .address_space:  global
        .offset:         80
        .size:           8
        .value_kind:     global_buffer
    .group_segment_fixed_size: 0
    .kernarg_segment_align: 8
    .kernarg_segment_size: 88
    .language:       OpenCL C
    .language_version:
      - 2
      - 0
    .max_flat_workgroup_size: 128
    .name:           _ZL28rocblas_dot_batched_4_kernelIiLi32ELi4ELb1EffPKPKDF16_EviT5_lT_lS4_lS5_liPT4_
    .private_segment_fixed_size: 0
    .sgpr_count:     22
    .sgpr_spill_count: 0
    .symbol:         _ZL28rocblas_dot_batched_4_kernelIiLi32ELi4ELb1EffPKPKDF16_EviT5_lT_lS4_lS5_liPT4_.kd
    .uniform_work_group_size: 1
    .uses_dynamic_stack: false
    .vgpr_count:     14
    .vgpr_spill_count: 0
    .wavefront_size: 64
  - .agpr_count:     0
    .args:
      - .offset:         0
        .size:           4
        .value_kind:     by_value
      - .actual_access:  read_only
        .address_space:  global
        .offset:         8
        .size:           8
        .value_kind:     global_buffer
      - .offset:         16
        .size:           8
        .value_kind:     by_value
      - .offset:         24
        .size:           4
        .value_kind:     by_value
      - .offset:         32
        .size:           8
        .value_kind:     by_value
      - .actual_access:  read_only
        .address_space:  global
        .offset:         40
        .size:           8
        .value_kind:     global_buffer
      - .offset:         48
        .size:           8
        .value_kind:     by_value
      - .offset:         56
        .size:           4
        .value_kind:     by_value
      - .offset:         64
        .size:           8
        .value_kind:     by_value
      - .offset:         72
        .size:           4
        .value_kind:     by_value
      - .actual_access:  write_only
        .address_space:  global
        .offset:         80
        .size:           8
        .value_kind:     global_buffer
    .group_segment_fixed_size: 0
    .kernarg_segment_align: 8
    .kernarg_segment_size: 88
    .language:       OpenCL C
    .language_version:
      - 2
      - 0
    .max_flat_workgroup_size: 256
    .name:           _ZL28rocblas_dot_batched_4_kernelIiLi64ELi4ELb1EffPKPKDF16_EviT5_lT_lS4_lS5_liPT4_
    .private_segment_fixed_size: 0
    .sgpr_count:     22
    .sgpr_spill_count: 0
    .symbol:         _ZL28rocblas_dot_batched_4_kernelIiLi64ELi4ELb1EffPKPKDF16_EviT5_lT_lS4_lS5_liPT4_.kd
    .uniform_work_group_size: 1
    .uses_dynamic_stack: false
    .vgpr_count:     14
    .vgpr_spill_count: 0
    .wavefront_size: 64
  - .agpr_count:     0
    .args:
      - .offset:         0
        .size:           4
        .value_kind:     by_value
      - .actual_access:  read_only
        .address_space:  global
        .offset:         8
        .size:           8
        .value_kind:     global_buffer
      - .offset:         16
        .size:           8
        .value_kind:     by_value
      - .offset:         24
        .size:           4
        .value_kind:     by_value
      - .offset:         32
        .size:           8
        .value_kind:     by_value
      - .actual_access:  read_only
        .address_space:  global
        .offset:         40
        .size:           8
        .value_kind:     global_buffer
      - .offset:         48
        .size:           8
        .value_kind:     by_value
      - .offset:         56
        .size:           4
        .value_kind:     by_value
      - .offset:         64
        .size:           8
        .value_kind:     by_value
      - .offset:         72
        .size:           4
        .value_kind:     by_value
      - .actual_access:  read_only
        .address_space:  global
        .offset:         80
        .size:           8
        .value_kind:     global_buffer
      - .actual_access:  write_only
        .address_space:  global
        .offset:         88
        .size:           8
        .value_kind:     global_buffer
      - .offset:         96
        .size:           4
        .value_kind:     hidden_block_count_x
      - .offset:         100
        .size:           4
        .value_kind:     hidden_block_count_y
      - .offset:         104
        .size:           4
        .value_kind:     hidden_block_count_z
      - .offset:         108
        .size:           2
        .value_kind:     hidden_group_size_x
      - .offset:         110
        .size:           2
        .value_kind:     hidden_group_size_y
      - .offset:         112
        .size:           2
        .value_kind:     hidden_group_size_z
      - .offset:         114
        .size:           2
        .value_kind:     hidden_remainder_x
      - .offset:         116
        .size:           2
        .value_kind:     hidden_remainder_y
      - .offset:         118
        .size:           2
        .value_kind:     hidden_remainder_z
      - .offset:         136
        .size:           8
        .value_kind:     hidden_global_offset_x
      - .offset:         144
        .size:           8
        .value_kind:     hidden_global_offset_y
      - .offset:         152
        .size:           8
        .value_kind:     hidden_global_offset_z
      - .offset:         160
        .size:           2
        .value_kind:     hidden_grid_dims
    .group_segment_fixed_size: 256
    .kernarg_segment_align: 8
    .kernarg_segment_size: 352
    .language:       OpenCL C
    .language_version:
      - 2
      - 0
    .max_flat_workgroup_size: 1024
    .name:           _ZL18rocblas_dot_kernelIiLb1ELi1024ELi32ELb1EfPKPKDF16_fEviT5_lT_lS4_lS5_liPT6_PT4_
    .private_segment_fixed_size: 0
    .sgpr_count:     29
    .sgpr_spill_count: 0
    .symbol:         _ZL18rocblas_dot_kernelIiLb1ELi1024ELi32ELb1EfPKPKDF16_fEviT5_lT_lS4_lS5_liPT6_PT4_.kd
    .uniform_work_group_size: 1
    .uses_dynamic_stack: false
    .vgpr_count:     11
    .vgpr_spill_count: 0
    .wavefront_size: 64
  - .agpr_count:     0
    .args:
      - .offset:         0
        .size:           4
        .value_kind:     by_value
      - .actual_access:  read_only
        .address_space:  global
        .offset:         8
        .size:           8
        .value_kind:     global_buffer
      - .offset:         16
        .size:           8
        .value_kind:     by_value
      - .offset:         24
        .size:           4
        .value_kind:     by_value
      - .offset:         32
        .size:           8
        .value_kind:     by_value
      - .offset:         40
        .size:           4
        .value_kind:     by_value
      - .actual_access:  read_only
        .address_space:  global
        .offset:         48
        .size:           8
        .value_kind:     global_buffer
      - .actual_access:  write_only
        .address_space:  global
        .offset:         56
        .size:           8
        .value_kind:     global_buffer
      - .offset:         64
        .size:           4
        .value_kind:     hidden_block_count_x
      - .offset:         68
        .size:           4
        .value_kind:     hidden_block_count_y
      - .offset:         72
        .size:           4
        .value_kind:     hidden_block_count_z
      - .offset:         76
        .size:           2
        .value_kind:     hidden_group_size_x
      - .offset:         78
        .size:           2
        .value_kind:     hidden_group_size_y
      - .offset:         80
        .size:           2
        .value_kind:     hidden_group_size_z
      - .offset:         82
        .size:           2
        .value_kind:     hidden_remainder_x
      - .offset:         84
        .size:           2
        .value_kind:     hidden_remainder_y
      - .offset:         86
        .size:           2
        .value_kind:     hidden_remainder_z
      - .offset:         104
        .size:           8
        .value_kind:     hidden_global_offset_x
      - .offset:         112
        .size:           8
        .value_kind:     hidden_global_offset_y
      - .offset:         120
        .size:           8
        .value_kind:     hidden_global_offset_z
      - .offset:         128
        .size:           2
        .value_kind:     hidden_grid_dims
    .group_segment_fixed_size: 256
    .kernarg_segment_align: 8
    .kernarg_segment_size: 320
    .language:       OpenCL C
    .language_version:
      - 2
      - 0
    .max_flat_workgroup_size: 1024
    .name:           _ZL24rocblas_dot_kernel_magsqIiLb1ELi1024ELi32ELb1EfPKPKDF16_fEviT5_lT_liPT6_PT4_
    .private_segment_fixed_size: 0
    .sgpr_count:     24
    .sgpr_spill_count: 0
    .symbol:         _ZL24rocblas_dot_kernel_magsqIiLb1ELi1024ELi32ELb1EfPKPKDF16_fEviT5_lT_liPT6_PT4_.kd
    .uniform_work_group_size: 1
    .uses_dynamic_stack: false
    .vgpr_count:     10
    .vgpr_spill_count: 0
    .wavefront_size: 64
  - .agpr_count:     0
    .args:
      - .offset:         0
        .size:           4
        .value_kind:     by_value
      - .actual_access:  read_only
        .address_space:  global
        .offset:         8
        .size:           8
        .value_kind:     global_buffer
      - .offset:         16
        .size:           8
        .value_kind:     by_value
      - .offset:         24
        .size:           4
        .value_kind:     by_value
      - .offset:         32
        .size:           8
        .value_kind:     by_value
      - .actual_access:  read_only
        .address_space:  global
        .offset:         40
        .size:           8
        .value_kind:     global_buffer
      - .offset:         48
        .size:           8
        .value_kind:     by_value
      - .offset:         56
        .size:           4
        .value_kind:     by_value
      - .offset:         64
        .size:           8
        .value_kind:     by_value
      - .offset:         72
        .size:           4
        .value_kind:     by_value
      - .actual_access:  write_only
        .address_space:  global
        .offset:         80
        .size:           8
        .value_kind:     global_buffer
      - .actual_access:  write_only
        .address_space:  global
        .offset:         88
        .size:           8
        .value_kind:     global_buffer
      - .offset:         96
        .size:           4
        .value_kind:     hidden_block_count_x
      - .offset:         100
        .size:           4
        .value_kind:     hidden_block_count_y
      - .offset:         104
        .size:           4
        .value_kind:     hidden_block_count_z
      - .offset:         108
        .size:           2
        .value_kind:     hidden_group_size_x
      - .offset:         110
        .size:           2
        .value_kind:     hidden_group_size_y
      - .offset:         112
        .size:           2
        .value_kind:     hidden_group_size_z
      - .offset:         114
        .size:           2
        .value_kind:     hidden_remainder_x
      - .offset:         116
        .size:           2
        .value_kind:     hidden_remainder_y
      - .offset:         118
        .size:           2
        .value_kind:     hidden_remainder_z
      - .offset:         136
        .size:           8
        .value_kind:     hidden_global_offset_x
      - .offset:         144
        .size:           8
        .value_kind:     hidden_global_offset_y
      - .offset:         152
        .size:           8
        .value_kind:     hidden_global_offset_z
      - .offset:         160
        .size:           2
        .value_kind:     hidden_grid_dims
    .group_segment_fixed_size: 256
    .kernarg_segment_align: 8
    .kernarg_segment_size: 352
    .language:       OpenCL C
    .language_version:
      - 2
      - 0
    .max_flat_workgroup_size: 512
    .name:           _ZL18rocblas_dot_kernelIiLb0ELi512ELi4ELb1EfPKPKDF16_fEviT5_lT_lS4_lS5_liPT6_PT4_
    .private_segment_fixed_size: 0
    .sgpr_count:     32
    .sgpr_spill_count: 0
    .symbol:         _ZL18rocblas_dot_kernelIiLb0ELi512ELi4ELb1EfPKPKDF16_fEviT5_lT_lS4_lS5_liPT6_PT4_.kd
    .uniform_work_group_size: 1
    .uses_dynamic_stack: false
    .vgpr_count:     11
    .vgpr_spill_count: 0
    .wavefront_size: 64
  - .agpr_count:     0
    .args:
      - .offset:         0
        .size:           4
        .value_kind:     by_value
      - .actual_access:  read_only
        .address_space:  global
        .offset:         8
        .size:           8
        .value_kind:     global_buffer
      - .offset:         16
        .size:           8
        .value_kind:     by_value
      - .offset:         24
        .size:           4
        .value_kind:     by_value
      - .offset:         32
        .size:           8
        .value_kind:     by_value
      - .offset:         40
        .size:           4
        .value_kind:     by_value
      - .actual_access:  write_only
        .address_space:  global
        .offset:         48
        .size:           8
        .value_kind:     global_buffer
      - .actual_access:  write_only
        .address_space:  global
        .offset:         56
        .size:           8
        .value_kind:     global_buffer
      - .offset:         64
        .size:           4
        .value_kind:     hidden_block_count_x
      - .offset:         68
        .size:           4
        .value_kind:     hidden_block_count_y
      - .offset:         72
        .size:           4
        .value_kind:     hidden_block_count_z
      - .offset:         76
        .size:           2
        .value_kind:     hidden_group_size_x
      - .offset:         78
        .size:           2
        .value_kind:     hidden_group_size_y
      - .offset:         80
        .size:           2
        .value_kind:     hidden_group_size_z
      - .offset:         82
        .size:           2
        .value_kind:     hidden_remainder_x
      - .offset:         84
        .size:           2
        .value_kind:     hidden_remainder_y
      - .offset:         86
        .size:           2
        .value_kind:     hidden_remainder_z
      - .offset:         104
        .size:           8
        .value_kind:     hidden_global_offset_x
      - .offset:         112
        .size:           8
        .value_kind:     hidden_global_offset_y
      - .offset:         120
        .size:           8
        .value_kind:     hidden_global_offset_z
      - .offset:         128
        .size:           2
        .value_kind:     hidden_grid_dims
    .group_segment_fixed_size: 256
    .kernarg_segment_align: 8
    .kernarg_segment_size: 320
    .language:       OpenCL C
    .language_version:
      - 2
      - 0
    .max_flat_workgroup_size: 512
    .name:           _ZL24rocblas_dot_kernel_magsqIiLb0ELi512ELi4ELb1EfPKPKDF16_fEviT5_lT_liPT6_PT4_
    .private_segment_fixed_size: 0
    .sgpr_count:     28
    .sgpr_spill_count: 0
    .symbol:         _ZL24rocblas_dot_kernel_magsqIiLb0ELi512ELi4ELb1EfPKPKDF16_fEviT5_lT_liPT6_PT4_.kd
    .uniform_work_group_size: 1
    .uses_dynamic_stack: false
    .vgpr_count:     9
    .vgpr_spill_count: 0
    .wavefront_size: 64
  - .agpr_count:     0
    .args:
      - .offset:         0
        .size:           4
        .value_kind:     by_value
      - .actual_access:  read_only
        .address_space:  global
        .offset:         8
        .size:           8
        .value_kind:     global_buffer
      - .offset:         16
        .size:           8
        .value_kind:     by_value
      - .offset:         24
        .size:           8
        .value_kind:     by_value
      - .offset:         32
        .size:           8
        .value_kind:     by_value
      - .actual_access:  read_only
        .address_space:  global
        .offset:         40
        .size:           8
        .value_kind:     global_buffer
      - .offset:         48
        .size:           8
        .value_kind:     by_value
      - .offset:         56
        .size:           8
        .value_kind:     by_value
      - .offset:         64
        .size:           8
        .value_kind:     by_value
      - .offset:         72
        .size:           4
        .value_kind:     by_value
      - .actual_access:  write_only
        .address_space:  global
        .offset:         80
        .size:           8
        .value_kind:     global_buffer
    .group_segment_fixed_size: 0
    .kernarg_segment_align: 8
    .kernarg_segment_size: 88
    .language:       OpenCL C
    .language_version:
      - 2
      - 0
    .max_flat_workgroup_size: 128
    .name:           _ZL28rocblas_dot_batched_4_kernelIlLi32ELi4ELb1EfDF16_PKPKDF16_EviT5_lT_lS4_lS5_liPT4_
    .private_segment_fixed_size: 0
    .sgpr_count:     24
    .sgpr_spill_count: 0
    .symbol:         _ZL28rocblas_dot_batched_4_kernelIlLi32ELi4ELb1EfDF16_PKPKDF16_EviT5_lT_lS4_lS5_liPT4_.kd
    .uniform_work_group_size: 1
    .uses_dynamic_stack: false
    .vgpr_count:     20
    .vgpr_spill_count: 0
    .wavefront_size: 64
  - .agpr_count:     0
    .args:
      - .offset:         0
        .size:           4
        .value_kind:     by_value
      - .actual_access:  read_only
        .address_space:  global
        .offset:         8
        .size:           8
        .value_kind:     global_buffer
      - .offset:         16
        .size:           8
        .value_kind:     by_value
      - .offset:         24
        .size:           8
        .value_kind:     by_value
      - .offset:         32
        .size:           8
        .value_kind:     by_value
      - .actual_access:  read_only
        .address_space:  global
        .offset:         40
        .size:           8
        .value_kind:     global_buffer
      - .offset:         48
        .size:           8
        .value_kind:     by_value
      - .offset:         56
        .size:           8
        .value_kind:     by_value
      - .offset:         64
        .size:           8
        .value_kind:     by_value
      - .offset:         72
        .size:           4
        .value_kind:     by_value
      - .actual_access:  write_only
        .address_space:  global
        .offset:         80
        .size:           8
        .value_kind:     global_buffer
    .group_segment_fixed_size: 0
    .kernarg_segment_align: 8
    .kernarg_segment_size: 88
    .language:       OpenCL C
    .language_version:
      - 2
      - 0
    .max_flat_workgroup_size: 256
    .name:           _ZL28rocblas_dot_batched_4_kernelIlLi64ELi4ELb1EfDF16_PKPKDF16_EviT5_lT_lS4_lS5_liPT4_
    .private_segment_fixed_size: 0
    .sgpr_count:     24
    .sgpr_spill_count: 0
    .symbol:         _ZL28rocblas_dot_batched_4_kernelIlLi64ELi4ELb1EfDF16_PKPKDF16_EviT5_lT_lS4_lS5_liPT4_.kd
    .uniform_work_group_size: 1
    .uses_dynamic_stack: false
    .vgpr_count:     20
    .vgpr_spill_count: 0
    .wavefront_size: 64
  - .agpr_count:     0
    .args:
      - .offset:         0
        .size:           4
        .value_kind:     by_value
      - .actual_access:  read_only
        .address_space:  global
        .offset:         8
        .size:           8
        .value_kind:     global_buffer
      - .offset:         16
        .size:           8
        .value_kind:     by_value
      - .offset:         24
        .size:           8
        .value_kind:     by_value
      - .offset:         32
        .size:           8
        .value_kind:     by_value
      - .actual_access:  read_only
        .address_space:  global
        .offset:         40
        .size:           8
        .value_kind:     global_buffer
      - .offset:         48
        .size:           8
        .value_kind:     by_value
      - .offset:         56
        .size:           8
        .value_kind:     by_value
      - .offset:         64
        .size:           8
        .value_kind:     by_value
      - .offset:         72
        .size:           4
        .value_kind:     by_value
      - .actual_access:  read_only
        .address_space:  global
        .offset:         80
        .size:           8
        .value_kind:     global_buffer
      - .actual_access:  write_only
        .address_space:  global
        .offset:         88
        .size:           8
        .value_kind:     global_buffer
      - .offset:         96
        .size:           4
        .value_kind:     hidden_block_count_x
      - .offset:         100
        .size:           4
        .value_kind:     hidden_block_count_y
      - .offset:         104
        .size:           4
        .value_kind:     hidden_block_count_z
      - .offset:         108
        .size:           2
        .value_kind:     hidden_group_size_x
      - .offset:         110
        .size:           2
        .value_kind:     hidden_group_size_y
      - .offset:         112
        .size:           2
        .value_kind:     hidden_group_size_z
      - .offset:         114
        .size:           2
        .value_kind:     hidden_remainder_x
      - .offset:         116
        .size:           2
        .value_kind:     hidden_remainder_y
      - .offset:         118
        .size:           2
        .value_kind:     hidden_remainder_z
      - .offset:         136
        .size:           8
        .value_kind:     hidden_global_offset_x
      - .offset:         144
        .size:           8
        .value_kind:     hidden_global_offset_y
      - .offset:         152
        .size:           8
        .value_kind:     hidden_global_offset_z
      - .offset:         160
        .size:           2
        .value_kind:     hidden_grid_dims
    .group_segment_fixed_size: 256
    .kernarg_segment_align: 8
    .kernarg_segment_size: 352
    .language:       OpenCL C
    .language_version:
      - 2
      - 0
    .max_flat_workgroup_size: 1024
    .name:           _ZL18rocblas_dot_kernelIlLb1ELi1024ELi32ELb1EDF16_PKPKDF16_fEviT5_lT_lS4_lS5_liPT6_PT4_
    .private_segment_fixed_size: 0
    .sgpr_count:     30
    .sgpr_spill_count: 0
    .symbol:         _ZL18rocblas_dot_kernelIlLb1ELi1024ELi32ELb1EDF16_PKPKDF16_fEviT5_lT_lS4_lS5_liPT6_PT4_.kd
    .uniform_work_group_size: 1
    .uses_dynamic_stack: false
    .vgpr_count:     11
    .vgpr_spill_count: 0
    .wavefront_size: 64
  - .agpr_count:     0
    .args:
      - .offset:         0
        .size:           4
        .value_kind:     by_value
      - .actual_access:  read_only
        .address_space:  global
        .offset:         8
        .size:           8
        .value_kind:     global_buffer
      - .offset:         16
        .size:           8
        .value_kind:     by_value
      - .offset:         24
        .size:           8
        .value_kind:     by_value
      - .offset:         32
        .size:           8
        .value_kind:     by_value
      - .offset:         40
        .size:           4
        .value_kind:     by_value
      - .actual_access:  read_only
        .address_space:  global
        .offset:         48
        .size:           8
        .value_kind:     global_buffer
      - .actual_access:  write_only
        .address_space:  global
        .offset:         56
        .size:           8
        .value_kind:     global_buffer
      - .offset:         64
        .size:           4
        .value_kind:     hidden_block_count_x
      - .offset:         68
        .size:           4
        .value_kind:     hidden_block_count_y
      - .offset:         72
        .size:           4
        .value_kind:     hidden_block_count_z
      - .offset:         76
        .size:           2
        .value_kind:     hidden_group_size_x
      - .offset:         78
        .size:           2
        .value_kind:     hidden_group_size_y
      - .offset:         80
        .size:           2
        .value_kind:     hidden_group_size_z
      - .offset:         82
        .size:           2
        .value_kind:     hidden_remainder_x
      - .offset:         84
        .size:           2
        .value_kind:     hidden_remainder_y
      - .offset:         86
        .size:           2
        .value_kind:     hidden_remainder_z
      - .offset:         104
        .size:           8
        .value_kind:     hidden_global_offset_x
      - .offset:         112
        .size:           8
        .value_kind:     hidden_global_offset_y
      - .offset:         120
        .size:           8
        .value_kind:     hidden_global_offset_z
      - .offset:         128
        .size:           2
        .value_kind:     hidden_grid_dims
    .group_segment_fixed_size: 256
    .kernarg_segment_align: 8
    .kernarg_segment_size: 320
    .language:       OpenCL C
    .language_version:
      - 2
      - 0
    .max_flat_workgroup_size: 1024
    .name:           _ZL24rocblas_dot_kernel_magsqIlLb1ELi1024ELi32ELb1EDF16_PKPKDF16_fEviT5_lT_liPT6_PT4_
    .private_segment_fixed_size: 0
    .sgpr_count:     24
    .sgpr_spill_count: 0
    .symbol:         _ZL24rocblas_dot_kernel_magsqIlLb1ELi1024ELi32ELb1EDF16_PKPKDF16_fEviT5_lT_liPT6_PT4_.kd
    .uniform_work_group_size: 1
    .uses_dynamic_stack: false
    .vgpr_count:     10
    .vgpr_spill_count: 0
    .wavefront_size: 64
  - .agpr_count:     0
    .args:
      - .offset:         0
        .size:           4
        .value_kind:     by_value
      - .actual_access:  read_only
        .address_space:  global
        .offset:         8
        .size:           8
        .value_kind:     global_buffer
      - .offset:         16
        .size:           8
        .value_kind:     by_value
      - .offset:         24
        .size:           8
        .value_kind:     by_value
      - .offset:         32
        .size:           8
        .value_kind:     by_value
      - .actual_access:  read_only
        .address_space:  global
        .offset:         40
        .size:           8
        .value_kind:     global_buffer
      - .offset:         48
        .size:           8
        .value_kind:     by_value
      - .offset:         56
        .size:           8
        .value_kind:     by_value
      - .offset:         64
        .size:           8
        .value_kind:     by_value
      - .offset:         72
        .size:           4
        .value_kind:     by_value
      - .actual_access:  write_only
        .address_space:  global
        .offset:         80
        .size:           8
        .value_kind:     global_buffer
      - .actual_access:  write_only
        .address_space:  global
        .offset:         88
        .size:           8
        .value_kind:     global_buffer
      - .offset:         96
        .size:           4
        .value_kind:     hidden_block_count_x
      - .offset:         100
        .size:           4
        .value_kind:     hidden_block_count_y
      - .offset:         104
        .size:           4
        .value_kind:     hidden_block_count_z
      - .offset:         108
        .size:           2
        .value_kind:     hidden_group_size_x
      - .offset:         110
        .size:           2
        .value_kind:     hidden_group_size_y
      - .offset:         112
        .size:           2
        .value_kind:     hidden_group_size_z
      - .offset:         114
        .size:           2
        .value_kind:     hidden_remainder_x
      - .offset:         116
        .size:           2
        .value_kind:     hidden_remainder_y
      - .offset:         118
        .size:           2
        .value_kind:     hidden_remainder_z
      - .offset:         136
        .size:           8
        .value_kind:     hidden_global_offset_x
      - .offset:         144
        .size:           8
        .value_kind:     hidden_global_offset_y
      - .offset:         152
        .size:           8
        .value_kind:     hidden_global_offset_z
      - .offset:         160
        .size:           2
        .value_kind:     hidden_grid_dims
    .group_segment_fixed_size: 256
    .kernarg_segment_align: 8
    .kernarg_segment_size: 352
    .language:       OpenCL C
    .language_version:
      - 2
      - 0
    .max_flat_workgroup_size: 512
    .name:           _ZL18rocblas_dot_kernelIlLb0ELi512ELi8ELb1EDF16_PKPKDF16_fEviT5_lT_lS4_lS5_liPT6_PT4_
    .private_segment_fixed_size: 0
    .sgpr_count:     30
    .sgpr_spill_count: 0
    .symbol:         _ZL18rocblas_dot_kernelIlLb0ELi512ELi8ELb1EDF16_PKPKDF16_fEviT5_lT_lS4_lS5_liPT6_PT4_.kd
    .uniform_work_group_size: 1
    .uses_dynamic_stack: false
    .vgpr_count:     11
    .vgpr_spill_count: 0
    .wavefront_size: 64
  - .agpr_count:     0
    .args:
      - .offset:         0
        .size:           4
        .value_kind:     by_value
      - .actual_access:  read_only
        .address_space:  global
        .offset:         8
        .size:           8
        .value_kind:     global_buffer
      - .offset:         16
        .size:           8
        .value_kind:     by_value
      - .offset:         24
        .size:           8
        .value_kind:     by_value
      - .offset:         32
        .size:           8
        .value_kind:     by_value
      - .offset:         40
        .size:           4
        .value_kind:     by_value
      - .actual_access:  write_only
        .address_space:  global
        .offset:         48
        .size:           8
        .value_kind:     global_buffer
      - .actual_access:  write_only
        .address_space:  global
        .offset:         56
        .size:           8
        .value_kind:     global_buffer
      - .offset:         64
        .size:           4
        .value_kind:     hidden_block_count_x
      - .offset:         68
        .size:           4
        .value_kind:     hidden_block_count_y
      - .offset:         72
        .size:           4
        .value_kind:     hidden_block_count_z
      - .offset:         76
        .size:           2
        .value_kind:     hidden_group_size_x
      - .offset:         78
        .size:           2
        .value_kind:     hidden_group_size_y
      - .offset:         80
        .size:           2
        .value_kind:     hidden_group_size_z
      - .offset:         82
        .size:           2
        .value_kind:     hidden_remainder_x
      - .offset:         84
        .size:           2
        .value_kind:     hidden_remainder_y
      - .offset:         86
        .size:           2
        .value_kind:     hidden_remainder_z
      - .offset:         104
        .size:           8
        .value_kind:     hidden_global_offset_x
      - .offset:         112
        .size:           8
        .value_kind:     hidden_global_offset_y
      - .offset:         120
        .size:           8
        .value_kind:     hidden_global_offset_z
      - .offset:         128
        .size:           2
        .value_kind:     hidden_grid_dims
    .group_segment_fixed_size: 256
    .kernarg_segment_align: 8
    .kernarg_segment_size: 320
    .language:       OpenCL C
    .language_version:
      - 2
      - 0
    .max_flat_workgroup_size: 512
    .name:           _ZL24rocblas_dot_kernel_magsqIlLb0ELi512ELi8ELb1EDF16_PKPKDF16_fEviT5_lT_liPT6_PT4_
    .private_segment_fixed_size: 0
    .sgpr_count:     28
    .sgpr_spill_count: 0
    .symbol:         _ZL24rocblas_dot_kernel_magsqIlLb0ELi512ELi8ELb1EDF16_PKPKDF16_fEviT5_lT_liPT6_PT4_.kd
    .uniform_work_group_size: 1
    .uses_dynamic_stack: false
    .vgpr_count:     9
    .vgpr_spill_count: 0
    .wavefront_size: 64
  - .agpr_count:     0
    .args:
      - .offset:         0
        .size:           4
        .value_kind:     by_value
      - .actual_access:  read_only
        .address_space:  global
        .offset:         8
        .size:           8
        .value_kind:     global_buffer
      - .offset:         16
        .size:           8
        .value_kind:     by_value
      - .offset:         24
        .size:           4
        .value_kind:     by_value
      - .offset:         32
        .size:           8
        .value_kind:     by_value
      - .actual_access:  read_only
        .address_space:  global
        .offset:         40
        .size:           8
        .value_kind:     global_buffer
      - .offset:         48
        .size:           8
        .value_kind:     by_value
      - .offset:         56
        .size:           4
        .value_kind:     by_value
      - .offset:         64
        .size:           8
        .value_kind:     by_value
      - .offset:         72
        .size:           4
        .value_kind:     by_value
      - .actual_access:  write_only
        .address_space:  global
        .offset:         80
        .size:           8
        .value_kind:     global_buffer
    .group_segment_fixed_size: 0
    .kernarg_segment_align: 8
    .kernarg_segment_size: 88
    .language:       OpenCL C
    .language_version:
      - 2
      - 0
    .max_flat_workgroup_size: 128
    .name:           _ZL28rocblas_dot_batched_4_kernelIiLi32ELi4ELb1EDF16_DF16_PKDF16_EviT5_lT_lS2_lS3_liPT4_
    .private_segment_fixed_size: 0
    .sgpr_count:     28
    .sgpr_spill_count: 0
    .symbol:         _ZL28rocblas_dot_batched_4_kernelIiLi32ELi4ELb1EDF16_DF16_PKDF16_EviT5_lT_lS2_lS3_liPT4_.kd
    .uniform_work_group_size: 1
    .uses_dynamic_stack: false
    .vgpr_count:     13
    .vgpr_spill_count: 0
    .wavefront_size: 64
  - .agpr_count:     0
    .args:
      - .offset:         0
        .size:           4
        .value_kind:     by_value
      - .actual_access:  read_only
        .address_space:  global
        .offset:         8
        .size:           8
        .value_kind:     global_buffer
      - .offset:         16
        .size:           8
        .value_kind:     by_value
      - .offset:         24
        .size:           4
        .value_kind:     by_value
      - .offset:         32
        .size:           8
        .value_kind:     by_value
      - .actual_access:  read_only
        .address_space:  global
        .offset:         40
        .size:           8
        .value_kind:     global_buffer
      - .offset:         48
        .size:           8
        .value_kind:     by_value
      - .offset:         56
        .size:           4
        .value_kind:     by_value
      - .offset:         64
        .size:           8
        .value_kind:     by_value
      - .offset:         72
        .size:           4
        .value_kind:     by_value
      - .actual_access:  write_only
        .address_space:  global
        .offset:         80
        .size:           8
        .value_kind:     global_buffer
    .group_segment_fixed_size: 0
    .kernarg_segment_align: 8
    .kernarg_segment_size: 88
    .language:       OpenCL C
    .language_version:
      - 2
      - 0
    .max_flat_workgroup_size: 256
    .name:           _ZL28rocblas_dot_batched_4_kernelIiLi64ELi4ELb1EDF16_DF16_PKDF16_EviT5_lT_lS2_lS3_liPT4_
    .private_segment_fixed_size: 0
    .sgpr_count:     28
    .sgpr_spill_count: 0
    .symbol:         _ZL28rocblas_dot_batched_4_kernelIiLi64ELi4ELb1EDF16_DF16_PKDF16_EviT5_lT_lS2_lS3_liPT4_.kd
    .uniform_work_group_size: 1
    .uses_dynamic_stack: false
    .vgpr_count:     13
    .vgpr_spill_count: 0
    .wavefront_size: 64
  - .agpr_count:     0
    .args:
      - .offset:         0
        .size:           4
        .value_kind:     by_value
      - .actual_access:  read_only
        .address_space:  global
        .offset:         8
        .size:           8
        .value_kind:     global_buffer
      - .offset:         16
        .size:           8
        .value_kind:     by_value
      - .offset:         24
        .size:           8
        .value_kind:     by_value
      - .actual_access:  read_only
        .address_space:  global
        .offset:         32
        .size:           8
        .value_kind:     global_buffer
      - .offset:         40
        .size:           8
        .value_kind:     by_value
      - .offset:         48
        .size:           8
        .value_kind:     by_value
      - .offset:         56
        .size:           4
        .value_kind:     by_value
      - .actual_access:  read_only
        .address_space:  global
        .offset:         64
        .size:           8
        .value_kind:     global_buffer
      - .actual_access:  write_only
        .address_space:  global
        .offset:         72
        .size:           8
        .value_kind:     global_buffer
    .group_segment_fixed_size: 128
    .kernarg_segment_align: 8
    .kernarg_segment_size: 80
    .language:       OpenCL C
    .language_version:
      - 2
      - 0
    .max_flat_workgroup_size: 1024
    .name:           _ZL26rocblas_dot_kernel_inc1by2ILb1ELi1024ELi32ELb1EDF16_PKDF16_DF16_EviT4_llS2_lliPT5_PT3_
    .private_segment_fixed_size: 0
    .sgpr_count:     32
    .sgpr_spill_count: 0
    .symbol:         _ZL26rocblas_dot_kernel_inc1by2ILb1ELi1024ELi32ELb1EDF16_PKDF16_DF16_EviT4_llS2_lliPT5_PT3_.kd
    .uniform_work_group_size: 1
    .uses_dynamic_stack: false
    .vgpr_count:     11
    .vgpr_spill_count: 0
    .wavefront_size: 64
  - .agpr_count:     0
    .args:
      - .offset:         0
        .size:           4
        .value_kind:     by_value
      - .actual_access:  read_only
        .address_space:  global
        .offset:         8
        .size:           8
        .value_kind:     global_buffer
      - .offset:         16
        .size:           8
        .value_kind:     by_value
      - .offset:         24
        .size:           4
        .value_kind:     by_value
      - .offset:         32
        .size:           8
        .value_kind:     by_value
      - .actual_access:  read_only
        .address_space:  global
        .offset:         40
        .size:           8
        .value_kind:     global_buffer
      - .offset:         48
        .size:           8
        .value_kind:     by_value
      - .offset:         56
        .size:           4
        .value_kind:     by_value
      - .offset:         64
        .size:           8
        .value_kind:     by_value
      - .offset:         72
        .size:           4
        .value_kind:     by_value
      - .actual_access:  read_only
        .address_space:  global
        .offset:         80
        .size:           8
        .value_kind:     global_buffer
      - .actual_access:  write_only
        .address_space:  global
        .offset:         88
        .size:           8
        .value_kind:     global_buffer
      - .offset:         96
        .size:           4
        .value_kind:     hidden_block_count_x
      - .offset:         100
        .size:           4
        .value_kind:     hidden_block_count_y
      - .offset:         104
        .size:           4
        .value_kind:     hidden_block_count_z
      - .offset:         108
        .size:           2
        .value_kind:     hidden_group_size_x
      - .offset:         110
        .size:           2
        .value_kind:     hidden_group_size_y
      - .offset:         112
        .size:           2
        .value_kind:     hidden_group_size_z
      - .offset:         114
        .size:           2
        .value_kind:     hidden_remainder_x
      - .offset:         116
        .size:           2
        .value_kind:     hidden_remainder_y
      - .offset:         118
        .size:           2
        .value_kind:     hidden_remainder_z
      - .offset:         136
        .size:           8
        .value_kind:     hidden_global_offset_x
      - .offset:         144
        .size:           8
        .value_kind:     hidden_global_offset_y
      - .offset:         152
        .size:           8
        .value_kind:     hidden_global_offset_z
      - .offset:         160
        .size:           2
        .value_kind:     hidden_grid_dims
    .group_segment_fixed_size: 128
    .kernarg_segment_align: 8
    .kernarg_segment_size: 352
    .language:       OpenCL C
    .language_version:
      - 2
      - 0
    .max_flat_workgroup_size: 1024
    .name:           _ZL18rocblas_dot_kernelIiLb1ELi1024ELi32ELb1EDF16_PKDF16_DF16_EviT5_lT_lS2_lS3_liPT6_PT4_
    .private_segment_fixed_size: 0
    .sgpr_count:     28
    .sgpr_spill_count: 0
    .symbol:         _ZL18rocblas_dot_kernelIiLb1ELi1024ELi32ELb1EDF16_PKDF16_DF16_EviT5_lT_lS2_lS3_liPT6_PT4_.kd
    .uniform_work_group_size: 1
    .uses_dynamic_stack: false
    .vgpr_count:     11
    .vgpr_spill_count: 0
    .wavefront_size: 64
  - .agpr_count:     0
    .args:
      - .offset:         0
        .size:           4
        .value_kind:     by_value
      - .actual_access:  read_only
        .address_space:  global
        .offset:         8
        .size:           8
        .value_kind:     global_buffer
      - .offset:         16
        .size:           8
        .value_kind:     by_value
      - .offset:         24
        .size:           4
        .value_kind:     by_value
      - .offset:         32
        .size:           8
        .value_kind:     by_value
      - .offset:         40
        .size:           4
        .value_kind:     by_value
      - .actual_access:  read_only
        .address_space:  global
        .offset:         48
        .size:           8
        .value_kind:     global_buffer
      - .actual_access:  write_only
        .address_space:  global
        .offset:         56
        .size:           8
        .value_kind:     global_buffer
      - .offset:         64
        .size:           4
        .value_kind:     hidden_block_count_x
      - .offset:         68
        .size:           4
        .value_kind:     hidden_block_count_y
      - .offset:         72
        .size:           4
        .value_kind:     hidden_block_count_z
      - .offset:         76
        .size:           2
        .value_kind:     hidden_group_size_x
      - .offset:         78
        .size:           2
        .value_kind:     hidden_group_size_y
      - .offset:         80
        .size:           2
        .value_kind:     hidden_group_size_z
      - .offset:         82
        .size:           2
        .value_kind:     hidden_remainder_x
      - .offset:         84
        .size:           2
        .value_kind:     hidden_remainder_y
      - .offset:         86
        .size:           2
        .value_kind:     hidden_remainder_z
      - .offset:         104
        .size:           8
        .value_kind:     hidden_global_offset_x
      - .offset:         112
        .size:           8
        .value_kind:     hidden_global_offset_y
      - .offset:         120
        .size:           8
        .value_kind:     hidden_global_offset_z
      - .offset:         128
        .size:           2
        .value_kind:     hidden_grid_dims
    .group_segment_fixed_size: 128
    .kernarg_segment_align: 8
    .kernarg_segment_size: 320
    .language:       OpenCL C
    .language_version:
      - 2
      - 0
    .max_flat_workgroup_size: 1024
    .name:           _ZL24rocblas_dot_kernel_magsqIiLb1ELi1024ELi32ELb1EDF16_PKDF16_DF16_EviT5_lT_liPT6_PT4_
    .private_segment_fixed_size: 0
    .sgpr_count:     24
    .sgpr_spill_count: 0
    .symbol:         _ZL24rocblas_dot_kernel_magsqIiLb1ELi1024ELi32ELb1EDF16_PKDF16_DF16_EviT5_lT_liPT6_PT4_.kd
    .uniform_work_group_size: 1
    .uses_dynamic_stack: false
    .vgpr_count:     10
    .vgpr_spill_count: 0
    .wavefront_size: 64
  - .agpr_count:     0
    .args:
      - .offset:         0
        .size:           4
        .value_kind:     by_value
      - .actual_access:  read_only
        .address_space:  global
        .offset:         8
        .size:           8
        .value_kind:     global_buffer
      - .offset:         16
        .size:           8
        .value_kind:     by_value
      - .offset:         24
        .size:           8
        .value_kind:     by_value
      - .actual_access:  read_only
        .address_space:  global
        .offset:         32
        .size:           8
        .value_kind:     global_buffer
      - .offset:         40
        .size:           8
        .value_kind:     by_value
      - .offset:         48
        .size:           8
        .value_kind:     by_value
      - .offset:         56
        .size:           4
        .value_kind:     by_value
      - .actual_access:  write_only
        .address_space:  global
        .offset:         64
        .size:           8
        .value_kind:     global_buffer
      - .actual_access:  write_only
        .address_space:  global
        .offset:         72
        .size:           8
        .value_kind:     global_buffer
      - .offset:         80
        .size:           4
        .value_kind:     hidden_block_count_x
      - .offset:         84
        .size:           4
        .value_kind:     hidden_block_count_y
      - .offset:         88
        .size:           4
        .value_kind:     hidden_block_count_z
      - .offset:         92
        .size:           2
        .value_kind:     hidden_group_size_x
      - .offset:         94
        .size:           2
        .value_kind:     hidden_group_size_y
      - .offset:         96
        .size:           2
        .value_kind:     hidden_group_size_z
      - .offset:         98
        .size:           2
        .value_kind:     hidden_remainder_x
      - .offset:         100
        .size:           2
        .value_kind:     hidden_remainder_y
      - .offset:         102
        .size:           2
        .value_kind:     hidden_remainder_z
      - .offset:         120
        .size:           8
        .value_kind:     hidden_global_offset_x
      - .offset:         128
        .size:           8
        .value_kind:     hidden_global_offset_y
      - .offset:         136
        .size:           8
        .value_kind:     hidden_global_offset_z
      - .offset:         144
        .size:           2
        .value_kind:     hidden_grid_dims
    .group_segment_fixed_size: 128
    .kernarg_segment_align: 8
    .kernarg_segment_size: 336
    .language:       OpenCL C
    .language_version:
      - 2
      - 0
    .max_flat_workgroup_size: 512
    .name:           _ZL23rocblas_dot_kernel_inc1ILb0ELi512ELi8ELb1EDF16_PKDF16_DF16_EviT4_llS2_lliPT5_PT3_
    .private_segment_fixed_size: 0
    .sgpr_count:     32
    .sgpr_spill_count: 0
    .symbol:         _ZL23rocblas_dot_kernel_inc1ILb0ELi512ELi8ELb1EDF16_PKDF16_DF16_EviT4_llS2_lliPT5_PT3_.kd
    .uniform_work_group_size: 1
    .uses_dynamic_stack: false
    .vgpr_count:     14
    .vgpr_spill_count: 0
    .wavefront_size: 64
  - .agpr_count:     0
    .args:
      - .offset:         0
        .size:           4
        .value_kind:     by_value
      - .actual_access:  read_only
        .address_space:  global
        .offset:         8
        .size:           8
        .value_kind:     global_buffer
      - .offset:         16
        .size:           8
        .value_kind:     by_value
      - .offset:         24
        .size:           4
        .value_kind:     by_value
      - .offset:         32
        .size:           8
        .value_kind:     by_value
      - .actual_access:  read_only
        .address_space:  global
        .offset:         40
        .size:           8
        .value_kind:     global_buffer
      - .offset:         48
        .size:           8
        .value_kind:     by_value
      - .offset:         56
        .size:           4
        .value_kind:     by_value
      - .offset:         64
        .size:           8
        .value_kind:     by_value
      - .offset:         72
        .size:           4
        .value_kind:     by_value
      - .actual_access:  write_only
        .address_space:  global
        .offset:         80
        .size:           8
        .value_kind:     global_buffer
      - .actual_access:  write_only
        .address_space:  global
        .offset:         88
        .size:           8
        .value_kind:     global_buffer
      - .offset:         96
        .size:           4
        .value_kind:     hidden_block_count_x
      - .offset:         100
        .size:           4
        .value_kind:     hidden_block_count_y
      - .offset:         104
        .size:           4
        .value_kind:     hidden_block_count_z
      - .offset:         108
        .size:           2
        .value_kind:     hidden_group_size_x
      - .offset:         110
        .size:           2
        .value_kind:     hidden_group_size_y
      - .offset:         112
        .size:           2
        .value_kind:     hidden_group_size_z
      - .offset:         114
        .size:           2
        .value_kind:     hidden_remainder_x
      - .offset:         116
        .size:           2
        .value_kind:     hidden_remainder_y
      - .offset:         118
        .size:           2
        .value_kind:     hidden_remainder_z
      - .offset:         136
        .size:           8
        .value_kind:     hidden_global_offset_x
      - .offset:         144
        .size:           8
        .value_kind:     hidden_global_offset_y
      - .offset:         152
        .size:           8
        .value_kind:     hidden_global_offset_z
      - .offset:         160
        .size:           2
        .value_kind:     hidden_grid_dims
    .group_segment_fixed_size: 128
    .kernarg_segment_align: 8
    .kernarg_segment_size: 352
    .language:       OpenCL C
    .language_version:
      - 2
      - 0
    .max_flat_workgroup_size: 512
    .name:           _ZL18rocblas_dot_kernelIiLb0ELi512ELi8ELb1EDF16_PKDF16_DF16_EviT5_lT_lS2_lS3_liPT6_PT4_
    .private_segment_fixed_size: 0
    .sgpr_count:     32
    .sgpr_spill_count: 0
    .symbol:         _ZL18rocblas_dot_kernelIiLb0ELi512ELi8ELb1EDF16_PKDF16_DF16_EviT5_lT_lS2_lS3_liPT6_PT4_.kd
    .uniform_work_group_size: 1
    .uses_dynamic_stack: false
    .vgpr_count:     11
    .vgpr_spill_count: 0
    .wavefront_size: 64
  - .agpr_count:     0
    .args:
      - .offset:         0
        .size:           4
        .value_kind:     by_value
      - .actual_access:  read_only
        .address_space:  global
        .offset:         8
        .size:           8
        .value_kind:     global_buffer
      - .offset:         16
        .size:           8
        .value_kind:     by_value
      - .offset:         24
        .size:           4
        .value_kind:     by_value
      - .offset:         32
        .size:           8
        .value_kind:     by_value
      - .offset:         40
        .size:           4
        .value_kind:     by_value
      - .actual_access:  write_only
        .address_space:  global
        .offset:         48
        .size:           8
        .value_kind:     global_buffer
      - .actual_access:  write_only
        .address_space:  global
        .offset:         56
        .size:           8
        .value_kind:     global_buffer
      - .offset:         64
        .size:           4
        .value_kind:     hidden_block_count_x
      - .offset:         68
        .size:           4
        .value_kind:     hidden_block_count_y
      - .offset:         72
        .size:           4
        .value_kind:     hidden_block_count_z
      - .offset:         76
        .size:           2
        .value_kind:     hidden_group_size_x
      - .offset:         78
        .size:           2
        .value_kind:     hidden_group_size_y
      - .offset:         80
        .size:           2
        .value_kind:     hidden_group_size_z
      - .offset:         82
        .size:           2
        .value_kind:     hidden_remainder_x
      - .offset:         84
        .size:           2
        .value_kind:     hidden_remainder_y
      - .offset:         86
        .size:           2
        .value_kind:     hidden_remainder_z
      - .offset:         104
        .size:           8
        .value_kind:     hidden_global_offset_x
      - .offset:         112
        .size:           8
        .value_kind:     hidden_global_offset_y
      - .offset:         120
        .size:           8
        .value_kind:     hidden_global_offset_z
      - .offset:         128
        .size:           2
        .value_kind:     hidden_grid_dims
    .group_segment_fixed_size: 128
    .kernarg_segment_align: 8
    .kernarg_segment_size: 320
    .language:       OpenCL C
    .language_version:
      - 2
      - 0
    .max_flat_workgroup_size: 512
    .name:           _ZL24rocblas_dot_kernel_magsqIiLb0ELi512ELi8ELb1EDF16_PKDF16_DF16_EviT5_lT_liPT6_PT4_
    .private_segment_fixed_size: 0
    .sgpr_count:     28
    .sgpr_spill_count: 0
    .symbol:         _ZL24rocblas_dot_kernel_magsqIiLb0ELi512ELi8ELb1EDF16_PKDF16_DF16_EviT5_lT_liPT6_PT4_.kd
    .uniform_work_group_size: 1
    .uses_dynamic_stack: false
    .vgpr_count:     10
    .vgpr_spill_count: 0
    .wavefront_size: 64
  - .agpr_count:     0
    .args:
      - .offset:         0
        .size:           4
        .value_kind:     by_value
      - .actual_access:  read_only
        .address_space:  global
        .offset:         8
        .size:           8
        .value_kind:     global_buffer
      - .actual_access:  write_only
        .address_space:  global
        .offset:         16
        .size:           8
        .value_kind:     global_buffer
    .group_segment_fixed_size: 128
    .kernarg_segment_align: 8
    .kernarg_segment_size: 24
    .language:       OpenCL C
    .language_version:
      - 2
      - 0
    .max_flat_workgroup_size: 512
    .name:           _ZL30rocblas_reduction_kernel_part2ILi512ELi8E25rocblas_finalize_identityDF16_DF16_EviPT2_PT3_
    .private_segment_fixed_size: 0
    .sgpr_count:     18
    .sgpr_spill_count: 0
    .symbol:         _ZL30rocblas_reduction_kernel_part2ILi512ELi8E25rocblas_finalize_identityDF16_DF16_EviPT2_PT3_.kd
    .uniform_work_group_size: 1
    .uses_dynamic_stack: false
    .vgpr_count:     10
    .vgpr_spill_count: 0
    .wavefront_size: 64
  - .agpr_count:     0
    .args:
      - .offset:         0
        .size:           4
        .value_kind:     by_value
      - .actual_access:  read_only
        .address_space:  global
        .offset:         8
        .size:           8
        .value_kind:     global_buffer
      - .offset:         16
        .size:           8
        .value_kind:     by_value
      - .offset:         24
        .size:           8
        .value_kind:     by_value
      - .offset:         32
        .size:           8
        .value_kind:     by_value
      - .actual_access:  read_only
        .address_space:  global
        .offset:         40
        .size:           8
        .value_kind:     global_buffer
      - .offset:         48
        .size:           8
        .value_kind:     by_value
      - .offset:         56
        .size:           8
        .value_kind:     by_value
      - .offset:         64
        .size:           8
        .value_kind:     by_value
      - .offset:         72
        .size:           4
        .value_kind:     by_value
      - .actual_access:  write_only
        .address_space:  global
        .offset:         80
        .size:           8
        .value_kind:     global_buffer
    .group_segment_fixed_size: 0
    .kernarg_segment_align: 8
    .kernarg_segment_size: 88
    .language:       OpenCL C
    .language_version:
      - 2
      - 0
    .max_flat_workgroup_size: 128
    .name:           _ZL28rocblas_dot_batched_4_kernelIlLi32ELi4ELb1EDF16_DF16_PKDF16_EviT5_lT_lS2_lS3_liPT4_
    .private_segment_fixed_size: 0
    .sgpr_count:     28
    .sgpr_spill_count: 0
    .symbol:         _ZL28rocblas_dot_batched_4_kernelIlLi32ELi4ELb1EDF16_DF16_PKDF16_EviT5_lT_lS2_lS3_liPT4_.kd
    .uniform_work_group_size: 1
    .uses_dynamic_stack: false
    .vgpr_count:     13
    .vgpr_spill_count: 0
    .wavefront_size: 64
  - .agpr_count:     0
    .args:
      - .offset:         0
        .size:           4
        .value_kind:     by_value
      - .actual_access:  read_only
        .address_space:  global
        .offset:         8
        .size:           8
        .value_kind:     global_buffer
      - .offset:         16
        .size:           8
        .value_kind:     by_value
      - .offset:         24
        .size:           8
        .value_kind:     by_value
      - .offset:         32
        .size:           8
        .value_kind:     by_value
      - .actual_access:  read_only
        .address_space:  global
        .offset:         40
        .size:           8
        .value_kind:     global_buffer
      - .offset:         48
        .size:           8
        .value_kind:     by_value
      - .offset:         56
        .size:           8
        .value_kind:     by_value
      - .offset:         64
        .size:           8
        .value_kind:     by_value
      - .offset:         72
        .size:           4
        .value_kind:     by_value
      - .actual_access:  write_only
        .address_space:  global
        .offset:         80
        .size:           8
        .value_kind:     global_buffer
    .group_segment_fixed_size: 0
    .kernarg_segment_align: 8
    .kernarg_segment_size: 88
    .language:       OpenCL C
    .language_version:
      - 2
      - 0
    .max_flat_workgroup_size: 256
    .name:           _ZL28rocblas_dot_batched_4_kernelIlLi64ELi4ELb1EDF16_DF16_PKDF16_EviT5_lT_lS2_lS3_liPT4_
    .private_segment_fixed_size: 0
    .sgpr_count:     28
    .sgpr_spill_count: 0
    .symbol:         _ZL28rocblas_dot_batched_4_kernelIlLi64ELi4ELb1EDF16_DF16_PKDF16_EviT5_lT_lS2_lS3_liPT4_.kd
    .uniform_work_group_size: 1
    .uses_dynamic_stack: false
    .vgpr_count:     13
    .vgpr_spill_count: 0
    .wavefront_size: 64
  - .agpr_count:     0
    .args:
      - .offset:         0
        .size:           4
        .value_kind:     by_value
      - .actual_access:  read_only
        .address_space:  global
        .offset:         8
        .size:           8
        .value_kind:     global_buffer
      - .offset:         16
        .size:           8
        .value_kind:     by_value
      - .offset:         24
        .size:           8
        .value_kind:     by_value
      - .offset:         32
        .size:           8
        .value_kind:     by_value
      - .actual_access:  read_only
        .address_space:  global
        .offset:         40
        .size:           8
        .value_kind:     global_buffer
      - .offset:         48
        .size:           8
        .value_kind:     by_value
      - .offset:         56
        .size:           8
        .value_kind:     by_value
      - .offset:         64
        .size:           8
        .value_kind:     by_value
      - .offset:         72
        .size:           4
        .value_kind:     by_value
      - .actual_access:  read_only
        .address_space:  global
        .offset:         80
        .size:           8
        .value_kind:     global_buffer
      - .actual_access:  write_only
        .address_space:  global
        .offset:         88
        .size:           8
        .value_kind:     global_buffer
      - .offset:         96
        .size:           4
        .value_kind:     hidden_block_count_x
      - .offset:         100
        .size:           4
        .value_kind:     hidden_block_count_y
      - .offset:         104
        .size:           4
        .value_kind:     hidden_block_count_z
      - .offset:         108
        .size:           2
        .value_kind:     hidden_group_size_x
      - .offset:         110
        .size:           2
        .value_kind:     hidden_group_size_y
      - .offset:         112
        .size:           2
        .value_kind:     hidden_group_size_z
      - .offset:         114
        .size:           2
        .value_kind:     hidden_remainder_x
      - .offset:         116
        .size:           2
        .value_kind:     hidden_remainder_y
      - .offset:         118
        .size:           2
        .value_kind:     hidden_remainder_z
      - .offset:         136
        .size:           8
        .value_kind:     hidden_global_offset_x
      - .offset:         144
        .size:           8
        .value_kind:     hidden_global_offset_y
      - .offset:         152
        .size:           8
        .value_kind:     hidden_global_offset_z
      - .offset:         160
        .size:           2
        .value_kind:     hidden_grid_dims
    .group_segment_fixed_size: 128
    .kernarg_segment_align: 8
    .kernarg_segment_size: 352
    .language:       OpenCL C
    .language_version:
      - 2
      - 0
    .max_flat_workgroup_size: 1024
    .name:           _ZL18rocblas_dot_kernelIlLb1ELi1024ELi32ELb1EDF16_PKDF16_DF16_EviT5_lT_lS2_lS3_liPT6_PT4_
    .private_segment_fixed_size: 0
    .sgpr_count:     30
    .sgpr_spill_count: 0
    .symbol:         _ZL18rocblas_dot_kernelIlLb1ELi1024ELi32ELb1EDF16_PKDF16_DF16_EviT5_lT_lS2_lS3_liPT6_PT4_.kd
    .uniform_work_group_size: 1
    .uses_dynamic_stack: false
    .vgpr_count:     11
    .vgpr_spill_count: 0
    .wavefront_size: 64
  - .agpr_count:     0
    .args:
      - .offset:         0
        .size:           4
        .value_kind:     by_value
      - .actual_access:  read_only
        .address_space:  global
        .offset:         8
        .size:           8
        .value_kind:     global_buffer
      - .offset:         16
        .size:           8
        .value_kind:     by_value
      - .offset:         24
        .size:           8
        .value_kind:     by_value
      - .offset:         32
        .size:           8
        .value_kind:     by_value
      - .offset:         40
        .size:           4
        .value_kind:     by_value
      - .actual_access:  read_only
        .address_space:  global
        .offset:         48
        .size:           8
        .value_kind:     global_buffer
      - .actual_access:  write_only
        .address_space:  global
        .offset:         56
        .size:           8
        .value_kind:     global_buffer
      - .offset:         64
        .size:           4
        .value_kind:     hidden_block_count_x
      - .offset:         68
        .size:           4
        .value_kind:     hidden_block_count_y
      - .offset:         72
        .size:           4
        .value_kind:     hidden_block_count_z
      - .offset:         76
        .size:           2
        .value_kind:     hidden_group_size_x
      - .offset:         78
        .size:           2
        .value_kind:     hidden_group_size_y
      - .offset:         80
        .size:           2
        .value_kind:     hidden_group_size_z
      - .offset:         82
        .size:           2
        .value_kind:     hidden_remainder_x
      - .offset:         84
        .size:           2
        .value_kind:     hidden_remainder_y
      - .offset:         86
        .size:           2
        .value_kind:     hidden_remainder_z
      - .offset:         104
        .size:           8
        .value_kind:     hidden_global_offset_x
      - .offset:         112
        .size:           8
        .value_kind:     hidden_global_offset_y
      - .offset:         120
        .size:           8
        .value_kind:     hidden_global_offset_z
      - .offset:         128
        .size:           2
        .value_kind:     hidden_grid_dims
    .group_segment_fixed_size: 128
    .kernarg_segment_align: 8
    .kernarg_segment_size: 320
    .language:       OpenCL C
    .language_version:
      - 2
      - 0
    .max_flat_workgroup_size: 1024
    .name:           _ZL24rocblas_dot_kernel_magsqIlLb1ELi1024ELi32ELb1EDF16_PKDF16_DF16_EviT5_lT_liPT6_PT4_
    .private_segment_fixed_size: 0
    .sgpr_count:     24
    .sgpr_spill_count: 0
    .symbol:         _ZL24rocblas_dot_kernel_magsqIlLb1ELi1024ELi32ELb1EDF16_PKDF16_DF16_EviT5_lT_liPT6_PT4_.kd
    .uniform_work_group_size: 1
    .uses_dynamic_stack: false
    .vgpr_count:     10
    .vgpr_spill_count: 0
    .wavefront_size: 64
  - .agpr_count:     0
    .args:
      - .offset:         0
        .size:           4
        .value_kind:     by_value
      - .actual_access:  read_only
        .address_space:  global
        .offset:         8
        .size:           8
        .value_kind:     global_buffer
      - .offset:         16
        .size:           8
        .value_kind:     by_value
      - .offset:         24
        .size:           8
        .value_kind:     by_value
      - .offset:         32
        .size:           8
        .value_kind:     by_value
      - .actual_access:  read_only
        .address_space:  global
        .offset:         40
        .size:           8
        .value_kind:     global_buffer
      - .offset:         48
        .size:           8
        .value_kind:     by_value
      - .offset:         56
        .size:           8
        .value_kind:     by_value
      - .offset:         64
        .size:           8
        .value_kind:     by_value
      - .offset:         72
        .size:           4
        .value_kind:     by_value
      - .actual_access:  write_only
        .address_space:  global
        .offset:         80
        .size:           8
        .value_kind:     global_buffer
      - .actual_access:  write_only
        .address_space:  global
        .offset:         88
        .size:           8
        .value_kind:     global_buffer
      - .offset:         96
        .size:           4
        .value_kind:     hidden_block_count_x
      - .offset:         100
        .size:           4
        .value_kind:     hidden_block_count_y
      - .offset:         104
        .size:           4
        .value_kind:     hidden_block_count_z
      - .offset:         108
        .size:           2
        .value_kind:     hidden_group_size_x
      - .offset:         110
        .size:           2
        .value_kind:     hidden_group_size_y
      - .offset:         112
        .size:           2
        .value_kind:     hidden_group_size_z
      - .offset:         114
        .size:           2
        .value_kind:     hidden_remainder_x
      - .offset:         116
        .size:           2
        .value_kind:     hidden_remainder_y
      - .offset:         118
        .size:           2
        .value_kind:     hidden_remainder_z
      - .offset:         136
        .size:           8
        .value_kind:     hidden_global_offset_x
      - .offset:         144
        .size:           8
        .value_kind:     hidden_global_offset_y
      - .offset:         152
        .size:           8
        .value_kind:     hidden_global_offset_z
      - .offset:         160
        .size:           2
        .value_kind:     hidden_grid_dims
    .group_segment_fixed_size: 128
    .kernarg_segment_align: 8
    .kernarg_segment_size: 352
    .language:       OpenCL C
    .language_version:
      - 2
      - 0
    .max_flat_workgroup_size: 512
    .name:           _ZL18rocblas_dot_kernelIlLb0ELi512ELi8ELb1EDF16_PKDF16_DF16_EviT5_lT_lS2_lS3_liPT6_PT4_
    .private_segment_fixed_size: 0
    .sgpr_count:     34
    .sgpr_spill_count: 0
    .symbol:         _ZL18rocblas_dot_kernelIlLb0ELi512ELi8ELb1EDF16_PKDF16_DF16_EviT5_lT_lS2_lS3_liPT6_PT4_.kd
    .uniform_work_group_size: 1
    .uses_dynamic_stack: false
    .vgpr_count:     11
    .vgpr_spill_count: 0
    .wavefront_size: 64
  - .agpr_count:     0
    .args:
      - .offset:         0
        .size:           4
        .value_kind:     by_value
      - .actual_access:  read_only
        .address_space:  global
        .offset:         8
        .size:           8
        .value_kind:     global_buffer
      - .offset:         16
        .size:           8
        .value_kind:     by_value
      - .offset:         24
        .size:           8
        .value_kind:     by_value
      - .offset:         32
        .size:           8
        .value_kind:     by_value
      - .offset:         40
        .size:           4
        .value_kind:     by_value
      - .actual_access:  write_only
        .address_space:  global
        .offset:         48
        .size:           8
        .value_kind:     global_buffer
      - .actual_access:  write_only
        .address_space:  global
        .offset:         56
        .size:           8
        .value_kind:     global_buffer
      - .offset:         64
        .size:           4
        .value_kind:     hidden_block_count_x
      - .offset:         68
        .size:           4
        .value_kind:     hidden_block_count_y
      - .offset:         72
        .size:           4
        .value_kind:     hidden_block_count_z
      - .offset:         76
        .size:           2
        .value_kind:     hidden_group_size_x
      - .offset:         78
        .size:           2
        .value_kind:     hidden_group_size_y
      - .offset:         80
        .size:           2
        .value_kind:     hidden_group_size_z
      - .offset:         82
        .size:           2
        .value_kind:     hidden_remainder_x
      - .offset:         84
        .size:           2
        .value_kind:     hidden_remainder_y
      - .offset:         86
        .size:           2
        .value_kind:     hidden_remainder_z
      - .offset:         104
        .size:           8
        .value_kind:     hidden_global_offset_x
      - .offset:         112
        .size:           8
        .value_kind:     hidden_global_offset_y
      - .offset:         120
        .size:           8
        .value_kind:     hidden_global_offset_z
      - .offset:         128
        .size:           2
        .value_kind:     hidden_grid_dims
    .group_segment_fixed_size: 128
    .kernarg_segment_align: 8
    .kernarg_segment_size: 320
    .language:       OpenCL C
    .language_version:
      - 2
      - 0
    .max_flat_workgroup_size: 512
    .name:           _ZL24rocblas_dot_kernel_magsqIlLb0ELi512ELi8ELb1EDF16_PKDF16_DF16_EviT5_lT_liPT6_PT4_
    .private_segment_fixed_size: 0
    .sgpr_count:     28
    .sgpr_spill_count: 0
    .symbol:         _ZL24rocblas_dot_kernel_magsqIlLb0ELi512ELi8ELb1EDF16_PKDF16_DF16_EviT5_lT_liPT6_PT4_.kd
    .uniform_work_group_size: 1
    .uses_dynamic_stack: false
    .vgpr_count:     10
    .vgpr_spill_count: 0
    .wavefront_size: 64
  - .agpr_count:     0
    .args:
      - .offset:         0
        .size:           4
        .value_kind:     by_value
      - .actual_access:  read_only
        .address_space:  global
        .offset:         8
        .size:           8
        .value_kind:     global_buffer
      - .offset:         16
        .size:           8
        .value_kind:     by_value
      - .offset:         24
        .size:           4
        .value_kind:     by_value
      - .offset:         32
        .size:           8
        .value_kind:     by_value
      - .actual_access:  read_only
        .address_space:  global
        .offset:         40
        .size:           8
        .value_kind:     global_buffer
      - .offset:         48
        .size:           8
        .value_kind:     by_value
      - .offset:         56
        .size:           4
        .value_kind:     by_value
      - .offset:         64
        .size:           8
        .value_kind:     by_value
      - .offset:         72
        .size:           4
        .value_kind:     by_value
      - .actual_access:  write_only
        .address_space:  global
        .offset:         80
        .size:           8
        .value_kind:     global_buffer
    .group_segment_fixed_size: 0
    .kernarg_segment_align: 8
    .kernarg_segment_size: 88
    .language:       OpenCL C
    .language_version:
      - 2
      - 0
    .max_flat_workgroup_size: 128
    .name:           _ZL28rocblas_dot_batched_4_kernelIiLi32ELi4ELb1EDF16_DF16_PKPKDF16_EviT5_lT_lS4_lS5_liPT4_
    .private_segment_fixed_size: 0
    .sgpr_count:     22
    .sgpr_spill_count: 0
    .symbol:         _ZL28rocblas_dot_batched_4_kernelIiLi32ELi4ELb1EDF16_DF16_PKPKDF16_EviT5_lT_lS4_lS5_liPT4_.kd
    .uniform_work_group_size: 1
    .uses_dynamic_stack: false
    .vgpr_count:     14
    .vgpr_spill_count: 0
    .wavefront_size: 64
  - .agpr_count:     0
    .args:
      - .offset:         0
        .size:           4
        .value_kind:     by_value
      - .actual_access:  read_only
        .address_space:  global
        .offset:         8
        .size:           8
        .value_kind:     global_buffer
      - .offset:         16
        .size:           8
        .value_kind:     by_value
      - .offset:         24
        .size:           4
        .value_kind:     by_value
      - .offset:         32
        .size:           8
        .value_kind:     by_value
      - .actual_access:  read_only
        .address_space:  global
        .offset:         40
        .size:           8
        .value_kind:     global_buffer
      - .offset:         48
        .size:           8
        .value_kind:     by_value
      - .offset:         56
        .size:           4
        .value_kind:     by_value
      - .offset:         64
        .size:           8
        .value_kind:     by_value
      - .offset:         72
        .size:           4
        .value_kind:     by_value
      - .actual_access:  write_only
        .address_space:  global
        .offset:         80
        .size:           8
        .value_kind:     global_buffer
    .group_segment_fixed_size: 0
    .kernarg_segment_align: 8
    .kernarg_segment_size: 88
    .language:       OpenCL C
    .language_version:
      - 2
      - 0
    .max_flat_workgroup_size: 256
    .name:           _ZL28rocblas_dot_batched_4_kernelIiLi64ELi4ELb1EDF16_DF16_PKPKDF16_EviT5_lT_lS4_lS5_liPT4_
    .private_segment_fixed_size: 0
    .sgpr_count:     22
    .sgpr_spill_count: 0
    .symbol:         _ZL28rocblas_dot_batched_4_kernelIiLi64ELi4ELb1EDF16_DF16_PKPKDF16_EviT5_lT_lS4_lS5_liPT4_.kd
    .uniform_work_group_size: 1
    .uses_dynamic_stack: false
    .vgpr_count:     14
    .vgpr_spill_count: 0
    .wavefront_size: 64
  - .agpr_count:     0
    .args:
      - .offset:         0
        .size:           4
        .value_kind:     by_value
      - .actual_access:  read_only
        .address_space:  global
        .offset:         8
        .size:           8
        .value_kind:     global_buffer
      - .offset:         16
        .size:           8
        .value_kind:     by_value
      - .offset:         24
        .size:           8
        .value_kind:     by_value
      - .actual_access:  read_only
        .address_space:  global
        .offset:         32
        .size:           8
        .value_kind:     global_buffer
      - .offset:         40
        .size:           8
        .value_kind:     by_value
      - .offset:         48
        .size:           8
        .value_kind:     by_value
      - .offset:         56
        .size:           4
        .value_kind:     by_value
      - .actual_access:  read_only
        .address_space:  global
        .offset:         64
        .size:           8
        .value_kind:     global_buffer
      - .actual_access:  write_only
        .address_space:  global
        .offset:         72
        .size:           8
        .value_kind:     global_buffer
    .group_segment_fixed_size: 128
    .kernarg_segment_align: 8
    .kernarg_segment_size: 80
    .language:       OpenCL C
    .language_version:
      - 2
      - 0
    .max_flat_workgroup_size: 1024
    .name:           _ZL26rocblas_dot_kernel_inc1by2ILb1ELi1024ELi32ELb1EDF16_PKPKDF16_DF16_EviT4_llS4_lliPT5_PT3_
    .private_segment_fixed_size: 0
    .sgpr_count:     28
    .sgpr_spill_count: 0
    .symbol:         _ZL26rocblas_dot_kernel_inc1by2ILb1ELi1024ELi32ELb1EDF16_PKPKDF16_DF16_EviT4_llS4_lliPT5_PT3_.kd
    .uniform_work_group_size: 1
    .uses_dynamic_stack: false
    .vgpr_count:     11
    .vgpr_spill_count: 0
    .wavefront_size: 64
  - .agpr_count:     0
    .args:
      - .offset:         0
        .size:           4
        .value_kind:     by_value
      - .actual_access:  read_only
        .address_space:  global
        .offset:         8
        .size:           8
        .value_kind:     global_buffer
      - .offset:         16
        .size:           8
        .value_kind:     by_value
      - .offset:         24
        .size:           4
        .value_kind:     by_value
      - .offset:         32
        .size:           8
        .value_kind:     by_value
      - .actual_access:  read_only
        .address_space:  global
        .offset:         40
        .size:           8
        .value_kind:     global_buffer
      - .offset:         48
        .size:           8
        .value_kind:     by_value
      - .offset:         56
        .size:           4
        .value_kind:     by_value
      - .offset:         64
        .size:           8
        .value_kind:     by_value
      - .offset:         72
        .size:           4
        .value_kind:     by_value
      - .actual_access:  read_only
        .address_space:  global
        .offset:         80
        .size:           8
        .value_kind:     global_buffer
      - .actual_access:  write_only
        .address_space:  global
        .offset:         88
        .size:           8
        .value_kind:     global_buffer
      - .offset:         96
        .size:           4
        .value_kind:     hidden_block_count_x
      - .offset:         100
        .size:           4
        .value_kind:     hidden_block_count_y
      - .offset:         104
        .size:           4
        .value_kind:     hidden_block_count_z
      - .offset:         108
        .size:           2
        .value_kind:     hidden_group_size_x
      - .offset:         110
        .size:           2
        .value_kind:     hidden_group_size_y
      - .offset:         112
        .size:           2
        .value_kind:     hidden_group_size_z
      - .offset:         114
        .size:           2
        .value_kind:     hidden_remainder_x
      - .offset:         116
        .size:           2
        .value_kind:     hidden_remainder_y
      - .offset:         118
        .size:           2
        .value_kind:     hidden_remainder_z
      - .offset:         136
        .size:           8
        .value_kind:     hidden_global_offset_x
      - .offset:         144
        .size:           8
        .value_kind:     hidden_global_offset_y
      - .offset:         152
        .size:           8
        .value_kind:     hidden_global_offset_z
      - .offset:         160
        .size:           2
        .value_kind:     hidden_grid_dims
    .group_segment_fixed_size: 128
    .kernarg_segment_align: 8
    .kernarg_segment_size: 352
    .language:       OpenCL C
    .language_version:
      - 2
      - 0
    .max_flat_workgroup_size: 1024
    .name:           _ZL18rocblas_dot_kernelIiLb1ELi1024ELi32ELb1EDF16_PKPKDF16_DF16_EviT5_lT_lS4_lS5_liPT6_PT4_
    .private_segment_fixed_size: 0
    .sgpr_count:     29
    .sgpr_spill_count: 0
    .symbol:         _ZL18rocblas_dot_kernelIiLb1ELi1024ELi32ELb1EDF16_PKPKDF16_DF16_EviT5_lT_lS4_lS5_liPT6_PT4_.kd
    .uniform_work_group_size: 1
    .uses_dynamic_stack: false
    .vgpr_count:     11
    .vgpr_spill_count: 0
    .wavefront_size: 64
  - .agpr_count:     0
    .args:
      - .offset:         0
        .size:           4
        .value_kind:     by_value
      - .actual_access:  read_only
        .address_space:  global
        .offset:         8
        .size:           8
        .value_kind:     global_buffer
      - .offset:         16
        .size:           8
        .value_kind:     by_value
      - .offset:         24
        .size:           4
        .value_kind:     by_value
      - .offset:         32
        .size:           8
        .value_kind:     by_value
      - .offset:         40
        .size:           4
        .value_kind:     by_value
      - .actual_access:  read_only
        .address_space:  global
        .offset:         48
        .size:           8
        .value_kind:     global_buffer
      - .actual_access:  write_only
        .address_space:  global
        .offset:         56
        .size:           8
        .value_kind:     global_buffer
      - .offset:         64
        .size:           4
        .value_kind:     hidden_block_count_x
      - .offset:         68
        .size:           4
        .value_kind:     hidden_block_count_y
      - .offset:         72
        .size:           4
        .value_kind:     hidden_block_count_z
      - .offset:         76
        .size:           2
        .value_kind:     hidden_group_size_x
      - .offset:         78
        .size:           2
        .value_kind:     hidden_group_size_y
      - .offset:         80
        .size:           2
        .value_kind:     hidden_group_size_z
      - .offset:         82
        .size:           2
        .value_kind:     hidden_remainder_x
      - .offset:         84
        .size:           2
        .value_kind:     hidden_remainder_y
      - .offset:         86
        .size:           2
        .value_kind:     hidden_remainder_z
      - .offset:         104
        .size:           8
        .value_kind:     hidden_global_offset_x
      - .offset:         112
        .size:           8
        .value_kind:     hidden_global_offset_y
      - .offset:         120
        .size:           8
        .value_kind:     hidden_global_offset_z
      - .offset:         128
        .size:           2
        .value_kind:     hidden_grid_dims
    .group_segment_fixed_size: 128
    .kernarg_segment_align: 8
    .kernarg_segment_size: 320
    .language:       OpenCL C
    .language_version:
      - 2
      - 0
    .max_flat_workgroup_size: 1024
    .name:           _ZL24rocblas_dot_kernel_magsqIiLb1ELi1024ELi32ELb1EDF16_PKPKDF16_DF16_EviT5_lT_liPT6_PT4_
    .private_segment_fixed_size: 0
    .sgpr_count:     24
    .sgpr_spill_count: 0
    .symbol:         _ZL24rocblas_dot_kernel_magsqIiLb1ELi1024ELi32ELb1EDF16_PKPKDF16_DF16_EviT5_lT_liPT6_PT4_.kd
    .uniform_work_group_size: 1
    .uses_dynamic_stack: false
    .vgpr_count:     10
    .vgpr_spill_count: 0
    .wavefront_size: 64
  - .agpr_count:     0
    .args:
      - .offset:         0
        .size:           4
        .value_kind:     by_value
      - .actual_access:  read_only
        .address_space:  global
        .offset:         8
        .size:           8
        .value_kind:     global_buffer
      - .offset:         16
        .size:           8
        .value_kind:     by_value
      - .offset:         24
        .size:           8
        .value_kind:     by_value
      - .actual_access:  read_only
        .address_space:  global
        .offset:         32
        .size:           8
        .value_kind:     global_buffer
      - .offset:         40
        .size:           8
        .value_kind:     by_value
      - .offset:         48
        .size:           8
        .value_kind:     by_value
      - .offset:         56
        .size:           4
        .value_kind:     by_value
      - .actual_access:  write_only
        .address_space:  global
        .offset:         64
        .size:           8
        .value_kind:     global_buffer
      - .actual_access:  write_only
        .address_space:  global
        .offset:         72
        .size:           8
        .value_kind:     global_buffer
      - .offset:         80
        .size:           4
        .value_kind:     hidden_block_count_x
      - .offset:         84
        .size:           4
        .value_kind:     hidden_block_count_y
      - .offset:         88
        .size:           4
        .value_kind:     hidden_block_count_z
      - .offset:         92
        .size:           2
        .value_kind:     hidden_group_size_x
      - .offset:         94
        .size:           2
        .value_kind:     hidden_group_size_y
      - .offset:         96
        .size:           2
        .value_kind:     hidden_group_size_z
      - .offset:         98
        .size:           2
        .value_kind:     hidden_remainder_x
      - .offset:         100
        .size:           2
        .value_kind:     hidden_remainder_y
      - .offset:         102
        .size:           2
        .value_kind:     hidden_remainder_z
      - .offset:         120
        .size:           8
        .value_kind:     hidden_global_offset_x
      - .offset:         128
        .size:           8
        .value_kind:     hidden_global_offset_y
      - .offset:         136
        .size:           8
        .value_kind:     hidden_global_offset_z
      - .offset:         144
        .size:           2
        .value_kind:     hidden_grid_dims
    .group_segment_fixed_size: 128
    .kernarg_segment_align: 8
    .kernarg_segment_size: 336
    .language:       OpenCL C
    .language_version:
      - 2
      - 0
    .max_flat_workgroup_size: 512
    .name:           _ZL23rocblas_dot_kernel_inc1ILb0ELi512ELi8ELb1EDF16_PKPKDF16_DF16_EviT4_llS4_lliPT5_PT3_
    .private_segment_fixed_size: 0
    .sgpr_count:     32
    .sgpr_spill_count: 0
    .symbol:         _ZL23rocblas_dot_kernel_inc1ILb0ELi512ELi8ELb1EDF16_PKPKDF16_DF16_EviT4_llS4_lliPT5_PT3_.kd
    .uniform_work_group_size: 1
    .uses_dynamic_stack: false
    .vgpr_count:     14
    .vgpr_spill_count: 0
    .wavefront_size: 64
  - .agpr_count:     0
    .args:
      - .offset:         0
        .size:           4
        .value_kind:     by_value
      - .actual_access:  read_only
        .address_space:  global
        .offset:         8
        .size:           8
        .value_kind:     global_buffer
      - .offset:         16
        .size:           8
        .value_kind:     by_value
      - .offset:         24
        .size:           4
        .value_kind:     by_value
      - .offset:         32
        .size:           8
        .value_kind:     by_value
      - .actual_access:  read_only
        .address_space:  global
        .offset:         40
        .size:           8
        .value_kind:     global_buffer
      - .offset:         48
        .size:           8
        .value_kind:     by_value
      - .offset:         56
        .size:           4
        .value_kind:     by_value
      - .offset:         64
        .size:           8
        .value_kind:     by_value
      - .offset:         72
        .size:           4
        .value_kind:     by_value
      - .actual_access:  write_only
        .address_space:  global
        .offset:         80
        .size:           8
        .value_kind:     global_buffer
      - .actual_access:  write_only
        .address_space:  global
        .offset:         88
        .size:           8
        .value_kind:     global_buffer
      - .offset:         96
        .size:           4
        .value_kind:     hidden_block_count_x
      - .offset:         100
        .size:           4
        .value_kind:     hidden_block_count_y
      - .offset:         104
        .size:           4
        .value_kind:     hidden_block_count_z
      - .offset:         108
        .size:           2
        .value_kind:     hidden_group_size_x
      - .offset:         110
        .size:           2
        .value_kind:     hidden_group_size_y
      - .offset:         112
        .size:           2
        .value_kind:     hidden_group_size_z
      - .offset:         114
        .size:           2
        .value_kind:     hidden_remainder_x
      - .offset:         116
        .size:           2
        .value_kind:     hidden_remainder_y
      - .offset:         118
        .size:           2
        .value_kind:     hidden_remainder_z
      - .offset:         136
        .size:           8
        .value_kind:     hidden_global_offset_x
      - .offset:         144
        .size:           8
        .value_kind:     hidden_global_offset_y
      - .offset:         152
        .size:           8
        .value_kind:     hidden_global_offset_z
      - .offset:         160
        .size:           2
        .value_kind:     hidden_grid_dims
    .group_segment_fixed_size: 128
    .kernarg_segment_align: 8
    .kernarg_segment_size: 352
    .language:       OpenCL C
    .language_version:
      - 2
      - 0
    .max_flat_workgroup_size: 512
    .name:           _ZL18rocblas_dot_kernelIiLb0ELi512ELi8ELb1EDF16_PKPKDF16_DF16_EviT5_lT_lS4_lS5_liPT6_PT4_
    .private_segment_fixed_size: 0
    .sgpr_count:     32
    .sgpr_spill_count: 0
    .symbol:         _ZL18rocblas_dot_kernelIiLb0ELi512ELi8ELb1EDF16_PKPKDF16_DF16_EviT5_lT_lS4_lS5_liPT6_PT4_.kd
    .uniform_work_group_size: 1
    .uses_dynamic_stack: false
    .vgpr_count:     11
    .vgpr_spill_count: 0
    .wavefront_size: 64
  - .agpr_count:     0
    .args:
      - .offset:         0
        .size:           4
        .value_kind:     by_value
      - .actual_access:  read_only
        .address_space:  global
        .offset:         8
        .size:           8
        .value_kind:     global_buffer
      - .offset:         16
        .size:           8
        .value_kind:     by_value
      - .offset:         24
        .size:           4
        .value_kind:     by_value
      - .offset:         32
        .size:           8
        .value_kind:     by_value
      - .offset:         40
        .size:           4
        .value_kind:     by_value
      - .actual_access:  write_only
        .address_space:  global
        .offset:         48
        .size:           8
        .value_kind:     global_buffer
      - .actual_access:  write_only
        .address_space:  global
        .offset:         56
        .size:           8
        .value_kind:     global_buffer
      - .offset:         64
        .size:           4
        .value_kind:     hidden_block_count_x
      - .offset:         68
        .size:           4
        .value_kind:     hidden_block_count_y
      - .offset:         72
        .size:           4
        .value_kind:     hidden_block_count_z
      - .offset:         76
        .size:           2
        .value_kind:     hidden_group_size_x
      - .offset:         78
        .size:           2
        .value_kind:     hidden_group_size_y
      - .offset:         80
        .size:           2
        .value_kind:     hidden_group_size_z
      - .offset:         82
        .size:           2
        .value_kind:     hidden_remainder_x
      - .offset:         84
        .size:           2
        .value_kind:     hidden_remainder_y
      - .offset:         86
        .size:           2
        .value_kind:     hidden_remainder_z
      - .offset:         104
        .size:           8
        .value_kind:     hidden_global_offset_x
      - .offset:         112
        .size:           8
        .value_kind:     hidden_global_offset_y
      - .offset:         120
        .size:           8
        .value_kind:     hidden_global_offset_z
      - .offset:         128
        .size:           2
        .value_kind:     hidden_grid_dims
    .group_segment_fixed_size: 128
    .kernarg_segment_align: 8
    .kernarg_segment_size: 320
    .language:       OpenCL C
    .language_version:
      - 2
      - 0
    .max_flat_workgroup_size: 512
    .name:           _ZL24rocblas_dot_kernel_magsqIiLb0ELi512ELi8ELb1EDF16_PKPKDF16_DF16_EviT5_lT_liPT6_PT4_
    .private_segment_fixed_size: 0
    .sgpr_count:     28
    .sgpr_spill_count: 0
    .symbol:         _ZL24rocblas_dot_kernel_magsqIiLb0ELi512ELi8ELb1EDF16_PKPKDF16_DF16_EviT5_lT_liPT6_PT4_.kd
    .uniform_work_group_size: 1
    .uses_dynamic_stack: false
    .vgpr_count:     10
    .vgpr_spill_count: 0
    .wavefront_size: 64
  - .agpr_count:     0
    .args:
      - .offset:         0
        .size:           4
        .value_kind:     by_value
      - .actual_access:  read_only
        .address_space:  global
        .offset:         8
        .size:           8
        .value_kind:     global_buffer
      - .offset:         16
        .size:           8
        .value_kind:     by_value
      - .offset:         24
        .size:           8
        .value_kind:     by_value
      - .offset:         32
        .size:           8
        .value_kind:     by_value
      - .actual_access:  read_only
        .address_space:  global
        .offset:         40
        .size:           8
        .value_kind:     global_buffer
      - .offset:         48
        .size:           8
        .value_kind:     by_value
      - .offset:         56
        .size:           8
        .value_kind:     by_value
      - .offset:         64
        .size:           8
        .value_kind:     by_value
      - .offset:         72
        .size:           4
        .value_kind:     by_value
      - .actual_access:  write_only
        .address_space:  global
        .offset:         80
        .size:           8
        .value_kind:     global_buffer
    .group_segment_fixed_size: 0
    .kernarg_segment_align: 8
    .kernarg_segment_size: 88
    .language:       OpenCL C
    .language_version:
      - 2
      - 0
    .max_flat_workgroup_size: 128
    .name:           _ZL28rocblas_dot_batched_4_kernelIlLi32ELi4ELb1EDF16_DF16_PKPKDF16_EviT5_lT_lS4_lS5_liPT4_
    .private_segment_fixed_size: 0
    .sgpr_count:     24
    .sgpr_spill_count: 0
    .symbol:         _ZL28rocblas_dot_batched_4_kernelIlLi32ELi4ELb1EDF16_DF16_PKPKDF16_EviT5_lT_lS4_lS5_liPT4_.kd
    .uniform_work_group_size: 1
    .uses_dynamic_stack: false
    .vgpr_count:     20
    .vgpr_spill_count: 0
    .wavefront_size: 64
  - .agpr_count:     0
    .args:
      - .offset:         0
        .size:           4
        .value_kind:     by_value
      - .actual_access:  read_only
        .address_space:  global
        .offset:         8
        .size:           8
        .value_kind:     global_buffer
      - .offset:         16
        .size:           8
        .value_kind:     by_value
      - .offset:         24
        .size:           8
        .value_kind:     by_value
      - .offset:         32
        .size:           8
        .value_kind:     by_value
      - .actual_access:  read_only
        .address_space:  global
        .offset:         40
        .size:           8
        .value_kind:     global_buffer
      - .offset:         48
        .size:           8
        .value_kind:     by_value
      - .offset:         56
        .size:           8
        .value_kind:     by_value
      - .offset:         64
        .size:           8
        .value_kind:     by_value
      - .offset:         72
        .size:           4
        .value_kind:     by_value
      - .actual_access:  write_only
        .address_space:  global
        .offset:         80
        .size:           8
        .value_kind:     global_buffer
    .group_segment_fixed_size: 0
    .kernarg_segment_align: 8
    .kernarg_segment_size: 88
    .language:       OpenCL C
    .language_version:
      - 2
      - 0
    .max_flat_workgroup_size: 256
    .name:           _ZL28rocblas_dot_batched_4_kernelIlLi64ELi4ELb1EDF16_DF16_PKPKDF16_EviT5_lT_lS4_lS5_liPT4_
    .private_segment_fixed_size: 0
    .sgpr_count:     24
    .sgpr_spill_count: 0
    .symbol:         _ZL28rocblas_dot_batched_4_kernelIlLi64ELi4ELb1EDF16_DF16_PKPKDF16_EviT5_lT_lS4_lS5_liPT4_.kd
    .uniform_work_group_size: 1
    .uses_dynamic_stack: false
    .vgpr_count:     20
    .vgpr_spill_count: 0
    .wavefront_size: 64
  - .agpr_count:     0
    .args:
      - .offset:         0
        .size:           4
        .value_kind:     by_value
      - .actual_access:  read_only
        .address_space:  global
        .offset:         8
        .size:           8
        .value_kind:     global_buffer
      - .offset:         16
        .size:           8
        .value_kind:     by_value
      - .offset:         24
        .size:           8
        .value_kind:     by_value
      - .offset:         32
        .size:           8
        .value_kind:     by_value
      - .actual_access:  read_only
        .address_space:  global
        .offset:         40
        .size:           8
        .value_kind:     global_buffer
      - .offset:         48
        .size:           8
        .value_kind:     by_value
      - .offset:         56
        .size:           8
        .value_kind:     by_value
      - .offset:         64
        .size:           8
        .value_kind:     by_value
      - .offset:         72
        .size:           4
        .value_kind:     by_value
      - .actual_access:  read_only
        .address_space:  global
        .offset:         80
        .size:           8
        .value_kind:     global_buffer
      - .actual_access:  write_only
        .address_space:  global
        .offset:         88
        .size:           8
        .value_kind:     global_buffer
      - .offset:         96
        .size:           4
        .value_kind:     hidden_block_count_x
      - .offset:         100
        .size:           4
        .value_kind:     hidden_block_count_y
      - .offset:         104
        .size:           4
        .value_kind:     hidden_block_count_z
      - .offset:         108
        .size:           2
        .value_kind:     hidden_group_size_x
      - .offset:         110
        .size:           2
        .value_kind:     hidden_group_size_y
      - .offset:         112
        .size:           2
        .value_kind:     hidden_group_size_z
      - .offset:         114
        .size:           2
        .value_kind:     hidden_remainder_x
      - .offset:         116
        .size:           2
        .value_kind:     hidden_remainder_y
      - .offset:         118
        .size:           2
        .value_kind:     hidden_remainder_z
      - .offset:         136
        .size:           8
        .value_kind:     hidden_global_offset_x
      - .offset:         144
        .size:           8
        .value_kind:     hidden_global_offset_y
      - .offset:         152
        .size:           8
        .value_kind:     hidden_global_offset_z
      - .offset:         160
        .size:           2
        .value_kind:     hidden_grid_dims
    .group_segment_fixed_size: 128
    .kernarg_segment_align: 8
    .kernarg_segment_size: 352
    .language:       OpenCL C
    .language_version:
      - 2
      - 0
    .max_flat_workgroup_size: 1024
    .name:           _ZL18rocblas_dot_kernelIlLb1ELi1024ELi32ELb1EDF16_PKPKDF16_DF16_EviT5_lT_lS4_lS5_liPT6_PT4_
    .private_segment_fixed_size: 0
    .sgpr_count:     30
    .sgpr_spill_count: 0
    .symbol:         _ZL18rocblas_dot_kernelIlLb1ELi1024ELi32ELb1EDF16_PKPKDF16_DF16_EviT5_lT_lS4_lS5_liPT6_PT4_.kd
    .uniform_work_group_size: 1
    .uses_dynamic_stack: false
    .vgpr_count:     11
    .vgpr_spill_count: 0
    .wavefront_size: 64
  - .agpr_count:     0
    .args:
      - .offset:         0
        .size:           4
        .value_kind:     by_value
      - .actual_access:  read_only
        .address_space:  global
        .offset:         8
        .size:           8
        .value_kind:     global_buffer
      - .offset:         16
        .size:           8
        .value_kind:     by_value
      - .offset:         24
        .size:           8
        .value_kind:     by_value
      - .offset:         32
        .size:           8
        .value_kind:     by_value
      - .offset:         40
        .size:           4
        .value_kind:     by_value
      - .actual_access:  read_only
        .address_space:  global
        .offset:         48
        .size:           8
        .value_kind:     global_buffer
      - .actual_access:  write_only
        .address_space:  global
        .offset:         56
        .size:           8
        .value_kind:     global_buffer
      - .offset:         64
        .size:           4
        .value_kind:     hidden_block_count_x
      - .offset:         68
        .size:           4
        .value_kind:     hidden_block_count_y
      - .offset:         72
        .size:           4
        .value_kind:     hidden_block_count_z
      - .offset:         76
        .size:           2
        .value_kind:     hidden_group_size_x
      - .offset:         78
        .size:           2
        .value_kind:     hidden_group_size_y
      - .offset:         80
        .size:           2
        .value_kind:     hidden_group_size_z
      - .offset:         82
        .size:           2
        .value_kind:     hidden_remainder_x
      - .offset:         84
        .size:           2
        .value_kind:     hidden_remainder_y
      - .offset:         86
        .size:           2
        .value_kind:     hidden_remainder_z
      - .offset:         104
        .size:           8
        .value_kind:     hidden_global_offset_x
      - .offset:         112
        .size:           8
        .value_kind:     hidden_global_offset_y
      - .offset:         120
        .size:           8
        .value_kind:     hidden_global_offset_z
      - .offset:         128
        .size:           2
        .value_kind:     hidden_grid_dims
    .group_segment_fixed_size: 128
    .kernarg_segment_align: 8
    .kernarg_segment_size: 320
    .language:       OpenCL C
    .language_version:
      - 2
      - 0
    .max_flat_workgroup_size: 1024
    .name:           _ZL24rocblas_dot_kernel_magsqIlLb1ELi1024ELi32ELb1EDF16_PKPKDF16_DF16_EviT5_lT_liPT6_PT4_
    .private_segment_fixed_size: 0
    .sgpr_count:     24
    .sgpr_spill_count: 0
    .symbol:         _ZL24rocblas_dot_kernel_magsqIlLb1ELi1024ELi32ELb1EDF16_PKPKDF16_DF16_EviT5_lT_liPT6_PT4_.kd
    .uniform_work_group_size: 1
    .uses_dynamic_stack: false
    .vgpr_count:     10
    .vgpr_spill_count: 0
    .wavefront_size: 64
  - .agpr_count:     0
    .args:
      - .offset:         0
        .size:           4
        .value_kind:     by_value
      - .actual_access:  read_only
        .address_space:  global
        .offset:         8
        .size:           8
        .value_kind:     global_buffer
      - .offset:         16
        .size:           8
        .value_kind:     by_value
      - .offset:         24
        .size:           8
        .value_kind:     by_value
      - .offset:         32
        .size:           8
        .value_kind:     by_value
      - .actual_access:  read_only
        .address_space:  global
        .offset:         40
        .size:           8
        .value_kind:     global_buffer
      - .offset:         48
        .size:           8
        .value_kind:     by_value
      - .offset:         56
        .size:           8
        .value_kind:     by_value
      - .offset:         64
        .size:           8
        .value_kind:     by_value
      - .offset:         72
        .size:           4
        .value_kind:     by_value
      - .actual_access:  write_only
        .address_space:  global
        .offset:         80
        .size:           8
        .value_kind:     global_buffer
      - .actual_access:  write_only
        .address_space:  global
        .offset:         88
        .size:           8
        .value_kind:     global_buffer
      - .offset:         96
        .size:           4
        .value_kind:     hidden_block_count_x
      - .offset:         100
        .size:           4
        .value_kind:     hidden_block_count_y
      - .offset:         104
        .size:           4
        .value_kind:     hidden_block_count_z
      - .offset:         108
        .size:           2
        .value_kind:     hidden_group_size_x
      - .offset:         110
        .size:           2
        .value_kind:     hidden_group_size_y
      - .offset:         112
        .size:           2
        .value_kind:     hidden_group_size_z
      - .offset:         114
        .size:           2
        .value_kind:     hidden_remainder_x
      - .offset:         116
        .size:           2
        .value_kind:     hidden_remainder_y
      - .offset:         118
        .size:           2
        .value_kind:     hidden_remainder_z
      - .offset:         136
        .size:           8
        .value_kind:     hidden_global_offset_x
      - .offset:         144
        .size:           8
        .value_kind:     hidden_global_offset_y
      - .offset:         152
        .size:           8
        .value_kind:     hidden_global_offset_z
      - .offset:         160
        .size:           2
        .value_kind:     hidden_grid_dims
    .group_segment_fixed_size: 128
    .kernarg_segment_align: 8
    .kernarg_segment_size: 352
    .language:       OpenCL C
    .language_version:
      - 2
      - 0
    .max_flat_workgroup_size: 512
    .name:           _ZL18rocblas_dot_kernelIlLb0ELi512ELi8ELb1EDF16_PKPKDF16_DF16_EviT5_lT_lS4_lS5_liPT6_PT4_
    .private_segment_fixed_size: 0
    .sgpr_count:     30
    .sgpr_spill_count: 0
    .symbol:         _ZL18rocblas_dot_kernelIlLb0ELi512ELi8ELb1EDF16_PKPKDF16_DF16_EviT5_lT_lS4_lS5_liPT6_PT4_.kd
    .uniform_work_group_size: 1
    .uses_dynamic_stack: false
    .vgpr_count:     11
    .vgpr_spill_count: 0
    .wavefront_size: 64
  - .agpr_count:     0
    .args:
      - .offset:         0
        .size:           4
        .value_kind:     by_value
      - .actual_access:  read_only
        .address_space:  global
        .offset:         8
        .size:           8
        .value_kind:     global_buffer
      - .offset:         16
        .size:           8
        .value_kind:     by_value
      - .offset:         24
        .size:           8
        .value_kind:     by_value
      - .offset:         32
        .size:           8
        .value_kind:     by_value
      - .offset:         40
        .size:           4
        .value_kind:     by_value
      - .actual_access:  write_only
        .address_space:  global
        .offset:         48
        .size:           8
        .value_kind:     global_buffer
      - .actual_access:  write_only
        .address_space:  global
        .offset:         56
        .size:           8
        .value_kind:     global_buffer
      - .offset:         64
        .size:           4
        .value_kind:     hidden_block_count_x
      - .offset:         68
        .size:           4
        .value_kind:     hidden_block_count_y
      - .offset:         72
        .size:           4
        .value_kind:     hidden_block_count_z
      - .offset:         76
        .size:           2
        .value_kind:     hidden_group_size_x
      - .offset:         78
        .size:           2
        .value_kind:     hidden_group_size_y
      - .offset:         80
        .size:           2
        .value_kind:     hidden_group_size_z
      - .offset:         82
        .size:           2
        .value_kind:     hidden_remainder_x
      - .offset:         84
        .size:           2
        .value_kind:     hidden_remainder_y
      - .offset:         86
        .size:           2
        .value_kind:     hidden_remainder_z
      - .offset:         104
        .size:           8
        .value_kind:     hidden_global_offset_x
      - .offset:         112
        .size:           8
        .value_kind:     hidden_global_offset_y
      - .offset:         120
        .size:           8
        .value_kind:     hidden_global_offset_z
      - .offset:         128
        .size:           2
        .value_kind:     hidden_grid_dims
    .group_segment_fixed_size: 128
    .kernarg_segment_align: 8
    .kernarg_segment_size: 320
    .language:       OpenCL C
    .language_version:
      - 2
      - 0
    .max_flat_workgroup_size: 512
    .name:           _ZL24rocblas_dot_kernel_magsqIlLb0ELi512ELi8ELb1EDF16_PKPKDF16_DF16_EviT5_lT_liPT6_PT4_
    .private_segment_fixed_size: 0
    .sgpr_count:     28
    .sgpr_spill_count: 0
    .symbol:         _ZL24rocblas_dot_kernel_magsqIlLb0ELi512ELi8ELb1EDF16_PKPKDF16_DF16_EviT5_lT_liPT6_PT4_.kd
    .uniform_work_group_size: 1
    .uses_dynamic_stack: false
    .vgpr_count:     10
    .vgpr_spill_count: 0
    .wavefront_size: 64
  - .agpr_count:     0
    .args:
      - .offset:         0
        .size:           4
        .value_kind:     by_value
      - .actual_access:  read_only
        .address_space:  global
        .offset:         8
        .size:           8
        .value_kind:     global_buffer
      - .offset:         16
        .size:           8
        .value_kind:     by_value
      - .offset:         24
        .size:           4
        .value_kind:     by_value
      - .offset:         32
        .size:           8
        .value_kind:     by_value
      - .actual_access:  read_only
        .address_space:  global
        .offset:         40
        .size:           8
        .value_kind:     global_buffer
      - .offset:         48
        .size:           8
        .value_kind:     by_value
      - .offset:         56
        .size:           4
        .value_kind:     by_value
      - .offset:         64
        .size:           8
        .value_kind:     by_value
      - .offset:         72
        .size:           4
        .value_kind:     by_value
      - .actual_access:  write_only
        .address_space:  global
        .offset:         80
        .size:           8
        .value_kind:     global_buffer
    .group_segment_fixed_size: 0
    .kernarg_segment_align: 8
    .kernarg_segment_size: 88
    .language:       OpenCL C
    .language_version:
      - 2
      - 0
    .max_flat_workgroup_size: 128
    .name:           _ZL28rocblas_dot_batched_4_kernelIiLi32ELi4ELb1Ef16rocblas_bfloat16PKS0_EviT5_lT_lS3_lS4_liPT4_
    .private_segment_fixed_size: 0
    .sgpr_count:     28
    .sgpr_spill_count: 0
    .symbol:         _ZL28rocblas_dot_batched_4_kernelIiLi32ELi4ELb1Ef16rocblas_bfloat16PKS0_EviT5_lT_lS3_lS4_liPT4_.kd
    .uniform_work_group_size: 1
    .uses_dynamic_stack: false
    .vgpr_count:     13
    .vgpr_spill_count: 0
    .wavefront_size: 64
  - .agpr_count:     0
    .args:
      - .offset:         0
        .size:           4
        .value_kind:     by_value
      - .actual_access:  read_only
        .address_space:  global
        .offset:         8
        .size:           8
        .value_kind:     global_buffer
      - .offset:         16
        .size:           8
        .value_kind:     by_value
      - .offset:         24
        .size:           4
        .value_kind:     by_value
      - .offset:         32
        .size:           8
        .value_kind:     by_value
      - .actual_access:  read_only
        .address_space:  global
        .offset:         40
        .size:           8
        .value_kind:     global_buffer
      - .offset:         48
        .size:           8
        .value_kind:     by_value
      - .offset:         56
        .size:           4
        .value_kind:     by_value
      - .offset:         64
        .size:           8
        .value_kind:     by_value
      - .offset:         72
        .size:           4
        .value_kind:     by_value
      - .actual_access:  write_only
        .address_space:  global
        .offset:         80
        .size:           8
        .value_kind:     global_buffer
    .group_segment_fixed_size: 0
    .kernarg_segment_align: 8
    .kernarg_segment_size: 88
    .language:       OpenCL C
    .language_version:
      - 2
      - 0
    .max_flat_workgroup_size: 256
    .name:           _ZL28rocblas_dot_batched_4_kernelIiLi64ELi4ELb1Ef16rocblas_bfloat16PKS0_EviT5_lT_lS3_lS4_liPT4_
    .private_segment_fixed_size: 0
    .sgpr_count:     28
    .sgpr_spill_count: 0
    .symbol:         _ZL28rocblas_dot_batched_4_kernelIiLi64ELi4ELb1Ef16rocblas_bfloat16PKS0_EviT5_lT_lS3_lS4_liPT4_.kd
    .uniform_work_group_size: 1
    .uses_dynamic_stack: false
    .vgpr_count:     13
    .vgpr_spill_count: 0
    .wavefront_size: 64
  - .agpr_count:     0
    .args:
      - .offset:         0
        .size:           4
        .value_kind:     by_value
      - .actual_access:  read_only
        .address_space:  global
        .offset:         8
        .size:           8
        .value_kind:     global_buffer
      - .offset:         16
        .size:           8
        .value_kind:     by_value
      - .offset:         24
        .size:           8
        .value_kind:     by_value
      - .actual_access:  read_only
        .address_space:  global
        .offset:         32
        .size:           8
        .value_kind:     global_buffer
      - .offset:         40
        .size:           8
        .value_kind:     by_value
      - .offset:         48
        .size:           8
        .value_kind:     by_value
      - .offset:         56
        .size:           4
        .value_kind:     by_value
      - .actual_access:  read_only
        .address_space:  global
        .offset:         64
        .size:           8
        .value_kind:     global_buffer
      - .actual_access:  write_only
        .address_space:  global
        .offset:         72
        .size:           8
        .value_kind:     global_buffer
    .group_segment_fixed_size: 256
    .kernarg_segment_align: 8
    .kernarg_segment_size: 80
    .language:       OpenCL C
    .language_version:
      - 2
      - 0
    .max_flat_workgroup_size: 1024
    .name:           _ZL26rocblas_dot_kernel_inc1by2ILb1ELi1024ELi32ELb1E16rocblas_bfloat16PKS0_fEviT4_llS3_lliPT5_PT3_
    .private_segment_fixed_size: 0
    .sgpr_count:     32
    .sgpr_spill_count: 0
    .symbol:         _ZL26rocblas_dot_kernel_inc1by2ILb1ELi1024ELi32ELb1E16rocblas_bfloat16PKS0_fEviT4_llS3_lliPT5_PT3_.kd
    .uniform_work_group_size: 1
    .uses_dynamic_stack: false
    .vgpr_count:     12
    .vgpr_spill_count: 0
    .wavefront_size: 64
  - .agpr_count:     0
    .args:
      - .offset:         0
        .size:           4
        .value_kind:     by_value
      - .actual_access:  read_only
        .address_space:  global
        .offset:         8
        .size:           8
        .value_kind:     global_buffer
      - .offset:         16
        .size:           8
        .value_kind:     by_value
      - .offset:         24
        .size:           4
        .value_kind:     by_value
      - .offset:         32
        .size:           8
        .value_kind:     by_value
      - .actual_access:  read_only
        .address_space:  global
        .offset:         40
        .size:           8
        .value_kind:     global_buffer
      - .offset:         48
        .size:           8
        .value_kind:     by_value
      - .offset:         56
        .size:           4
        .value_kind:     by_value
      - .offset:         64
        .size:           8
        .value_kind:     by_value
      - .offset:         72
        .size:           4
        .value_kind:     by_value
      - .actual_access:  read_only
        .address_space:  global
        .offset:         80
        .size:           8
        .value_kind:     global_buffer
      - .actual_access:  write_only
        .address_space:  global
        .offset:         88
        .size:           8
        .value_kind:     global_buffer
      - .offset:         96
        .size:           4
        .value_kind:     hidden_block_count_x
      - .offset:         100
        .size:           4
        .value_kind:     hidden_block_count_y
      - .offset:         104
        .size:           4
        .value_kind:     hidden_block_count_z
      - .offset:         108
        .size:           2
        .value_kind:     hidden_group_size_x
      - .offset:         110
        .size:           2
        .value_kind:     hidden_group_size_y
      - .offset:         112
        .size:           2
        .value_kind:     hidden_group_size_z
      - .offset:         114
        .size:           2
        .value_kind:     hidden_remainder_x
      - .offset:         116
        .size:           2
        .value_kind:     hidden_remainder_y
      - .offset:         118
        .size:           2
        .value_kind:     hidden_remainder_z
      - .offset:         136
        .size:           8
        .value_kind:     hidden_global_offset_x
      - .offset:         144
        .size:           8
        .value_kind:     hidden_global_offset_y
      - .offset:         152
        .size:           8
        .value_kind:     hidden_global_offset_z
      - .offset:         160
        .size:           2
        .value_kind:     hidden_grid_dims
    .group_segment_fixed_size: 256
    .kernarg_segment_align: 8
    .kernarg_segment_size: 352
    .language:       OpenCL C
    .language_version:
      - 2
      - 0
    .max_flat_workgroup_size: 1024
    .name:           _ZL18rocblas_dot_kernelIiLb1ELi1024ELi32ELb1E16rocblas_bfloat16PKS0_fEviT5_lT_lS3_lS4_liPT6_PT4_
    .private_segment_fixed_size: 0
    .sgpr_count:     28
    .sgpr_spill_count: 0
    .symbol:         _ZL18rocblas_dot_kernelIiLb1ELi1024ELi32ELb1E16rocblas_bfloat16PKS0_fEviT5_lT_lS3_lS4_liPT6_PT4_.kd
    .uniform_work_group_size: 1
    .uses_dynamic_stack: false
    .vgpr_count:     11
    .vgpr_spill_count: 0
    .wavefront_size: 64
  - .agpr_count:     0
    .args:
      - .offset:         0
        .size:           4
        .value_kind:     by_value
      - .actual_access:  read_only
        .address_space:  global
        .offset:         8
        .size:           8
        .value_kind:     global_buffer
      - .offset:         16
        .size:           8
        .value_kind:     by_value
      - .offset:         24
        .size:           4
        .value_kind:     by_value
      - .offset:         32
        .size:           8
        .value_kind:     by_value
      - .offset:         40
        .size:           4
        .value_kind:     by_value
      - .actual_access:  read_only
        .address_space:  global
        .offset:         48
        .size:           8
        .value_kind:     global_buffer
      - .actual_access:  write_only
        .address_space:  global
        .offset:         56
        .size:           8
        .value_kind:     global_buffer
      - .offset:         64
        .size:           4
        .value_kind:     hidden_block_count_x
      - .offset:         68
        .size:           4
        .value_kind:     hidden_block_count_y
      - .offset:         72
        .size:           4
        .value_kind:     hidden_block_count_z
      - .offset:         76
        .size:           2
        .value_kind:     hidden_group_size_x
      - .offset:         78
        .size:           2
        .value_kind:     hidden_group_size_y
      - .offset:         80
        .size:           2
        .value_kind:     hidden_group_size_z
      - .offset:         82
        .size:           2
        .value_kind:     hidden_remainder_x
      - .offset:         84
        .size:           2
        .value_kind:     hidden_remainder_y
      - .offset:         86
        .size:           2
        .value_kind:     hidden_remainder_z
      - .offset:         104
        .size:           8
        .value_kind:     hidden_global_offset_x
      - .offset:         112
        .size:           8
        .value_kind:     hidden_global_offset_y
      - .offset:         120
        .size:           8
        .value_kind:     hidden_global_offset_z
      - .offset:         128
        .size:           2
        .value_kind:     hidden_grid_dims
    .group_segment_fixed_size: 256
    .kernarg_segment_align: 8
    .kernarg_segment_size: 320
    .language:       OpenCL C
    .language_version:
      - 2
      - 0
    .max_flat_workgroup_size: 1024
    .name:           _ZL24rocblas_dot_kernel_magsqIiLb1ELi1024ELi32ELb1E16rocblas_bfloat16PKS0_fEviT5_lT_liPT6_PT4_
    .private_segment_fixed_size: 0
    .sgpr_count:     24
    .sgpr_spill_count: 0
    .symbol:         _ZL24rocblas_dot_kernel_magsqIiLb1ELi1024ELi32ELb1E16rocblas_bfloat16PKS0_fEviT5_lT_liPT6_PT4_.kd
    .uniform_work_group_size: 1
    .uses_dynamic_stack: false
    .vgpr_count:     10
    .vgpr_spill_count: 0
    .wavefront_size: 64
  - .agpr_count:     0
    .args:
      - .offset:         0
        .size:           4
        .value_kind:     by_value
      - .actual_access:  read_only
        .address_space:  global
        .offset:         8
        .size:           8
        .value_kind:     global_buffer
      - .offset:         16
        .size:           8
        .value_kind:     by_value
      - .offset:         24
        .size:           8
        .value_kind:     by_value
      - .actual_access:  read_only
        .address_space:  global
        .offset:         32
        .size:           8
        .value_kind:     global_buffer
      - .offset:         40
        .size:           8
        .value_kind:     by_value
      - .offset:         48
        .size:           8
        .value_kind:     by_value
      - .offset:         56
        .size:           4
        .value_kind:     by_value
      - .actual_access:  write_only
        .address_space:  global
        .offset:         64
        .size:           8
        .value_kind:     global_buffer
      - .actual_access:  write_only
        .address_space:  global
        .offset:         72
        .size:           8
        .value_kind:     global_buffer
      - .offset:         80
        .size:           4
        .value_kind:     hidden_block_count_x
      - .offset:         84
        .size:           4
        .value_kind:     hidden_block_count_y
      - .offset:         88
        .size:           4
        .value_kind:     hidden_block_count_z
      - .offset:         92
        .size:           2
        .value_kind:     hidden_group_size_x
      - .offset:         94
        .size:           2
        .value_kind:     hidden_group_size_y
      - .offset:         96
        .size:           2
        .value_kind:     hidden_group_size_z
      - .offset:         98
        .size:           2
        .value_kind:     hidden_remainder_x
      - .offset:         100
        .size:           2
        .value_kind:     hidden_remainder_y
      - .offset:         102
        .size:           2
        .value_kind:     hidden_remainder_z
      - .offset:         120
        .size:           8
        .value_kind:     hidden_global_offset_x
      - .offset:         128
        .size:           8
        .value_kind:     hidden_global_offset_y
      - .offset:         136
        .size:           8
        .value_kind:     hidden_global_offset_z
      - .offset:         144
        .size:           2
        .value_kind:     hidden_grid_dims
    .group_segment_fixed_size: 256
    .kernarg_segment_align: 8
    .kernarg_segment_size: 336
    .language:       OpenCL C
    .language_version:
      - 2
      - 0
    .max_flat_workgroup_size: 512
    .name:           _ZL23rocblas_dot_kernel_inc1ILb0ELi512ELi8ELb1E16rocblas_bfloat16PKS0_fEviT4_llS3_lliPT5_PT3_
    .private_segment_fixed_size: 0
    .sgpr_count:     32
    .sgpr_spill_count: 0
    .symbol:         _ZL23rocblas_dot_kernel_inc1ILb0ELi512ELi8ELb1E16rocblas_bfloat16PKS0_fEviT4_llS3_lliPT5_PT3_.kd
    .uniform_work_group_size: 1
    .uses_dynamic_stack: false
    .vgpr_count:     14
    .vgpr_spill_count: 0
    .wavefront_size: 64
  - .agpr_count:     0
    .args:
      - .offset:         0
        .size:           4
        .value_kind:     by_value
      - .actual_access:  read_only
        .address_space:  global
        .offset:         8
        .size:           8
        .value_kind:     global_buffer
      - .offset:         16
        .size:           8
        .value_kind:     by_value
      - .offset:         24
        .size:           4
        .value_kind:     by_value
      - .offset:         32
        .size:           8
        .value_kind:     by_value
      - .actual_access:  read_only
        .address_space:  global
        .offset:         40
        .size:           8
        .value_kind:     global_buffer
      - .offset:         48
        .size:           8
        .value_kind:     by_value
      - .offset:         56
        .size:           4
        .value_kind:     by_value
      - .offset:         64
        .size:           8
        .value_kind:     by_value
      - .offset:         72
        .size:           4
        .value_kind:     by_value
      - .actual_access:  write_only
        .address_space:  global
        .offset:         80
        .size:           8
        .value_kind:     global_buffer
      - .actual_access:  write_only
        .address_space:  global
        .offset:         88
        .size:           8
        .value_kind:     global_buffer
      - .offset:         96
        .size:           4
        .value_kind:     hidden_block_count_x
      - .offset:         100
        .size:           4
        .value_kind:     hidden_block_count_y
      - .offset:         104
        .size:           4
        .value_kind:     hidden_block_count_z
      - .offset:         108
        .size:           2
        .value_kind:     hidden_group_size_x
      - .offset:         110
        .size:           2
        .value_kind:     hidden_group_size_y
      - .offset:         112
        .size:           2
        .value_kind:     hidden_group_size_z
      - .offset:         114
        .size:           2
        .value_kind:     hidden_remainder_x
      - .offset:         116
        .size:           2
        .value_kind:     hidden_remainder_y
      - .offset:         118
        .size:           2
        .value_kind:     hidden_remainder_z
      - .offset:         136
        .size:           8
        .value_kind:     hidden_global_offset_x
      - .offset:         144
        .size:           8
        .value_kind:     hidden_global_offset_y
      - .offset:         152
        .size:           8
        .value_kind:     hidden_global_offset_z
      - .offset:         160
        .size:           2
        .value_kind:     hidden_grid_dims
    .group_segment_fixed_size: 256
    .kernarg_segment_align: 8
    .kernarg_segment_size: 352
    .language:       OpenCL C
    .language_version:
      - 2
      - 0
    .max_flat_workgroup_size: 512
    .name:           _ZL18rocblas_dot_kernelIiLb0ELi512ELi8ELb1E16rocblas_bfloat16PKS0_fEviT5_lT_lS3_lS4_liPT6_PT4_
    .private_segment_fixed_size: 0
    .sgpr_count:     32
    .sgpr_spill_count: 0
    .symbol:         _ZL18rocblas_dot_kernelIiLb0ELi512ELi8ELb1E16rocblas_bfloat16PKS0_fEviT5_lT_lS3_lS4_liPT6_PT4_.kd
    .uniform_work_group_size: 1
    .uses_dynamic_stack: false
    .vgpr_count:     11
    .vgpr_spill_count: 0
    .wavefront_size: 64
  - .agpr_count:     0
    .args:
      - .offset:         0
        .size:           4
        .value_kind:     by_value
      - .actual_access:  read_only
        .address_space:  global
        .offset:         8
        .size:           8
        .value_kind:     global_buffer
      - .offset:         16
        .size:           8
        .value_kind:     by_value
      - .offset:         24
        .size:           4
        .value_kind:     by_value
      - .offset:         32
        .size:           8
        .value_kind:     by_value
      - .offset:         40
        .size:           4
        .value_kind:     by_value
      - .actual_access:  write_only
        .address_space:  global
        .offset:         48
        .size:           8
        .value_kind:     global_buffer
      - .actual_access:  write_only
        .address_space:  global
        .offset:         56
        .size:           8
        .value_kind:     global_buffer
      - .offset:         64
        .size:           4
        .value_kind:     hidden_block_count_x
      - .offset:         68
        .size:           4
        .value_kind:     hidden_block_count_y
      - .offset:         72
        .size:           4
        .value_kind:     hidden_block_count_z
      - .offset:         76
        .size:           2
        .value_kind:     hidden_group_size_x
      - .offset:         78
        .size:           2
        .value_kind:     hidden_group_size_y
      - .offset:         80
        .size:           2
        .value_kind:     hidden_group_size_z
      - .offset:         82
        .size:           2
        .value_kind:     hidden_remainder_x
      - .offset:         84
        .size:           2
        .value_kind:     hidden_remainder_y
      - .offset:         86
        .size:           2
        .value_kind:     hidden_remainder_z
      - .offset:         104
        .size:           8
        .value_kind:     hidden_global_offset_x
      - .offset:         112
        .size:           8
        .value_kind:     hidden_global_offset_y
      - .offset:         120
        .size:           8
        .value_kind:     hidden_global_offset_z
      - .offset:         128
        .size:           2
        .value_kind:     hidden_grid_dims
    .group_segment_fixed_size: 256
    .kernarg_segment_align: 8
    .kernarg_segment_size: 320
    .language:       OpenCL C
    .language_version:
      - 2
      - 0
    .max_flat_workgroup_size: 512
    .name:           _ZL24rocblas_dot_kernel_magsqIiLb0ELi512ELi8ELb1E16rocblas_bfloat16PKS0_fEviT5_lT_liPT6_PT4_
    .private_segment_fixed_size: 0
    .sgpr_count:     28
    .sgpr_spill_count: 0
    .symbol:         _ZL24rocblas_dot_kernel_magsqIiLb0ELi512ELi8ELb1E16rocblas_bfloat16PKS0_fEviT5_lT_liPT6_PT4_.kd
    .uniform_work_group_size: 1
    .uses_dynamic_stack: false
    .vgpr_count:     9
    .vgpr_spill_count: 0
    .wavefront_size: 64
  - .agpr_count:     0
    .args:
      - .offset:         0
        .size:           4
        .value_kind:     by_value
      - .actual_access:  read_only
        .address_space:  global
        .offset:         8
        .size:           8
        .value_kind:     global_buffer
      - .offset:         16
        .size:           8
        .value_kind:     by_value
      - .offset:         24
        .size:           4
        .value_kind:     by_value
      - .offset:         32
        .size:           8
        .value_kind:     by_value
      - .actual_access:  read_only
        .address_space:  global
        .offset:         40
        .size:           8
        .value_kind:     global_buffer
      - .offset:         48
        .size:           8
        .value_kind:     by_value
      - .offset:         56
        .size:           4
        .value_kind:     by_value
      - .offset:         64
        .size:           8
        .value_kind:     by_value
      - .offset:         72
        .size:           4
        .value_kind:     by_value
      - .actual_access:  write_only
        .address_space:  global
        .offset:         80
        .size:           8
        .value_kind:     global_buffer
    .group_segment_fixed_size: 0
    .kernarg_segment_align: 8
    .kernarg_segment_size: 88
    .language:       OpenCL C
    .language_version:
      - 2
      - 0
    .max_flat_workgroup_size: 128
    .name:           _ZL28rocblas_dot_batched_4_kernelIiLi32ELi4ELb1EffPK16rocblas_bfloat16EviT5_lT_lS3_lS4_liPT4_
    .private_segment_fixed_size: 0
    .sgpr_count:     28
    .sgpr_spill_count: 0
    .symbol:         _ZL28rocblas_dot_batched_4_kernelIiLi32ELi4ELb1EffPK16rocblas_bfloat16EviT5_lT_lS3_lS4_liPT4_.kd
    .uniform_work_group_size: 1
    .uses_dynamic_stack: false
    .vgpr_count:     13
    .vgpr_spill_count: 0
    .wavefront_size: 64
  - .agpr_count:     0
    .args:
      - .offset:         0
        .size:           4
        .value_kind:     by_value
      - .actual_access:  read_only
        .address_space:  global
        .offset:         8
        .size:           8
        .value_kind:     global_buffer
      - .offset:         16
        .size:           8
        .value_kind:     by_value
      - .offset:         24
        .size:           4
        .value_kind:     by_value
      - .offset:         32
        .size:           8
        .value_kind:     by_value
      - .actual_access:  read_only
        .address_space:  global
        .offset:         40
        .size:           8
        .value_kind:     global_buffer
      - .offset:         48
        .size:           8
        .value_kind:     by_value
      - .offset:         56
        .size:           4
        .value_kind:     by_value
      - .offset:         64
        .size:           8
        .value_kind:     by_value
      - .offset:         72
        .size:           4
        .value_kind:     by_value
      - .actual_access:  write_only
        .address_space:  global
        .offset:         80
        .size:           8
        .value_kind:     global_buffer
    .group_segment_fixed_size: 0
    .kernarg_segment_align: 8
    .kernarg_segment_size: 88
    .language:       OpenCL C
    .language_version:
      - 2
      - 0
    .max_flat_workgroup_size: 256
    .name:           _ZL28rocblas_dot_batched_4_kernelIiLi64ELi4ELb1EffPK16rocblas_bfloat16EviT5_lT_lS3_lS4_liPT4_
    .private_segment_fixed_size: 0
    .sgpr_count:     28
    .sgpr_spill_count: 0
    .symbol:         _ZL28rocblas_dot_batched_4_kernelIiLi64ELi4ELb1EffPK16rocblas_bfloat16EviT5_lT_lS3_lS4_liPT4_.kd
    .uniform_work_group_size: 1
    .uses_dynamic_stack: false
    .vgpr_count:     13
    .vgpr_spill_count: 0
    .wavefront_size: 64
  - .agpr_count:     0
    .args:
      - .offset:         0
        .size:           4
        .value_kind:     by_value
      - .actual_access:  read_only
        .address_space:  global
        .offset:         8
        .size:           8
        .value_kind:     global_buffer
      - .offset:         16
        .size:           8
        .value_kind:     by_value
      - .offset:         24
        .size:           4
        .value_kind:     by_value
      - .offset:         32
        .size:           8
        .value_kind:     by_value
      - .actual_access:  read_only
        .address_space:  global
        .offset:         40
        .size:           8
        .value_kind:     global_buffer
      - .offset:         48
        .size:           8
        .value_kind:     by_value
      - .offset:         56
        .size:           4
        .value_kind:     by_value
      - .offset:         64
        .size:           8
        .value_kind:     by_value
      - .offset:         72
        .size:           4
        .value_kind:     by_value
      - .actual_access:  read_only
        .address_space:  global
        .offset:         80
        .size:           8
        .value_kind:     global_buffer
      - .actual_access:  write_only
        .address_space:  global
        .offset:         88
        .size:           8
        .value_kind:     global_buffer
      - .offset:         96
        .size:           4
        .value_kind:     hidden_block_count_x
      - .offset:         100
        .size:           4
        .value_kind:     hidden_block_count_y
      - .offset:         104
        .size:           4
        .value_kind:     hidden_block_count_z
      - .offset:         108
        .size:           2
        .value_kind:     hidden_group_size_x
      - .offset:         110
        .size:           2
        .value_kind:     hidden_group_size_y
      - .offset:         112
        .size:           2
        .value_kind:     hidden_group_size_z
      - .offset:         114
        .size:           2
        .value_kind:     hidden_remainder_x
      - .offset:         116
        .size:           2
        .value_kind:     hidden_remainder_y
      - .offset:         118
        .size:           2
        .value_kind:     hidden_remainder_z
      - .offset:         136
        .size:           8
        .value_kind:     hidden_global_offset_x
      - .offset:         144
        .size:           8
        .value_kind:     hidden_global_offset_y
      - .offset:         152
        .size:           8
        .value_kind:     hidden_global_offset_z
      - .offset:         160
        .size:           2
        .value_kind:     hidden_grid_dims
    .group_segment_fixed_size: 256
    .kernarg_segment_align: 8
    .kernarg_segment_size: 352
    .language:       OpenCL C
    .language_version:
      - 2
      - 0
    .max_flat_workgroup_size: 1024
    .name:           _ZL18rocblas_dot_kernelIiLb1ELi1024ELi32ELb1EfPK16rocblas_bfloat16fEviT5_lT_lS3_lS4_liPT6_PT4_
    .private_segment_fixed_size: 0
    .sgpr_count:     28
    .sgpr_spill_count: 0
    .symbol:         _ZL18rocblas_dot_kernelIiLb1ELi1024ELi32ELb1EfPK16rocblas_bfloat16fEviT5_lT_lS3_lS4_liPT6_PT4_.kd
    .uniform_work_group_size: 1
    .uses_dynamic_stack: false
    .vgpr_count:     11
    .vgpr_spill_count: 0
    .wavefront_size: 64
  - .agpr_count:     0
    .args:
      - .offset:         0
        .size:           4
        .value_kind:     by_value
      - .actual_access:  read_only
        .address_space:  global
        .offset:         8
        .size:           8
        .value_kind:     global_buffer
      - .offset:         16
        .size:           8
        .value_kind:     by_value
      - .offset:         24
        .size:           4
        .value_kind:     by_value
      - .offset:         32
        .size:           8
        .value_kind:     by_value
      - .offset:         40
        .size:           4
        .value_kind:     by_value
      - .actual_access:  read_only
        .address_space:  global
        .offset:         48
        .size:           8
        .value_kind:     global_buffer
      - .actual_access:  write_only
        .address_space:  global
        .offset:         56
        .size:           8
        .value_kind:     global_buffer
      - .offset:         64
        .size:           4
        .value_kind:     hidden_block_count_x
      - .offset:         68
        .size:           4
        .value_kind:     hidden_block_count_y
      - .offset:         72
        .size:           4
        .value_kind:     hidden_block_count_z
      - .offset:         76
        .size:           2
        .value_kind:     hidden_group_size_x
      - .offset:         78
        .size:           2
        .value_kind:     hidden_group_size_y
      - .offset:         80
        .size:           2
        .value_kind:     hidden_group_size_z
      - .offset:         82
        .size:           2
        .value_kind:     hidden_remainder_x
      - .offset:         84
        .size:           2
        .value_kind:     hidden_remainder_y
      - .offset:         86
        .size:           2
        .value_kind:     hidden_remainder_z
      - .offset:         104
        .size:           8
        .value_kind:     hidden_global_offset_x
      - .offset:         112
        .size:           8
        .value_kind:     hidden_global_offset_y
      - .offset:         120
        .size:           8
        .value_kind:     hidden_global_offset_z
      - .offset:         128
        .size:           2
        .value_kind:     hidden_grid_dims
    .group_segment_fixed_size: 256
    .kernarg_segment_align: 8
    .kernarg_segment_size: 320
    .language:       OpenCL C
    .language_version:
      - 2
      - 0
    .max_flat_workgroup_size: 1024
    .name:           _ZL24rocblas_dot_kernel_magsqIiLb1ELi1024ELi32ELb1EfPK16rocblas_bfloat16fEviT5_lT_liPT6_PT4_
    .private_segment_fixed_size: 0
    .sgpr_count:     24
    .sgpr_spill_count: 0
    .symbol:         _ZL24rocblas_dot_kernel_magsqIiLb1ELi1024ELi32ELb1EfPK16rocblas_bfloat16fEviT5_lT_liPT6_PT4_.kd
    .uniform_work_group_size: 1
    .uses_dynamic_stack: false
    .vgpr_count:     10
    .vgpr_spill_count: 0
    .wavefront_size: 64
  - .agpr_count:     0
    .args:
      - .offset:         0
        .size:           4
        .value_kind:     by_value
      - .actual_access:  read_only
        .address_space:  global
        .offset:         8
        .size:           8
        .value_kind:     global_buffer
      - .offset:         16
        .size:           8
        .value_kind:     by_value
      - .offset:         24
        .size:           4
        .value_kind:     by_value
      - .offset:         32
        .size:           8
        .value_kind:     by_value
      - .actual_access:  read_only
        .address_space:  global
        .offset:         40
        .size:           8
        .value_kind:     global_buffer
      - .offset:         48
        .size:           8
        .value_kind:     by_value
      - .offset:         56
        .size:           4
        .value_kind:     by_value
      - .offset:         64
        .size:           8
        .value_kind:     by_value
      - .offset:         72
        .size:           4
        .value_kind:     by_value
      - .actual_access:  write_only
        .address_space:  global
        .offset:         80
        .size:           8
        .value_kind:     global_buffer
      - .actual_access:  write_only
        .address_space:  global
        .offset:         88
        .size:           8
        .value_kind:     global_buffer
      - .offset:         96
        .size:           4
        .value_kind:     hidden_block_count_x
      - .offset:         100
        .size:           4
        .value_kind:     hidden_block_count_y
      - .offset:         104
        .size:           4
        .value_kind:     hidden_block_count_z
      - .offset:         108
        .size:           2
        .value_kind:     hidden_group_size_x
      - .offset:         110
        .size:           2
        .value_kind:     hidden_group_size_y
      - .offset:         112
        .size:           2
        .value_kind:     hidden_group_size_z
      - .offset:         114
        .size:           2
        .value_kind:     hidden_remainder_x
      - .offset:         116
        .size:           2
        .value_kind:     hidden_remainder_y
      - .offset:         118
        .size:           2
        .value_kind:     hidden_remainder_z
      - .offset:         136
        .size:           8
        .value_kind:     hidden_global_offset_x
      - .offset:         144
        .size:           8
        .value_kind:     hidden_global_offset_y
      - .offset:         152
        .size:           8
        .value_kind:     hidden_global_offset_z
      - .offset:         160
        .size:           2
        .value_kind:     hidden_grid_dims
    .group_segment_fixed_size: 256
    .kernarg_segment_align: 8
    .kernarg_segment_size: 352
    .language:       OpenCL C
    .language_version:
      - 2
      - 0
    .max_flat_workgroup_size: 512
    .name:           _ZL18rocblas_dot_kernelIiLb0ELi512ELi4ELb1EfPK16rocblas_bfloat16fEviT5_lT_lS3_lS4_liPT6_PT4_
    .private_segment_fixed_size: 0
    .sgpr_count:     32
    .sgpr_spill_count: 0
    .symbol:         _ZL18rocblas_dot_kernelIiLb0ELi512ELi4ELb1EfPK16rocblas_bfloat16fEviT5_lT_lS3_lS4_liPT6_PT4_.kd
    .uniform_work_group_size: 1
    .uses_dynamic_stack: false
    .vgpr_count:     11
    .vgpr_spill_count: 0
    .wavefront_size: 64
  - .agpr_count:     0
    .args:
      - .offset:         0
        .size:           4
        .value_kind:     by_value
      - .actual_access:  read_only
        .address_space:  global
        .offset:         8
        .size:           8
        .value_kind:     global_buffer
      - .offset:         16
        .size:           8
        .value_kind:     by_value
      - .offset:         24
        .size:           4
        .value_kind:     by_value
      - .offset:         32
        .size:           8
        .value_kind:     by_value
      - .offset:         40
        .size:           4
        .value_kind:     by_value
      - .actual_access:  write_only
        .address_space:  global
        .offset:         48
        .size:           8
        .value_kind:     global_buffer
      - .actual_access:  write_only
        .address_space:  global
        .offset:         56
        .size:           8
        .value_kind:     global_buffer
      - .offset:         64
        .size:           4
        .value_kind:     hidden_block_count_x
      - .offset:         68
        .size:           4
        .value_kind:     hidden_block_count_y
      - .offset:         72
        .size:           4
        .value_kind:     hidden_block_count_z
      - .offset:         76
        .size:           2
        .value_kind:     hidden_group_size_x
      - .offset:         78
        .size:           2
        .value_kind:     hidden_group_size_y
      - .offset:         80
        .size:           2
        .value_kind:     hidden_group_size_z
      - .offset:         82
        .size:           2
        .value_kind:     hidden_remainder_x
      - .offset:         84
        .size:           2
        .value_kind:     hidden_remainder_y
      - .offset:         86
        .size:           2
        .value_kind:     hidden_remainder_z
      - .offset:         104
        .size:           8
        .value_kind:     hidden_global_offset_x
      - .offset:         112
        .size:           8
        .value_kind:     hidden_global_offset_y
      - .offset:         120
        .size:           8
        .value_kind:     hidden_global_offset_z
      - .offset:         128
        .size:           2
        .value_kind:     hidden_grid_dims
    .group_segment_fixed_size: 256
    .kernarg_segment_align: 8
    .kernarg_segment_size: 320
    .language:       OpenCL C
    .language_version:
      - 2
      - 0
    .max_flat_workgroup_size: 512
    .name:           _ZL24rocblas_dot_kernel_magsqIiLb0ELi512ELi4ELb1EfPK16rocblas_bfloat16fEviT5_lT_liPT6_PT4_
    .private_segment_fixed_size: 0
    .sgpr_count:     28
    .sgpr_spill_count: 0
    .symbol:         _ZL24rocblas_dot_kernel_magsqIiLb0ELi512ELi4ELb1EfPK16rocblas_bfloat16fEviT5_lT_liPT6_PT4_.kd
    .uniform_work_group_size: 1
    .uses_dynamic_stack: false
    .vgpr_count:     9
    .vgpr_spill_count: 0
    .wavefront_size: 64
  - .agpr_count:     0
    .args:
      - .offset:         0
        .size:           4
        .value_kind:     by_value
      - .actual_access:  read_only
        .address_space:  global
        .offset:         8
        .size:           8
        .value_kind:     global_buffer
      - .actual_access:  write_only
        .address_space:  global
        .offset:         16
        .size:           8
        .value_kind:     global_buffer
    .group_segment_fixed_size: 256
    .kernarg_segment_align: 8
    .kernarg_segment_size: 24
    .language:       OpenCL C
    .language_version:
      - 2
      - 0
    .max_flat_workgroup_size: 512
    .name:           _ZL30rocblas_reduction_kernel_part2ILi512ELi8E25rocblas_finalize_identityf16rocblas_bfloat16EviPT2_PT3_
    .private_segment_fixed_size: 0
    .sgpr_count:     18
    .sgpr_spill_count: 0
    .symbol:         _ZL30rocblas_reduction_kernel_part2ILi512ELi8E25rocblas_finalize_identityf16rocblas_bfloat16EviPT2_PT3_.kd
    .uniform_work_group_size: 1
    .uses_dynamic_stack: false
    .vgpr_count:     14
    .vgpr_spill_count: 0
    .wavefront_size: 64
  - .agpr_count:     0
    .args:
      - .offset:         0
        .size:           4
        .value_kind:     by_value
      - .actual_access:  read_only
        .address_space:  global
        .offset:         8
        .size:           8
        .value_kind:     global_buffer
      - .offset:         16
        .size:           8
        .value_kind:     by_value
      - .offset:         24
        .size:           8
        .value_kind:     by_value
      - .offset:         32
        .size:           8
        .value_kind:     by_value
      - .actual_access:  read_only
        .address_space:  global
        .offset:         40
        .size:           8
        .value_kind:     global_buffer
      - .offset:         48
        .size:           8
        .value_kind:     by_value
      - .offset:         56
        .size:           8
        .value_kind:     by_value
      - .offset:         64
        .size:           8
        .value_kind:     by_value
      - .offset:         72
        .size:           4
        .value_kind:     by_value
      - .actual_access:  write_only
        .address_space:  global
        .offset:         80
        .size:           8
        .value_kind:     global_buffer
    .group_segment_fixed_size: 0
    .kernarg_segment_align: 8
    .kernarg_segment_size: 88
    .language:       OpenCL C
    .language_version:
      - 2
      - 0
    .max_flat_workgroup_size: 128
    .name:           _ZL28rocblas_dot_batched_4_kernelIlLi32ELi4ELb1Ef16rocblas_bfloat16PKS0_EviT5_lT_lS3_lS4_liPT4_
    .private_segment_fixed_size: 0
    .sgpr_count:     28
    .sgpr_spill_count: 0
    .symbol:         _ZL28rocblas_dot_batched_4_kernelIlLi32ELi4ELb1Ef16rocblas_bfloat16PKS0_EviT5_lT_lS3_lS4_liPT4_.kd
    .uniform_work_group_size: 1
    .uses_dynamic_stack: false
    .vgpr_count:     13
    .vgpr_spill_count: 0
    .wavefront_size: 64
  - .agpr_count:     0
    .args:
      - .offset:         0
        .size:           4
        .value_kind:     by_value
      - .actual_access:  read_only
        .address_space:  global
        .offset:         8
        .size:           8
        .value_kind:     global_buffer
      - .offset:         16
        .size:           8
        .value_kind:     by_value
      - .offset:         24
        .size:           8
        .value_kind:     by_value
      - .offset:         32
        .size:           8
        .value_kind:     by_value
      - .actual_access:  read_only
        .address_space:  global
        .offset:         40
        .size:           8
        .value_kind:     global_buffer
      - .offset:         48
        .size:           8
        .value_kind:     by_value
      - .offset:         56
        .size:           8
        .value_kind:     by_value
      - .offset:         64
        .size:           8
        .value_kind:     by_value
      - .offset:         72
        .size:           4
        .value_kind:     by_value
      - .actual_access:  write_only
        .address_space:  global
        .offset:         80
        .size:           8
        .value_kind:     global_buffer
    .group_segment_fixed_size: 0
    .kernarg_segment_align: 8
    .kernarg_segment_size: 88
    .language:       OpenCL C
    .language_version:
      - 2
      - 0
    .max_flat_workgroup_size: 256
    .name:           _ZL28rocblas_dot_batched_4_kernelIlLi64ELi4ELb1Ef16rocblas_bfloat16PKS0_EviT5_lT_lS3_lS4_liPT4_
    .private_segment_fixed_size: 0
    .sgpr_count:     28
    .sgpr_spill_count: 0
    .symbol:         _ZL28rocblas_dot_batched_4_kernelIlLi64ELi4ELb1Ef16rocblas_bfloat16PKS0_EviT5_lT_lS3_lS4_liPT4_.kd
    .uniform_work_group_size: 1
    .uses_dynamic_stack: false
    .vgpr_count:     13
    .vgpr_spill_count: 0
    .wavefront_size: 64
  - .agpr_count:     0
    .args:
      - .offset:         0
        .size:           4
        .value_kind:     by_value
      - .actual_access:  read_only
        .address_space:  global
        .offset:         8
        .size:           8
        .value_kind:     global_buffer
      - .offset:         16
        .size:           8
        .value_kind:     by_value
      - .offset:         24
        .size:           8
        .value_kind:     by_value
      - .offset:         32
        .size:           8
        .value_kind:     by_value
      - .actual_access:  read_only
        .address_space:  global
        .offset:         40
        .size:           8
        .value_kind:     global_buffer
      - .offset:         48
        .size:           8
        .value_kind:     by_value
      - .offset:         56
        .size:           8
        .value_kind:     by_value
      - .offset:         64
        .size:           8
        .value_kind:     by_value
      - .offset:         72
        .size:           4
        .value_kind:     by_value
      - .actual_access:  read_only
        .address_space:  global
        .offset:         80
        .size:           8
        .value_kind:     global_buffer
      - .actual_access:  write_only
        .address_space:  global
        .offset:         88
        .size:           8
        .value_kind:     global_buffer
      - .offset:         96
        .size:           4
        .value_kind:     hidden_block_count_x
      - .offset:         100
        .size:           4
        .value_kind:     hidden_block_count_y
      - .offset:         104
        .size:           4
        .value_kind:     hidden_block_count_z
      - .offset:         108
        .size:           2
        .value_kind:     hidden_group_size_x
      - .offset:         110
        .size:           2
        .value_kind:     hidden_group_size_y
      - .offset:         112
        .size:           2
        .value_kind:     hidden_group_size_z
      - .offset:         114
        .size:           2
        .value_kind:     hidden_remainder_x
      - .offset:         116
        .size:           2
        .value_kind:     hidden_remainder_y
      - .offset:         118
        .size:           2
        .value_kind:     hidden_remainder_z
      - .offset:         136
        .size:           8
        .value_kind:     hidden_global_offset_x
      - .offset:         144
        .size:           8
        .value_kind:     hidden_global_offset_y
      - .offset:         152
        .size:           8
        .value_kind:     hidden_global_offset_z
      - .offset:         160
        .size:           2
        .value_kind:     hidden_grid_dims
    .group_segment_fixed_size: 256
    .kernarg_segment_align: 8
    .kernarg_segment_size: 352
    .language:       OpenCL C
    .language_version:
      - 2
      - 0
    .max_flat_workgroup_size: 1024
    .name:           _ZL18rocblas_dot_kernelIlLb1ELi1024ELi32ELb1E16rocblas_bfloat16PKS0_fEviT5_lT_lS3_lS4_liPT6_PT4_
    .private_segment_fixed_size: 0
    .sgpr_count:     30
    .sgpr_spill_count: 0
    .symbol:         _ZL18rocblas_dot_kernelIlLb1ELi1024ELi32ELb1E16rocblas_bfloat16PKS0_fEviT5_lT_lS3_lS4_liPT6_PT4_.kd
    .uniform_work_group_size: 1
    .uses_dynamic_stack: false
    .vgpr_count:     11
    .vgpr_spill_count: 0
    .wavefront_size: 64
  - .agpr_count:     0
    .args:
      - .offset:         0
        .size:           4
        .value_kind:     by_value
      - .actual_access:  read_only
        .address_space:  global
        .offset:         8
        .size:           8
        .value_kind:     global_buffer
      - .offset:         16
        .size:           8
        .value_kind:     by_value
      - .offset:         24
        .size:           8
        .value_kind:     by_value
      - .offset:         32
        .size:           8
        .value_kind:     by_value
      - .offset:         40
        .size:           4
        .value_kind:     by_value
      - .actual_access:  read_only
        .address_space:  global
        .offset:         48
        .size:           8
        .value_kind:     global_buffer
      - .actual_access:  write_only
        .address_space:  global
        .offset:         56
        .size:           8
        .value_kind:     global_buffer
      - .offset:         64
        .size:           4
        .value_kind:     hidden_block_count_x
      - .offset:         68
        .size:           4
        .value_kind:     hidden_block_count_y
      - .offset:         72
        .size:           4
        .value_kind:     hidden_block_count_z
      - .offset:         76
        .size:           2
        .value_kind:     hidden_group_size_x
      - .offset:         78
        .size:           2
        .value_kind:     hidden_group_size_y
      - .offset:         80
        .size:           2
        .value_kind:     hidden_group_size_z
      - .offset:         82
        .size:           2
        .value_kind:     hidden_remainder_x
      - .offset:         84
        .size:           2
        .value_kind:     hidden_remainder_y
      - .offset:         86
        .size:           2
        .value_kind:     hidden_remainder_z
      - .offset:         104
        .size:           8
        .value_kind:     hidden_global_offset_x
      - .offset:         112
        .size:           8
        .value_kind:     hidden_global_offset_y
      - .offset:         120
        .size:           8
        .value_kind:     hidden_global_offset_z
      - .offset:         128
        .size:           2
        .value_kind:     hidden_grid_dims
    .group_segment_fixed_size: 256
    .kernarg_segment_align: 8
    .kernarg_segment_size: 320
    .language:       OpenCL C
    .language_version:
      - 2
      - 0
    .max_flat_workgroup_size: 1024
    .name:           _ZL24rocblas_dot_kernel_magsqIlLb1ELi1024ELi32ELb1E16rocblas_bfloat16PKS0_fEviT5_lT_liPT6_PT4_
    .private_segment_fixed_size: 0
    .sgpr_count:     24
    .sgpr_spill_count: 0
    .symbol:         _ZL24rocblas_dot_kernel_magsqIlLb1ELi1024ELi32ELb1E16rocblas_bfloat16PKS0_fEviT5_lT_liPT6_PT4_.kd
    .uniform_work_group_size: 1
    .uses_dynamic_stack: false
    .vgpr_count:     10
    .vgpr_spill_count: 0
    .wavefront_size: 64
  - .agpr_count:     0
    .args:
      - .offset:         0
        .size:           4
        .value_kind:     by_value
      - .actual_access:  read_only
        .address_space:  global
        .offset:         8
        .size:           8
        .value_kind:     global_buffer
      - .offset:         16
        .size:           8
        .value_kind:     by_value
      - .offset:         24
        .size:           8
        .value_kind:     by_value
      - .offset:         32
        .size:           8
        .value_kind:     by_value
      - .actual_access:  read_only
        .address_space:  global
        .offset:         40
        .size:           8
        .value_kind:     global_buffer
      - .offset:         48
        .size:           8
        .value_kind:     by_value
      - .offset:         56
        .size:           8
        .value_kind:     by_value
      - .offset:         64
        .size:           8
        .value_kind:     by_value
      - .offset:         72
        .size:           4
        .value_kind:     by_value
      - .actual_access:  write_only
        .address_space:  global
        .offset:         80
        .size:           8
        .value_kind:     global_buffer
      - .actual_access:  write_only
        .address_space:  global
        .offset:         88
        .size:           8
        .value_kind:     global_buffer
      - .offset:         96
        .size:           4
        .value_kind:     hidden_block_count_x
      - .offset:         100
        .size:           4
        .value_kind:     hidden_block_count_y
      - .offset:         104
        .size:           4
        .value_kind:     hidden_block_count_z
      - .offset:         108
        .size:           2
        .value_kind:     hidden_group_size_x
      - .offset:         110
        .size:           2
        .value_kind:     hidden_group_size_y
      - .offset:         112
        .size:           2
        .value_kind:     hidden_group_size_z
      - .offset:         114
        .size:           2
        .value_kind:     hidden_remainder_x
      - .offset:         116
        .size:           2
        .value_kind:     hidden_remainder_y
      - .offset:         118
        .size:           2
        .value_kind:     hidden_remainder_z
      - .offset:         136
        .size:           8
        .value_kind:     hidden_global_offset_x
      - .offset:         144
        .size:           8
        .value_kind:     hidden_global_offset_y
      - .offset:         152
        .size:           8
        .value_kind:     hidden_global_offset_z
      - .offset:         160
        .size:           2
        .value_kind:     hidden_grid_dims
    .group_segment_fixed_size: 256
    .kernarg_segment_align: 8
    .kernarg_segment_size: 352
    .language:       OpenCL C
    .language_version:
      - 2
      - 0
    .max_flat_workgroup_size: 512
    .name:           _ZL18rocblas_dot_kernelIlLb0ELi512ELi8ELb1E16rocblas_bfloat16PKS0_fEviT5_lT_lS3_lS4_liPT6_PT4_
    .private_segment_fixed_size: 0
    .sgpr_count:     34
    .sgpr_spill_count: 0
    .symbol:         _ZL18rocblas_dot_kernelIlLb0ELi512ELi8ELb1E16rocblas_bfloat16PKS0_fEviT5_lT_lS3_lS4_liPT6_PT4_.kd
    .uniform_work_group_size: 1
    .uses_dynamic_stack: false
    .vgpr_count:     11
    .vgpr_spill_count: 0
    .wavefront_size: 64
  - .agpr_count:     0
    .args:
      - .offset:         0
        .size:           4
        .value_kind:     by_value
      - .actual_access:  read_only
        .address_space:  global
        .offset:         8
        .size:           8
        .value_kind:     global_buffer
      - .offset:         16
        .size:           8
        .value_kind:     by_value
      - .offset:         24
        .size:           8
        .value_kind:     by_value
      - .offset:         32
        .size:           8
        .value_kind:     by_value
      - .offset:         40
        .size:           4
        .value_kind:     by_value
      - .actual_access:  write_only
        .address_space:  global
        .offset:         48
        .size:           8
        .value_kind:     global_buffer
      - .actual_access:  write_only
        .address_space:  global
        .offset:         56
        .size:           8
        .value_kind:     global_buffer
      - .offset:         64
        .size:           4
        .value_kind:     hidden_block_count_x
      - .offset:         68
        .size:           4
        .value_kind:     hidden_block_count_y
      - .offset:         72
        .size:           4
        .value_kind:     hidden_block_count_z
      - .offset:         76
        .size:           2
        .value_kind:     hidden_group_size_x
      - .offset:         78
        .size:           2
        .value_kind:     hidden_group_size_y
      - .offset:         80
        .size:           2
        .value_kind:     hidden_group_size_z
      - .offset:         82
        .size:           2
        .value_kind:     hidden_remainder_x
      - .offset:         84
        .size:           2
        .value_kind:     hidden_remainder_y
      - .offset:         86
        .size:           2
        .value_kind:     hidden_remainder_z
      - .offset:         104
        .size:           8
        .value_kind:     hidden_global_offset_x
      - .offset:         112
        .size:           8
        .value_kind:     hidden_global_offset_y
      - .offset:         120
        .size:           8
        .value_kind:     hidden_global_offset_z
      - .offset:         128
        .size:           2
        .value_kind:     hidden_grid_dims
    .group_segment_fixed_size: 256
    .kernarg_segment_align: 8
    .kernarg_segment_size: 320
    .language:       OpenCL C
    .language_version:
      - 2
      - 0
    .max_flat_workgroup_size: 512
    .name:           _ZL24rocblas_dot_kernel_magsqIlLb0ELi512ELi8ELb1E16rocblas_bfloat16PKS0_fEviT5_lT_liPT6_PT4_
    .private_segment_fixed_size: 0
    .sgpr_count:     28
    .sgpr_spill_count: 0
    .symbol:         _ZL24rocblas_dot_kernel_magsqIlLb0ELi512ELi8ELb1E16rocblas_bfloat16PKS0_fEviT5_lT_liPT6_PT4_.kd
    .uniform_work_group_size: 1
    .uses_dynamic_stack: false
    .vgpr_count:     9
    .vgpr_spill_count: 0
    .wavefront_size: 64
  - .agpr_count:     0
    .args:
      - .offset:         0
        .size:           4
        .value_kind:     by_value
      - .actual_access:  read_only
        .address_space:  global
        .offset:         8
        .size:           8
        .value_kind:     global_buffer
      - .offset:         16
        .size:           8
        .value_kind:     by_value
      - .offset:         24
        .size:           4
        .value_kind:     by_value
      - .offset:         32
        .size:           8
        .value_kind:     by_value
      - .actual_access:  read_only
        .address_space:  global
        .offset:         40
        .size:           8
        .value_kind:     global_buffer
      - .offset:         48
        .size:           8
        .value_kind:     by_value
      - .offset:         56
        .size:           4
        .value_kind:     by_value
      - .offset:         64
        .size:           8
        .value_kind:     by_value
      - .offset:         72
        .size:           4
        .value_kind:     by_value
      - .actual_access:  write_only
        .address_space:  global
        .offset:         80
        .size:           8
        .value_kind:     global_buffer
    .group_segment_fixed_size: 0
    .kernarg_segment_align: 8
    .kernarg_segment_size: 88
    .language:       OpenCL C
    .language_version:
      - 2
      - 0
    .max_flat_workgroup_size: 128
    .name:           _ZL28rocblas_dot_batched_4_kernelIiLi32ELi4ELb1Ef16rocblas_bfloat16PKPKS0_EviT5_lT_lS5_lS6_liPT4_
    .private_segment_fixed_size: 0
    .sgpr_count:     22
    .sgpr_spill_count: 0
    .symbol:         _ZL28rocblas_dot_batched_4_kernelIiLi32ELi4ELb1Ef16rocblas_bfloat16PKPKS0_EviT5_lT_lS5_lS6_liPT4_.kd
    .uniform_work_group_size: 1
    .uses_dynamic_stack: false
    .vgpr_count:     14
    .vgpr_spill_count: 0
    .wavefront_size: 64
  - .agpr_count:     0
    .args:
      - .offset:         0
        .size:           4
        .value_kind:     by_value
      - .actual_access:  read_only
        .address_space:  global
        .offset:         8
        .size:           8
        .value_kind:     global_buffer
      - .offset:         16
        .size:           8
        .value_kind:     by_value
      - .offset:         24
        .size:           4
        .value_kind:     by_value
      - .offset:         32
        .size:           8
        .value_kind:     by_value
      - .actual_access:  read_only
        .address_space:  global
        .offset:         40
        .size:           8
        .value_kind:     global_buffer
      - .offset:         48
        .size:           8
        .value_kind:     by_value
      - .offset:         56
        .size:           4
        .value_kind:     by_value
      - .offset:         64
        .size:           8
        .value_kind:     by_value
      - .offset:         72
        .size:           4
        .value_kind:     by_value
      - .actual_access:  write_only
        .address_space:  global
        .offset:         80
        .size:           8
        .value_kind:     global_buffer
    .group_segment_fixed_size: 0
    .kernarg_segment_align: 8
    .kernarg_segment_size: 88
    .language:       OpenCL C
    .language_version:
      - 2
      - 0
    .max_flat_workgroup_size: 256
    .name:           _ZL28rocblas_dot_batched_4_kernelIiLi64ELi4ELb1Ef16rocblas_bfloat16PKPKS0_EviT5_lT_lS5_lS6_liPT4_
    .private_segment_fixed_size: 0
    .sgpr_count:     22
    .sgpr_spill_count: 0
    .symbol:         _ZL28rocblas_dot_batched_4_kernelIiLi64ELi4ELb1Ef16rocblas_bfloat16PKPKS0_EviT5_lT_lS5_lS6_liPT4_.kd
    .uniform_work_group_size: 1
    .uses_dynamic_stack: false
    .vgpr_count:     14
    .vgpr_spill_count: 0
    .wavefront_size: 64
  - .agpr_count:     0
    .args:
      - .offset:         0
        .size:           4
        .value_kind:     by_value
      - .actual_access:  read_only
        .address_space:  global
        .offset:         8
        .size:           8
        .value_kind:     global_buffer
      - .offset:         16
        .size:           8
        .value_kind:     by_value
      - .offset:         24
        .size:           8
        .value_kind:     by_value
      - .actual_access:  read_only
        .address_space:  global
        .offset:         32
        .size:           8
        .value_kind:     global_buffer
      - .offset:         40
        .size:           8
        .value_kind:     by_value
      - .offset:         48
        .size:           8
        .value_kind:     by_value
      - .offset:         56
        .size:           4
        .value_kind:     by_value
      - .actual_access:  read_only
        .address_space:  global
        .offset:         64
        .size:           8
        .value_kind:     global_buffer
      - .actual_access:  write_only
        .address_space:  global
        .offset:         72
        .size:           8
        .value_kind:     global_buffer
    .group_segment_fixed_size: 256
    .kernarg_segment_align: 8
    .kernarg_segment_size: 80
    .language:       OpenCL C
    .language_version:
      - 2
      - 0
    .max_flat_workgroup_size: 1024
    .name:           _ZL26rocblas_dot_kernel_inc1by2ILb1ELi1024ELi32ELb1E16rocblas_bfloat16PKPKS0_fEviT4_llS5_lliPT5_PT3_
    .private_segment_fixed_size: 0
    .sgpr_count:     28
    .sgpr_spill_count: 0
    .symbol:         _ZL26rocblas_dot_kernel_inc1by2ILb1ELi1024ELi32ELb1E16rocblas_bfloat16PKPKS0_fEviT4_llS5_lliPT5_PT3_.kd
    .uniform_work_group_size: 1
    .uses_dynamic_stack: false
    .vgpr_count:     12
    .vgpr_spill_count: 0
    .wavefront_size: 64
  - .agpr_count:     0
    .args:
      - .offset:         0
        .size:           4
        .value_kind:     by_value
      - .actual_access:  read_only
        .address_space:  global
        .offset:         8
        .size:           8
        .value_kind:     global_buffer
      - .offset:         16
        .size:           8
        .value_kind:     by_value
      - .offset:         24
        .size:           4
        .value_kind:     by_value
      - .offset:         32
        .size:           8
        .value_kind:     by_value
      - .actual_access:  read_only
        .address_space:  global
        .offset:         40
        .size:           8
        .value_kind:     global_buffer
      - .offset:         48
        .size:           8
        .value_kind:     by_value
      - .offset:         56
        .size:           4
        .value_kind:     by_value
      - .offset:         64
        .size:           8
        .value_kind:     by_value
      - .offset:         72
        .size:           4
        .value_kind:     by_value
      - .actual_access:  read_only
        .address_space:  global
        .offset:         80
        .size:           8
        .value_kind:     global_buffer
      - .actual_access:  write_only
        .address_space:  global
        .offset:         88
        .size:           8
        .value_kind:     global_buffer
      - .offset:         96
        .size:           4
        .value_kind:     hidden_block_count_x
      - .offset:         100
        .size:           4
        .value_kind:     hidden_block_count_y
      - .offset:         104
        .size:           4
        .value_kind:     hidden_block_count_z
      - .offset:         108
        .size:           2
        .value_kind:     hidden_group_size_x
      - .offset:         110
        .size:           2
        .value_kind:     hidden_group_size_y
      - .offset:         112
        .size:           2
        .value_kind:     hidden_group_size_z
      - .offset:         114
        .size:           2
        .value_kind:     hidden_remainder_x
      - .offset:         116
        .size:           2
        .value_kind:     hidden_remainder_y
      - .offset:         118
        .size:           2
        .value_kind:     hidden_remainder_z
      - .offset:         136
        .size:           8
        .value_kind:     hidden_global_offset_x
      - .offset:         144
        .size:           8
        .value_kind:     hidden_global_offset_y
      - .offset:         152
        .size:           8
        .value_kind:     hidden_global_offset_z
      - .offset:         160
        .size:           2
        .value_kind:     hidden_grid_dims
    .group_segment_fixed_size: 256
    .kernarg_segment_align: 8
    .kernarg_segment_size: 352
    .language:       OpenCL C
    .language_version:
      - 2
      - 0
    .max_flat_workgroup_size: 1024
    .name:           _ZL18rocblas_dot_kernelIiLb1ELi1024ELi32ELb1E16rocblas_bfloat16PKPKS0_fEviT5_lT_lS5_lS6_liPT6_PT4_
    .private_segment_fixed_size: 0
    .sgpr_count:     29
    .sgpr_spill_count: 0
    .symbol:         _ZL18rocblas_dot_kernelIiLb1ELi1024ELi32ELb1E16rocblas_bfloat16PKPKS0_fEviT5_lT_lS5_lS6_liPT6_PT4_.kd
    .uniform_work_group_size: 1
    .uses_dynamic_stack: false
    .vgpr_count:     11
    .vgpr_spill_count: 0
    .wavefront_size: 64
  - .agpr_count:     0
    .args:
      - .offset:         0
        .size:           4
        .value_kind:     by_value
      - .actual_access:  read_only
        .address_space:  global
        .offset:         8
        .size:           8
        .value_kind:     global_buffer
      - .offset:         16
        .size:           8
        .value_kind:     by_value
      - .offset:         24
        .size:           4
        .value_kind:     by_value
      - .offset:         32
        .size:           8
        .value_kind:     by_value
      - .offset:         40
        .size:           4
        .value_kind:     by_value
      - .actual_access:  read_only
        .address_space:  global
        .offset:         48
        .size:           8
        .value_kind:     global_buffer
      - .actual_access:  write_only
        .address_space:  global
        .offset:         56
        .size:           8
        .value_kind:     global_buffer
      - .offset:         64
        .size:           4
        .value_kind:     hidden_block_count_x
      - .offset:         68
        .size:           4
        .value_kind:     hidden_block_count_y
      - .offset:         72
        .size:           4
        .value_kind:     hidden_block_count_z
      - .offset:         76
        .size:           2
        .value_kind:     hidden_group_size_x
      - .offset:         78
        .size:           2
        .value_kind:     hidden_group_size_y
      - .offset:         80
        .size:           2
        .value_kind:     hidden_group_size_z
      - .offset:         82
        .size:           2
        .value_kind:     hidden_remainder_x
      - .offset:         84
        .size:           2
        .value_kind:     hidden_remainder_y
      - .offset:         86
        .size:           2
        .value_kind:     hidden_remainder_z
      - .offset:         104
        .size:           8
        .value_kind:     hidden_global_offset_x
      - .offset:         112
        .size:           8
        .value_kind:     hidden_global_offset_y
      - .offset:         120
        .size:           8
        .value_kind:     hidden_global_offset_z
      - .offset:         128
        .size:           2
        .value_kind:     hidden_grid_dims
    .group_segment_fixed_size: 256
    .kernarg_segment_align: 8
    .kernarg_segment_size: 320
    .language:       OpenCL C
    .language_version:
      - 2
      - 0
    .max_flat_workgroup_size: 1024
    .name:           _ZL24rocblas_dot_kernel_magsqIiLb1ELi1024ELi32ELb1E16rocblas_bfloat16PKPKS0_fEviT5_lT_liPT6_PT4_
    .private_segment_fixed_size: 0
    .sgpr_count:     24
    .sgpr_spill_count: 0
    .symbol:         _ZL24rocblas_dot_kernel_magsqIiLb1ELi1024ELi32ELb1E16rocblas_bfloat16PKPKS0_fEviT5_lT_liPT6_PT4_.kd
    .uniform_work_group_size: 1
    .uses_dynamic_stack: false
    .vgpr_count:     10
    .vgpr_spill_count: 0
    .wavefront_size: 64
  - .agpr_count:     0
    .args:
      - .offset:         0
        .size:           4
        .value_kind:     by_value
      - .actual_access:  read_only
        .address_space:  global
        .offset:         8
        .size:           8
        .value_kind:     global_buffer
      - .offset:         16
        .size:           8
        .value_kind:     by_value
      - .offset:         24
        .size:           8
        .value_kind:     by_value
      - .actual_access:  read_only
        .address_space:  global
        .offset:         32
        .size:           8
        .value_kind:     global_buffer
      - .offset:         40
        .size:           8
        .value_kind:     by_value
      - .offset:         48
        .size:           8
        .value_kind:     by_value
      - .offset:         56
        .size:           4
        .value_kind:     by_value
      - .actual_access:  write_only
        .address_space:  global
        .offset:         64
        .size:           8
        .value_kind:     global_buffer
      - .actual_access:  write_only
        .address_space:  global
        .offset:         72
        .size:           8
        .value_kind:     global_buffer
      - .offset:         80
        .size:           4
        .value_kind:     hidden_block_count_x
      - .offset:         84
        .size:           4
        .value_kind:     hidden_block_count_y
      - .offset:         88
        .size:           4
        .value_kind:     hidden_block_count_z
      - .offset:         92
        .size:           2
        .value_kind:     hidden_group_size_x
      - .offset:         94
        .size:           2
        .value_kind:     hidden_group_size_y
      - .offset:         96
        .size:           2
        .value_kind:     hidden_group_size_z
      - .offset:         98
        .size:           2
        .value_kind:     hidden_remainder_x
      - .offset:         100
        .size:           2
        .value_kind:     hidden_remainder_y
      - .offset:         102
        .size:           2
        .value_kind:     hidden_remainder_z
      - .offset:         120
        .size:           8
        .value_kind:     hidden_global_offset_x
      - .offset:         128
        .size:           8
        .value_kind:     hidden_global_offset_y
      - .offset:         136
        .size:           8
        .value_kind:     hidden_global_offset_z
      - .offset:         144
        .size:           2
        .value_kind:     hidden_grid_dims
    .group_segment_fixed_size: 256
    .kernarg_segment_align: 8
    .kernarg_segment_size: 336
    .language:       OpenCL C
    .language_version:
      - 2
      - 0
    .max_flat_workgroup_size: 512
    .name:           _ZL23rocblas_dot_kernel_inc1ILb0ELi512ELi8ELb1E16rocblas_bfloat16PKPKS0_fEviT4_llS5_lliPT5_PT3_
    .private_segment_fixed_size: 0
    .sgpr_count:     32
    .sgpr_spill_count: 0
    .symbol:         _ZL23rocblas_dot_kernel_inc1ILb0ELi512ELi8ELb1E16rocblas_bfloat16PKPKS0_fEviT4_llS5_lliPT5_PT3_.kd
    .uniform_work_group_size: 1
    .uses_dynamic_stack: false
    .vgpr_count:     14
    .vgpr_spill_count: 0
    .wavefront_size: 64
  - .agpr_count:     0
    .args:
      - .offset:         0
        .size:           4
        .value_kind:     by_value
      - .actual_access:  read_only
        .address_space:  global
        .offset:         8
        .size:           8
        .value_kind:     global_buffer
      - .offset:         16
        .size:           8
        .value_kind:     by_value
      - .offset:         24
        .size:           4
        .value_kind:     by_value
      - .offset:         32
        .size:           8
        .value_kind:     by_value
      - .actual_access:  read_only
        .address_space:  global
        .offset:         40
        .size:           8
        .value_kind:     global_buffer
      - .offset:         48
        .size:           8
        .value_kind:     by_value
      - .offset:         56
        .size:           4
        .value_kind:     by_value
      - .offset:         64
        .size:           8
        .value_kind:     by_value
      - .offset:         72
        .size:           4
        .value_kind:     by_value
      - .actual_access:  write_only
        .address_space:  global
        .offset:         80
        .size:           8
        .value_kind:     global_buffer
      - .actual_access:  write_only
        .address_space:  global
        .offset:         88
        .size:           8
        .value_kind:     global_buffer
      - .offset:         96
        .size:           4
        .value_kind:     hidden_block_count_x
      - .offset:         100
        .size:           4
        .value_kind:     hidden_block_count_y
      - .offset:         104
        .size:           4
        .value_kind:     hidden_block_count_z
      - .offset:         108
        .size:           2
        .value_kind:     hidden_group_size_x
      - .offset:         110
        .size:           2
        .value_kind:     hidden_group_size_y
      - .offset:         112
        .size:           2
        .value_kind:     hidden_group_size_z
      - .offset:         114
        .size:           2
        .value_kind:     hidden_remainder_x
      - .offset:         116
        .size:           2
        .value_kind:     hidden_remainder_y
      - .offset:         118
        .size:           2
        .value_kind:     hidden_remainder_z
      - .offset:         136
        .size:           8
        .value_kind:     hidden_global_offset_x
      - .offset:         144
        .size:           8
        .value_kind:     hidden_global_offset_y
      - .offset:         152
        .size:           8
        .value_kind:     hidden_global_offset_z
      - .offset:         160
        .size:           2
        .value_kind:     hidden_grid_dims
    .group_segment_fixed_size: 256
    .kernarg_segment_align: 8
    .kernarg_segment_size: 352
    .language:       OpenCL C
    .language_version:
      - 2
      - 0
    .max_flat_workgroup_size: 512
    .name:           _ZL18rocblas_dot_kernelIiLb0ELi512ELi8ELb1E16rocblas_bfloat16PKPKS0_fEviT5_lT_lS5_lS6_liPT6_PT4_
    .private_segment_fixed_size: 0
    .sgpr_count:     32
    .sgpr_spill_count: 0
    .symbol:         _ZL18rocblas_dot_kernelIiLb0ELi512ELi8ELb1E16rocblas_bfloat16PKPKS0_fEviT5_lT_lS5_lS6_liPT6_PT4_.kd
    .uniform_work_group_size: 1
    .uses_dynamic_stack: false
    .vgpr_count:     11
    .vgpr_spill_count: 0
    .wavefront_size: 64
  - .agpr_count:     0
    .args:
      - .offset:         0
        .size:           4
        .value_kind:     by_value
      - .actual_access:  read_only
        .address_space:  global
        .offset:         8
        .size:           8
        .value_kind:     global_buffer
      - .offset:         16
        .size:           8
        .value_kind:     by_value
      - .offset:         24
        .size:           4
        .value_kind:     by_value
      - .offset:         32
        .size:           8
        .value_kind:     by_value
      - .offset:         40
        .size:           4
        .value_kind:     by_value
      - .actual_access:  write_only
        .address_space:  global
        .offset:         48
        .size:           8
        .value_kind:     global_buffer
      - .actual_access:  write_only
        .address_space:  global
        .offset:         56
        .size:           8
        .value_kind:     global_buffer
      - .offset:         64
        .size:           4
        .value_kind:     hidden_block_count_x
      - .offset:         68
        .size:           4
        .value_kind:     hidden_block_count_y
      - .offset:         72
        .size:           4
        .value_kind:     hidden_block_count_z
      - .offset:         76
        .size:           2
        .value_kind:     hidden_group_size_x
      - .offset:         78
        .size:           2
        .value_kind:     hidden_group_size_y
      - .offset:         80
        .size:           2
        .value_kind:     hidden_group_size_z
      - .offset:         82
        .size:           2
        .value_kind:     hidden_remainder_x
      - .offset:         84
        .size:           2
        .value_kind:     hidden_remainder_y
      - .offset:         86
        .size:           2
        .value_kind:     hidden_remainder_z
      - .offset:         104
        .size:           8
        .value_kind:     hidden_global_offset_x
      - .offset:         112
        .size:           8
        .value_kind:     hidden_global_offset_y
      - .offset:         120
        .size:           8
        .value_kind:     hidden_global_offset_z
      - .offset:         128
        .size:           2
        .value_kind:     hidden_grid_dims
    .group_segment_fixed_size: 256
    .kernarg_segment_align: 8
    .kernarg_segment_size: 320
    .language:       OpenCL C
    .language_version:
      - 2
      - 0
    .max_flat_workgroup_size: 512
    .name:           _ZL24rocblas_dot_kernel_magsqIiLb0ELi512ELi8ELb1E16rocblas_bfloat16PKPKS0_fEviT5_lT_liPT6_PT4_
    .private_segment_fixed_size: 0
    .sgpr_count:     28
    .sgpr_spill_count: 0
    .symbol:         _ZL24rocblas_dot_kernel_magsqIiLb0ELi512ELi8ELb1E16rocblas_bfloat16PKPKS0_fEviT5_lT_liPT6_PT4_.kd
    .uniform_work_group_size: 1
    .uses_dynamic_stack: false
    .vgpr_count:     9
    .vgpr_spill_count: 0
    .wavefront_size: 64
  - .agpr_count:     0
    .args:
      - .offset:         0
        .size:           4
        .value_kind:     by_value
      - .actual_access:  read_only
        .address_space:  global
        .offset:         8
        .size:           8
        .value_kind:     global_buffer
      - .offset:         16
        .size:           8
        .value_kind:     by_value
      - .offset:         24
        .size:           4
        .value_kind:     by_value
      - .offset:         32
        .size:           8
        .value_kind:     by_value
      - .actual_access:  read_only
        .address_space:  global
        .offset:         40
        .size:           8
        .value_kind:     global_buffer
      - .offset:         48
        .size:           8
        .value_kind:     by_value
      - .offset:         56
        .size:           4
        .value_kind:     by_value
      - .offset:         64
        .size:           8
        .value_kind:     by_value
      - .offset:         72
        .size:           4
        .value_kind:     by_value
      - .actual_access:  write_only
        .address_space:  global
        .offset:         80
        .size:           8
        .value_kind:     global_buffer
    .group_segment_fixed_size: 0
    .kernarg_segment_align: 8
    .kernarg_segment_size: 88
    .language:       OpenCL C
    .language_version:
      - 2
      - 0
    .max_flat_workgroup_size: 128
    .name:           _ZL28rocblas_dot_batched_4_kernelIiLi32ELi4ELb1EffPKPK16rocblas_bfloat16EviT5_lT_lS5_lS6_liPT4_
    .private_segment_fixed_size: 0
    .sgpr_count:     22
    .sgpr_spill_count: 0
    .symbol:         _ZL28rocblas_dot_batched_4_kernelIiLi32ELi4ELb1EffPKPK16rocblas_bfloat16EviT5_lT_lS5_lS6_liPT4_.kd
    .uniform_work_group_size: 1
    .uses_dynamic_stack: false
    .vgpr_count:     14
    .vgpr_spill_count: 0
    .wavefront_size: 64
  - .agpr_count:     0
    .args:
      - .offset:         0
        .size:           4
        .value_kind:     by_value
      - .actual_access:  read_only
        .address_space:  global
        .offset:         8
        .size:           8
        .value_kind:     global_buffer
      - .offset:         16
        .size:           8
        .value_kind:     by_value
      - .offset:         24
        .size:           4
        .value_kind:     by_value
      - .offset:         32
        .size:           8
        .value_kind:     by_value
      - .actual_access:  read_only
        .address_space:  global
        .offset:         40
        .size:           8
        .value_kind:     global_buffer
      - .offset:         48
        .size:           8
        .value_kind:     by_value
      - .offset:         56
        .size:           4
        .value_kind:     by_value
      - .offset:         64
        .size:           8
        .value_kind:     by_value
      - .offset:         72
        .size:           4
        .value_kind:     by_value
      - .actual_access:  write_only
        .address_space:  global
        .offset:         80
        .size:           8
        .value_kind:     global_buffer
    .group_segment_fixed_size: 0
    .kernarg_segment_align: 8
    .kernarg_segment_size: 88
    .language:       OpenCL C
    .language_version:
      - 2
      - 0
    .max_flat_workgroup_size: 256
    .name:           _ZL28rocblas_dot_batched_4_kernelIiLi64ELi4ELb1EffPKPK16rocblas_bfloat16EviT5_lT_lS5_lS6_liPT4_
    .private_segment_fixed_size: 0
    .sgpr_count:     22
    .sgpr_spill_count: 0
    .symbol:         _ZL28rocblas_dot_batched_4_kernelIiLi64ELi4ELb1EffPKPK16rocblas_bfloat16EviT5_lT_lS5_lS6_liPT4_.kd
    .uniform_work_group_size: 1
    .uses_dynamic_stack: false
    .vgpr_count:     14
    .vgpr_spill_count: 0
    .wavefront_size: 64
  - .agpr_count:     0
    .args:
      - .offset:         0
        .size:           4
        .value_kind:     by_value
      - .actual_access:  read_only
        .address_space:  global
        .offset:         8
        .size:           8
        .value_kind:     global_buffer
      - .offset:         16
        .size:           8
        .value_kind:     by_value
      - .offset:         24
        .size:           4
        .value_kind:     by_value
      - .offset:         32
        .size:           8
        .value_kind:     by_value
      - .actual_access:  read_only
        .address_space:  global
        .offset:         40
        .size:           8
        .value_kind:     global_buffer
      - .offset:         48
        .size:           8
        .value_kind:     by_value
      - .offset:         56
        .size:           4
        .value_kind:     by_value
      - .offset:         64
        .size:           8
        .value_kind:     by_value
      - .offset:         72
        .size:           4
        .value_kind:     by_value
      - .actual_access:  read_only
        .address_space:  global
        .offset:         80
        .size:           8
        .value_kind:     global_buffer
      - .actual_access:  write_only
        .address_space:  global
        .offset:         88
        .size:           8
        .value_kind:     global_buffer
      - .offset:         96
        .size:           4
        .value_kind:     hidden_block_count_x
      - .offset:         100
        .size:           4
        .value_kind:     hidden_block_count_y
      - .offset:         104
        .size:           4
        .value_kind:     hidden_block_count_z
      - .offset:         108
        .size:           2
        .value_kind:     hidden_group_size_x
      - .offset:         110
        .size:           2
        .value_kind:     hidden_group_size_y
      - .offset:         112
        .size:           2
        .value_kind:     hidden_group_size_z
      - .offset:         114
        .size:           2
        .value_kind:     hidden_remainder_x
      - .offset:         116
        .size:           2
        .value_kind:     hidden_remainder_y
      - .offset:         118
        .size:           2
        .value_kind:     hidden_remainder_z
      - .offset:         136
        .size:           8
        .value_kind:     hidden_global_offset_x
      - .offset:         144
        .size:           8
        .value_kind:     hidden_global_offset_y
      - .offset:         152
        .size:           8
        .value_kind:     hidden_global_offset_z
      - .offset:         160
        .size:           2
        .value_kind:     hidden_grid_dims
    .group_segment_fixed_size: 256
    .kernarg_segment_align: 8
    .kernarg_segment_size: 352
    .language:       OpenCL C
    .language_version:
      - 2
      - 0
    .max_flat_workgroup_size: 1024
    .name:           _ZL18rocblas_dot_kernelIiLb1ELi1024ELi32ELb1EfPKPK16rocblas_bfloat16fEviT5_lT_lS5_lS6_liPT6_PT4_
    .private_segment_fixed_size: 0
    .sgpr_count:     29
    .sgpr_spill_count: 0
    .symbol:         _ZL18rocblas_dot_kernelIiLb1ELi1024ELi32ELb1EfPKPK16rocblas_bfloat16fEviT5_lT_lS5_lS6_liPT6_PT4_.kd
    .uniform_work_group_size: 1
    .uses_dynamic_stack: false
    .vgpr_count:     11
    .vgpr_spill_count: 0
    .wavefront_size: 64
  - .agpr_count:     0
    .args:
      - .offset:         0
        .size:           4
        .value_kind:     by_value
      - .actual_access:  read_only
        .address_space:  global
        .offset:         8
        .size:           8
        .value_kind:     global_buffer
      - .offset:         16
        .size:           8
        .value_kind:     by_value
      - .offset:         24
        .size:           4
        .value_kind:     by_value
      - .offset:         32
        .size:           8
        .value_kind:     by_value
      - .offset:         40
        .size:           4
        .value_kind:     by_value
      - .actual_access:  read_only
        .address_space:  global
        .offset:         48
        .size:           8
        .value_kind:     global_buffer
      - .actual_access:  write_only
        .address_space:  global
        .offset:         56
        .size:           8
        .value_kind:     global_buffer
      - .offset:         64
        .size:           4
        .value_kind:     hidden_block_count_x
      - .offset:         68
        .size:           4
        .value_kind:     hidden_block_count_y
      - .offset:         72
        .size:           4
        .value_kind:     hidden_block_count_z
      - .offset:         76
        .size:           2
        .value_kind:     hidden_group_size_x
      - .offset:         78
        .size:           2
        .value_kind:     hidden_group_size_y
      - .offset:         80
        .size:           2
        .value_kind:     hidden_group_size_z
      - .offset:         82
        .size:           2
        .value_kind:     hidden_remainder_x
      - .offset:         84
        .size:           2
        .value_kind:     hidden_remainder_y
      - .offset:         86
        .size:           2
        .value_kind:     hidden_remainder_z
      - .offset:         104
        .size:           8
        .value_kind:     hidden_global_offset_x
      - .offset:         112
        .size:           8
        .value_kind:     hidden_global_offset_y
      - .offset:         120
        .size:           8
        .value_kind:     hidden_global_offset_z
      - .offset:         128
        .size:           2
        .value_kind:     hidden_grid_dims
    .group_segment_fixed_size: 256
    .kernarg_segment_align: 8
    .kernarg_segment_size: 320
    .language:       OpenCL C
    .language_version:
      - 2
      - 0
    .max_flat_workgroup_size: 1024
    .name:           _ZL24rocblas_dot_kernel_magsqIiLb1ELi1024ELi32ELb1EfPKPK16rocblas_bfloat16fEviT5_lT_liPT6_PT4_
    .private_segment_fixed_size: 0
    .sgpr_count:     24
    .sgpr_spill_count: 0
    .symbol:         _ZL24rocblas_dot_kernel_magsqIiLb1ELi1024ELi32ELb1EfPKPK16rocblas_bfloat16fEviT5_lT_liPT6_PT4_.kd
    .uniform_work_group_size: 1
    .uses_dynamic_stack: false
    .vgpr_count:     10
    .vgpr_spill_count: 0
    .wavefront_size: 64
  - .agpr_count:     0
    .args:
      - .offset:         0
        .size:           4
        .value_kind:     by_value
      - .actual_access:  read_only
        .address_space:  global
        .offset:         8
        .size:           8
        .value_kind:     global_buffer
      - .offset:         16
        .size:           8
        .value_kind:     by_value
      - .offset:         24
        .size:           4
        .value_kind:     by_value
      - .offset:         32
        .size:           8
        .value_kind:     by_value
      - .actual_access:  read_only
        .address_space:  global
        .offset:         40
        .size:           8
        .value_kind:     global_buffer
      - .offset:         48
        .size:           8
        .value_kind:     by_value
      - .offset:         56
        .size:           4
        .value_kind:     by_value
      - .offset:         64
        .size:           8
        .value_kind:     by_value
      - .offset:         72
        .size:           4
        .value_kind:     by_value
      - .actual_access:  write_only
        .address_space:  global
        .offset:         80
        .size:           8
        .value_kind:     global_buffer
      - .actual_access:  write_only
        .address_space:  global
        .offset:         88
        .size:           8
        .value_kind:     global_buffer
      - .offset:         96
        .size:           4
        .value_kind:     hidden_block_count_x
      - .offset:         100
        .size:           4
        .value_kind:     hidden_block_count_y
      - .offset:         104
        .size:           4
        .value_kind:     hidden_block_count_z
      - .offset:         108
        .size:           2
        .value_kind:     hidden_group_size_x
      - .offset:         110
        .size:           2
        .value_kind:     hidden_group_size_y
      - .offset:         112
        .size:           2
        .value_kind:     hidden_group_size_z
      - .offset:         114
        .size:           2
        .value_kind:     hidden_remainder_x
      - .offset:         116
        .size:           2
        .value_kind:     hidden_remainder_y
      - .offset:         118
        .size:           2
        .value_kind:     hidden_remainder_z
      - .offset:         136
        .size:           8
        .value_kind:     hidden_global_offset_x
      - .offset:         144
        .size:           8
        .value_kind:     hidden_global_offset_y
      - .offset:         152
        .size:           8
        .value_kind:     hidden_global_offset_z
      - .offset:         160
        .size:           2
        .value_kind:     hidden_grid_dims
    .group_segment_fixed_size: 256
    .kernarg_segment_align: 8
    .kernarg_segment_size: 352
    .language:       OpenCL C
    .language_version:
      - 2
      - 0
    .max_flat_workgroup_size: 512
    .name:           _ZL18rocblas_dot_kernelIiLb0ELi512ELi4ELb1EfPKPK16rocblas_bfloat16fEviT5_lT_lS5_lS6_liPT6_PT4_
    .private_segment_fixed_size: 0
    .sgpr_count:     32
    .sgpr_spill_count: 0
    .symbol:         _ZL18rocblas_dot_kernelIiLb0ELi512ELi4ELb1EfPKPK16rocblas_bfloat16fEviT5_lT_lS5_lS6_liPT6_PT4_.kd
    .uniform_work_group_size: 1
    .uses_dynamic_stack: false
    .vgpr_count:     11
    .vgpr_spill_count: 0
    .wavefront_size: 64
  - .agpr_count:     0
    .args:
      - .offset:         0
        .size:           4
        .value_kind:     by_value
      - .actual_access:  read_only
        .address_space:  global
        .offset:         8
        .size:           8
        .value_kind:     global_buffer
      - .offset:         16
        .size:           8
        .value_kind:     by_value
      - .offset:         24
        .size:           4
        .value_kind:     by_value
      - .offset:         32
        .size:           8
        .value_kind:     by_value
      - .offset:         40
        .size:           4
        .value_kind:     by_value
      - .actual_access:  write_only
        .address_space:  global
        .offset:         48
        .size:           8
        .value_kind:     global_buffer
      - .actual_access:  write_only
        .address_space:  global
        .offset:         56
        .size:           8
        .value_kind:     global_buffer
      - .offset:         64
        .size:           4
        .value_kind:     hidden_block_count_x
      - .offset:         68
        .size:           4
        .value_kind:     hidden_block_count_y
      - .offset:         72
        .size:           4
        .value_kind:     hidden_block_count_z
      - .offset:         76
        .size:           2
        .value_kind:     hidden_group_size_x
      - .offset:         78
        .size:           2
        .value_kind:     hidden_group_size_y
      - .offset:         80
        .size:           2
        .value_kind:     hidden_group_size_z
      - .offset:         82
        .size:           2
        .value_kind:     hidden_remainder_x
      - .offset:         84
        .size:           2
        .value_kind:     hidden_remainder_y
      - .offset:         86
        .size:           2
        .value_kind:     hidden_remainder_z
      - .offset:         104
        .size:           8
        .value_kind:     hidden_global_offset_x
      - .offset:         112
        .size:           8
        .value_kind:     hidden_global_offset_y
      - .offset:         120
        .size:           8
        .value_kind:     hidden_global_offset_z
      - .offset:         128
        .size:           2
        .value_kind:     hidden_grid_dims
    .group_segment_fixed_size: 256
    .kernarg_segment_align: 8
    .kernarg_segment_size: 320
    .language:       OpenCL C
    .language_version:
      - 2
      - 0
    .max_flat_workgroup_size: 512
    .name:           _ZL24rocblas_dot_kernel_magsqIiLb0ELi512ELi4ELb1EfPKPK16rocblas_bfloat16fEviT5_lT_liPT6_PT4_
    .private_segment_fixed_size: 0
    .sgpr_count:     28
    .sgpr_spill_count: 0
    .symbol:         _ZL24rocblas_dot_kernel_magsqIiLb0ELi512ELi4ELb1EfPKPK16rocblas_bfloat16fEviT5_lT_liPT6_PT4_.kd
    .uniform_work_group_size: 1
    .uses_dynamic_stack: false
    .vgpr_count:     9
    .vgpr_spill_count: 0
    .wavefront_size: 64
  - .agpr_count:     0
    .args:
      - .offset:         0
        .size:           4
        .value_kind:     by_value
      - .actual_access:  read_only
        .address_space:  global
        .offset:         8
        .size:           8
        .value_kind:     global_buffer
      - .offset:         16
        .size:           8
        .value_kind:     by_value
      - .offset:         24
        .size:           8
        .value_kind:     by_value
      - .offset:         32
        .size:           8
        .value_kind:     by_value
      - .actual_access:  read_only
        .address_space:  global
        .offset:         40
        .size:           8
        .value_kind:     global_buffer
      - .offset:         48
        .size:           8
        .value_kind:     by_value
      - .offset:         56
        .size:           8
        .value_kind:     by_value
      - .offset:         64
        .size:           8
        .value_kind:     by_value
      - .offset:         72
        .size:           4
        .value_kind:     by_value
      - .actual_access:  write_only
        .address_space:  global
        .offset:         80
        .size:           8
        .value_kind:     global_buffer
    .group_segment_fixed_size: 0
    .kernarg_segment_align: 8
    .kernarg_segment_size: 88
    .language:       OpenCL C
    .language_version:
      - 2
      - 0
    .max_flat_workgroup_size: 128
    .name:           _ZL28rocblas_dot_batched_4_kernelIlLi32ELi4ELb1Ef16rocblas_bfloat16PKPKS0_EviT5_lT_lS5_lS6_liPT4_
    .private_segment_fixed_size: 0
    .sgpr_count:     24
    .sgpr_spill_count: 0
    .symbol:         _ZL28rocblas_dot_batched_4_kernelIlLi32ELi4ELb1Ef16rocblas_bfloat16PKPKS0_EviT5_lT_lS5_lS6_liPT4_.kd
    .uniform_work_group_size: 1
    .uses_dynamic_stack: false
    .vgpr_count:     20
    .vgpr_spill_count: 0
    .wavefront_size: 64
  - .agpr_count:     0
    .args:
      - .offset:         0
        .size:           4
        .value_kind:     by_value
      - .actual_access:  read_only
        .address_space:  global
        .offset:         8
        .size:           8
        .value_kind:     global_buffer
      - .offset:         16
        .size:           8
        .value_kind:     by_value
      - .offset:         24
        .size:           8
        .value_kind:     by_value
      - .offset:         32
        .size:           8
        .value_kind:     by_value
      - .actual_access:  read_only
        .address_space:  global
        .offset:         40
        .size:           8
        .value_kind:     global_buffer
      - .offset:         48
        .size:           8
        .value_kind:     by_value
      - .offset:         56
        .size:           8
        .value_kind:     by_value
      - .offset:         64
        .size:           8
        .value_kind:     by_value
      - .offset:         72
        .size:           4
        .value_kind:     by_value
      - .actual_access:  write_only
        .address_space:  global
        .offset:         80
        .size:           8
        .value_kind:     global_buffer
    .group_segment_fixed_size: 0
    .kernarg_segment_align: 8
    .kernarg_segment_size: 88
    .language:       OpenCL C
    .language_version:
      - 2
      - 0
    .max_flat_workgroup_size: 256
    .name:           _ZL28rocblas_dot_batched_4_kernelIlLi64ELi4ELb1Ef16rocblas_bfloat16PKPKS0_EviT5_lT_lS5_lS6_liPT4_
    .private_segment_fixed_size: 0
    .sgpr_count:     24
    .sgpr_spill_count: 0
    .symbol:         _ZL28rocblas_dot_batched_4_kernelIlLi64ELi4ELb1Ef16rocblas_bfloat16PKPKS0_EviT5_lT_lS5_lS6_liPT4_.kd
    .uniform_work_group_size: 1
    .uses_dynamic_stack: false
    .vgpr_count:     20
    .vgpr_spill_count: 0
    .wavefront_size: 64
  - .agpr_count:     0
    .args:
      - .offset:         0
        .size:           4
        .value_kind:     by_value
      - .actual_access:  read_only
        .address_space:  global
        .offset:         8
        .size:           8
        .value_kind:     global_buffer
      - .offset:         16
        .size:           8
        .value_kind:     by_value
      - .offset:         24
        .size:           8
        .value_kind:     by_value
      - .offset:         32
        .size:           8
        .value_kind:     by_value
      - .actual_access:  read_only
        .address_space:  global
        .offset:         40
        .size:           8
        .value_kind:     global_buffer
      - .offset:         48
        .size:           8
        .value_kind:     by_value
      - .offset:         56
        .size:           8
        .value_kind:     by_value
      - .offset:         64
        .size:           8
        .value_kind:     by_value
      - .offset:         72
        .size:           4
        .value_kind:     by_value
      - .actual_access:  read_only
        .address_space:  global
        .offset:         80
        .size:           8
        .value_kind:     global_buffer
      - .actual_access:  write_only
        .address_space:  global
        .offset:         88
        .size:           8
        .value_kind:     global_buffer
      - .offset:         96
        .size:           4
        .value_kind:     hidden_block_count_x
      - .offset:         100
        .size:           4
        .value_kind:     hidden_block_count_y
      - .offset:         104
        .size:           4
        .value_kind:     hidden_block_count_z
      - .offset:         108
        .size:           2
        .value_kind:     hidden_group_size_x
      - .offset:         110
        .size:           2
        .value_kind:     hidden_group_size_y
      - .offset:         112
        .size:           2
        .value_kind:     hidden_group_size_z
      - .offset:         114
        .size:           2
        .value_kind:     hidden_remainder_x
      - .offset:         116
        .size:           2
        .value_kind:     hidden_remainder_y
      - .offset:         118
        .size:           2
        .value_kind:     hidden_remainder_z
      - .offset:         136
        .size:           8
        .value_kind:     hidden_global_offset_x
      - .offset:         144
        .size:           8
        .value_kind:     hidden_global_offset_y
      - .offset:         152
        .size:           8
        .value_kind:     hidden_global_offset_z
      - .offset:         160
        .size:           2
        .value_kind:     hidden_grid_dims
    .group_segment_fixed_size: 256
    .kernarg_segment_align: 8
    .kernarg_segment_size: 352
    .language:       OpenCL C
    .language_version:
      - 2
      - 0
    .max_flat_workgroup_size: 1024
    .name:           _ZL18rocblas_dot_kernelIlLb1ELi1024ELi32ELb1E16rocblas_bfloat16PKPKS0_fEviT5_lT_lS5_lS6_liPT6_PT4_
    .private_segment_fixed_size: 0
    .sgpr_count:     30
    .sgpr_spill_count: 0
    .symbol:         _ZL18rocblas_dot_kernelIlLb1ELi1024ELi32ELb1E16rocblas_bfloat16PKPKS0_fEviT5_lT_lS5_lS6_liPT6_PT4_.kd
    .uniform_work_group_size: 1
    .uses_dynamic_stack: false
    .vgpr_count:     11
    .vgpr_spill_count: 0
    .wavefront_size: 64
  - .agpr_count:     0
    .args:
      - .offset:         0
        .size:           4
        .value_kind:     by_value
      - .actual_access:  read_only
        .address_space:  global
        .offset:         8
        .size:           8
        .value_kind:     global_buffer
      - .offset:         16
        .size:           8
        .value_kind:     by_value
      - .offset:         24
        .size:           8
        .value_kind:     by_value
      - .offset:         32
        .size:           8
        .value_kind:     by_value
      - .offset:         40
        .size:           4
        .value_kind:     by_value
      - .actual_access:  read_only
        .address_space:  global
        .offset:         48
        .size:           8
        .value_kind:     global_buffer
      - .actual_access:  write_only
        .address_space:  global
        .offset:         56
        .size:           8
        .value_kind:     global_buffer
      - .offset:         64
        .size:           4
        .value_kind:     hidden_block_count_x
      - .offset:         68
        .size:           4
        .value_kind:     hidden_block_count_y
      - .offset:         72
        .size:           4
        .value_kind:     hidden_block_count_z
      - .offset:         76
        .size:           2
        .value_kind:     hidden_group_size_x
      - .offset:         78
        .size:           2
        .value_kind:     hidden_group_size_y
      - .offset:         80
        .size:           2
        .value_kind:     hidden_group_size_z
      - .offset:         82
        .size:           2
        .value_kind:     hidden_remainder_x
      - .offset:         84
        .size:           2
        .value_kind:     hidden_remainder_y
      - .offset:         86
        .size:           2
        .value_kind:     hidden_remainder_z
      - .offset:         104
        .size:           8
        .value_kind:     hidden_global_offset_x
      - .offset:         112
        .size:           8
        .value_kind:     hidden_global_offset_y
      - .offset:         120
        .size:           8
        .value_kind:     hidden_global_offset_z
      - .offset:         128
        .size:           2
        .value_kind:     hidden_grid_dims
    .group_segment_fixed_size: 256
    .kernarg_segment_align: 8
    .kernarg_segment_size: 320
    .language:       OpenCL C
    .language_version:
      - 2
      - 0
    .max_flat_workgroup_size: 1024
    .name:           _ZL24rocblas_dot_kernel_magsqIlLb1ELi1024ELi32ELb1E16rocblas_bfloat16PKPKS0_fEviT5_lT_liPT6_PT4_
    .private_segment_fixed_size: 0
    .sgpr_count:     24
    .sgpr_spill_count: 0
    .symbol:         _ZL24rocblas_dot_kernel_magsqIlLb1ELi1024ELi32ELb1E16rocblas_bfloat16PKPKS0_fEviT5_lT_liPT6_PT4_.kd
    .uniform_work_group_size: 1
    .uses_dynamic_stack: false
    .vgpr_count:     10
    .vgpr_spill_count: 0
    .wavefront_size: 64
  - .agpr_count:     0
    .args:
      - .offset:         0
        .size:           4
        .value_kind:     by_value
      - .actual_access:  read_only
        .address_space:  global
        .offset:         8
        .size:           8
        .value_kind:     global_buffer
      - .offset:         16
        .size:           8
        .value_kind:     by_value
      - .offset:         24
        .size:           8
        .value_kind:     by_value
      - .offset:         32
        .size:           8
        .value_kind:     by_value
      - .actual_access:  read_only
        .address_space:  global
        .offset:         40
        .size:           8
        .value_kind:     global_buffer
      - .offset:         48
        .size:           8
        .value_kind:     by_value
      - .offset:         56
        .size:           8
        .value_kind:     by_value
      - .offset:         64
        .size:           8
        .value_kind:     by_value
      - .offset:         72
        .size:           4
        .value_kind:     by_value
      - .actual_access:  write_only
        .address_space:  global
        .offset:         80
        .size:           8
        .value_kind:     global_buffer
      - .actual_access:  write_only
        .address_space:  global
        .offset:         88
        .size:           8
        .value_kind:     global_buffer
      - .offset:         96
        .size:           4
        .value_kind:     hidden_block_count_x
      - .offset:         100
        .size:           4
        .value_kind:     hidden_block_count_y
      - .offset:         104
        .size:           4
        .value_kind:     hidden_block_count_z
      - .offset:         108
        .size:           2
        .value_kind:     hidden_group_size_x
      - .offset:         110
        .size:           2
        .value_kind:     hidden_group_size_y
      - .offset:         112
        .size:           2
        .value_kind:     hidden_group_size_z
      - .offset:         114
        .size:           2
        .value_kind:     hidden_remainder_x
      - .offset:         116
        .size:           2
        .value_kind:     hidden_remainder_y
      - .offset:         118
        .size:           2
        .value_kind:     hidden_remainder_z
      - .offset:         136
        .size:           8
        .value_kind:     hidden_global_offset_x
      - .offset:         144
        .size:           8
        .value_kind:     hidden_global_offset_y
      - .offset:         152
        .size:           8
        .value_kind:     hidden_global_offset_z
      - .offset:         160
        .size:           2
        .value_kind:     hidden_grid_dims
    .group_segment_fixed_size: 256
    .kernarg_segment_align: 8
    .kernarg_segment_size: 352
    .language:       OpenCL C
    .language_version:
      - 2
      - 0
    .max_flat_workgroup_size: 512
    .name:           _ZL18rocblas_dot_kernelIlLb0ELi512ELi8ELb1E16rocblas_bfloat16PKPKS0_fEviT5_lT_lS5_lS6_liPT6_PT4_
    .private_segment_fixed_size: 0
    .sgpr_count:     30
    .sgpr_spill_count: 0
    .symbol:         _ZL18rocblas_dot_kernelIlLb0ELi512ELi8ELb1E16rocblas_bfloat16PKPKS0_fEviT5_lT_lS5_lS6_liPT6_PT4_.kd
    .uniform_work_group_size: 1
    .uses_dynamic_stack: false
    .vgpr_count:     11
    .vgpr_spill_count: 0
    .wavefront_size: 64
  - .agpr_count:     0
    .args:
      - .offset:         0
        .size:           4
        .value_kind:     by_value
      - .actual_access:  read_only
        .address_space:  global
        .offset:         8
        .size:           8
        .value_kind:     global_buffer
      - .offset:         16
        .size:           8
        .value_kind:     by_value
      - .offset:         24
        .size:           8
        .value_kind:     by_value
      - .offset:         32
        .size:           8
        .value_kind:     by_value
      - .offset:         40
        .size:           4
        .value_kind:     by_value
      - .actual_access:  write_only
        .address_space:  global
        .offset:         48
        .size:           8
        .value_kind:     global_buffer
      - .actual_access:  write_only
        .address_space:  global
        .offset:         56
        .size:           8
        .value_kind:     global_buffer
      - .offset:         64
        .size:           4
        .value_kind:     hidden_block_count_x
      - .offset:         68
        .size:           4
        .value_kind:     hidden_block_count_y
      - .offset:         72
        .size:           4
        .value_kind:     hidden_block_count_z
      - .offset:         76
        .size:           2
        .value_kind:     hidden_group_size_x
      - .offset:         78
        .size:           2
        .value_kind:     hidden_group_size_y
      - .offset:         80
        .size:           2
        .value_kind:     hidden_group_size_z
      - .offset:         82
        .size:           2
        .value_kind:     hidden_remainder_x
      - .offset:         84
        .size:           2
        .value_kind:     hidden_remainder_y
      - .offset:         86
        .size:           2
        .value_kind:     hidden_remainder_z
      - .offset:         104
        .size:           8
        .value_kind:     hidden_global_offset_x
      - .offset:         112
        .size:           8
        .value_kind:     hidden_global_offset_y
      - .offset:         120
        .size:           8
        .value_kind:     hidden_global_offset_z
      - .offset:         128
        .size:           2
        .value_kind:     hidden_grid_dims
    .group_segment_fixed_size: 256
    .kernarg_segment_align: 8
    .kernarg_segment_size: 320
    .language:       OpenCL C
    .language_version:
      - 2
      - 0
    .max_flat_workgroup_size: 512
    .name:           _ZL24rocblas_dot_kernel_magsqIlLb0ELi512ELi8ELb1E16rocblas_bfloat16PKPKS0_fEviT5_lT_liPT6_PT4_
    .private_segment_fixed_size: 0
    .sgpr_count:     28
    .sgpr_spill_count: 0
    .symbol:         _ZL24rocblas_dot_kernel_magsqIlLb0ELi512ELi8ELb1E16rocblas_bfloat16PKPKS0_fEviT5_lT_liPT6_PT4_.kd
    .uniform_work_group_size: 1
    .uses_dynamic_stack: false
    .vgpr_count:     9
    .vgpr_spill_count: 0
    .wavefront_size: 64
  - .agpr_count:     0
    .args:
      - .offset:         0
        .size:           4
        .value_kind:     by_value
      - .actual_access:  read_only
        .address_space:  global
        .offset:         8
        .size:           8
        .value_kind:     global_buffer
      - .offset:         16
        .size:           8
        .value_kind:     by_value
      - .offset:         24
        .size:           4
        .value_kind:     by_value
      - .offset:         32
        .size:           8
        .value_kind:     by_value
      - .actual_access:  read_only
        .address_space:  global
        .offset:         40
        .size:           8
        .value_kind:     global_buffer
      - .offset:         48
        .size:           8
        .value_kind:     by_value
      - .offset:         56
        .size:           4
        .value_kind:     by_value
      - .offset:         64
        .size:           8
        .value_kind:     by_value
      - .offset:         72
        .size:           4
        .value_kind:     by_value
      - .actual_access:  write_only
        .address_space:  global
        .offset:         80
        .size:           8
        .value_kind:     global_buffer
    .group_segment_fixed_size: 0
    .kernarg_segment_align: 8
    .kernarg_segment_size: 88
    .language:       OpenCL C
    .language_version:
      - 2
      - 0
    .max_flat_workgroup_size: 128
    .name:           _ZL28rocblas_dot_batched_4_kernelIiLi32ELi4ELb1EddPKfEviT5_lT_lS2_lS3_liPT4_
    .private_segment_fixed_size: 0
    .sgpr_count:     28
    .sgpr_spill_count: 0
    .symbol:         _ZL28rocblas_dot_batched_4_kernelIiLi32ELi4ELb1EddPKfEviT5_lT_lS2_lS3_liPT4_.kd
    .uniform_work_group_size: 1
    .uses_dynamic_stack: false
    .vgpr_count:     16
    .vgpr_spill_count: 0
    .wavefront_size: 64
  - .agpr_count:     0
    .args:
      - .offset:         0
        .size:           4
        .value_kind:     by_value
      - .actual_access:  read_only
        .address_space:  global
        .offset:         8
        .size:           8
        .value_kind:     global_buffer
      - .offset:         16
        .size:           8
        .value_kind:     by_value
      - .offset:         24
        .size:           4
        .value_kind:     by_value
      - .offset:         32
        .size:           8
        .value_kind:     by_value
      - .actual_access:  read_only
        .address_space:  global
        .offset:         40
        .size:           8
        .value_kind:     global_buffer
      - .offset:         48
        .size:           8
        .value_kind:     by_value
      - .offset:         56
        .size:           4
        .value_kind:     by_value
      - .offset:         64
        .size:           8
        .value_kind:     by_value
      - .offset:         72
        .size:           4
        .value_kind:     by_value
      - .actual_access:  write_only
        .address_space:  global
        .offset:         80
        .size:           8
        .value_kind:     global_buffer
    .group_segment_fixed_size: 0
    .kernarg_segment_align: 8
    .kernarg_segment_size: 88
    .language:       OpenCL C
    .language_version:
      - 2
      - 0
    .max_flat_workgroup_size: 256
    .name:           _ZL28rocblas_dot_batched_4_kernelIiLi64ELi4ELb1EddPKfEviT5_lT_lS2_lS3_liPT4_
    .private_segment_fixed_size: 0
    .sgpr_count:     28
    .sgpr_spill_count: 0
    .symbol:         _ZL28rocblas_dot_batched_4_kernelIiLi64ELi4ELb1EddPKfEviT5_lT_lS2_lS3_liPT4_.kd
    .uniform_work_group_size: 1
    .uses_dynamic_stack: false
    .vgpr_count:     16
    .vgpr_spill_count: 0
    .wavefront_size: 64
  - .agpr_count:     0
    .args:
      - .offset:         0
        .size:           4
        .value_kind:     by_value
      - .actual_access:  read_only
        .address_space:  global
        .offset:         8
        .size:           8
        .value_kind:     global_buffer
      - .offset:         16
        .size:           8
        .value_kind:     by_value
      - .offset:         24
        .size:           8
        .value_kind:     by_value
      - .actual_access:  read_only
        .address_space:  global
        .offset:         32
        .size:           8
        .value_kind:     global_buffer
      - .offset:         40
        .size:           8
        .value_kind:     by_value
      - .offset:         48
        .size:           8
        .value_kind:     by_value
      - .offset:         56
        .size:           4
        .value_kind:     by_value
      - .actual_access:  read_only
        .address_space:  global
        .offset:         64
        .size:           8
        .value_kind:     global_buffer
      - .actual_access:  write_only
        .address_space:  global
        .offset:         72
        .size:           8
        .value_kind:     global_buffer
    .group_segment_fixed_size: 512
    .kernarg_segment_align: 8
    .kernarg_segment_size: 80
    .language:       OpenCL C
    .language_version:
      - 2
      - 0
    .max_flat_workgroup_size: 1024
    .name:           _ZL26rocblas_dot_kernel_inc1by2ILb1ELi1024ELi32ELb1EdPKfdEviT4_llS2_lliPT5_PT3_
    .private_segment_fixed_size: 0
    .sgpr_count:     26
    .sgpr_spill_count: 0
    .symbol:         _ZL26rocblas_dot_kernel_inc1by2ILb1ELi1024ELi32ELb1EdPKfdEviT4_llS2_lliPT5_PT3_.kd
    .uniform_work_group_size: 1
    .uses_dynamic_stack: false
    .vgpr_count:     12
    .vgpr_spill_count: 0
    .wavefront_size: 64
  - .agpr_count:     0
    .args:
      - .offset:         0
        .size:           4
        .value_kind:     by_value
      - .actual_access:  read_only
        .address_space:  global
        .offset:         8
        .size:           8
        .value_kind:     global_buffer
      - .offset:         16
        .size:           8
        .value_kind:     by_value
      - .offset:         24
        .size:           4
        .value_kind:     by_value
      - .offset:         32
        .size:           8
        .value_kind:     by_value
      - .actual_access:  read_only
        .address_space:  global
        .offset:         40
        .size:           8
        .value_kind:     global_buffer
      - .offset:         48
        .size:           8
        .value_kind:     by_value
      - .offset:         56
        .size:           4
        .value_kind:     by_value
      - .offset:         64
        .size:           8
        .value_kind:     by_value
      - .offset:         72
        .size:           4
        .value_kind:     by_value
      - .actual_access:  read_only
        .address_space:  global
        .offset:         80
        .size:           8
        .value_kind:     global_buffer
      - .actual_access:  write_only
        .address_space:  global
        .offset:         88
        .size:           8
        .value_kind:     global_buffer
      - .offset:         96
        .size:           4
        .value_kind:     hidden_block_count_x
      - .offset:         100
        .size:           4
        .value_kind:     hidden_block_count_y
      - .offset:         104
        .size:           4
        .value_kind:     hidden_block_count_z
      - .offset:         108
        .size:           2
        .value_kind:     hidden_group_size_x
      - .offset:         110
        .size:           2
        .value_kind:     hidden_group_size_y
      - .offset:         112
        .size:           2
        .value_kind:     hidden_group_size_z
      - .offset:         114
        .size:           2
        .value_kind:     hidden_remainder_x
      - .offset:         116
        .size:           2
        .value_kind:     hidden_remainder_y
      - .offset:         118
        .size:           2
        .value_kind:     hidden_remainder_z
      - .offset:         136
        .size:           8
        .value_kind:     hidden_global_offset_x
      - .offset:         144
        .size:           8
        .value_kind:     hidden_global_offset_y
      - .offset:         152
        .size:           8
        .value_kind:     hidden_global_offset_z
      - .offset:         160
        .size:           2
        .value_kind:     hidden_grid_dims
    .group_segment_fixed_size: 512
    .kernarg_segment_align: 8
    .kernarg_segment_size: 352
    .language:       OpenCL C
    .language_version:
      - 2
      - 0
    .max_flat_workgroup_size: 1024
    .name:           _ZL18rocblas_dot_kernelIiLb1ELi1024ELi32ELb1EdPKfdEviT5_lT_lS2_lS3_liPT6_PT4_
    .private_segment_fixed_size: 0
    .sgpr_count:     28
    .sgpr_spill_count: 0
    .symbol:         _ZL18rocblas_dot_kernelIiLb1ELi1024ELi32ELb1EdPKfdEviT5_lT_lS2_lS3_liPT6_PT4_.kd
    .uniform_work_group_size: 1
    .uses_dynamic_stack: false
    .vgpr_count:     14
    .vgpr_spill_count: 0
    .wavefront_size: 64
  - .agpr_count:     0
    .args:
      - .offset:         0
        .size:           4
        .value_kind:     by_value
      - .actual_access:  read_only
        .address_space:  global
        .offset:         8
        .size:           8
        .value_kind:     global_buffer
      - .offset:         16
        .size:           8
        .value_kind:     by_value
      - .offset:         24
        .size:           4
        .value_kind:     by_value
      - .offset:         32
        .size:           8
        .value_kind:     by_value
      - .offset:         40
        .size:           4
        .value_kind:     by_value
      - .actual_access:  read_only
        .address_space:  global
        .offset:         48
        .size:           8
        .value_kind:     global_buffer
      - .actual_access:  write_only
        .address_space:  global
        .offset:         56
        .size:           8
        .value_kind:     global_buffer
      - .offset:         64
        .size:           4
        .value_kind:     hidden_block_count_x
      - .offset:         68
        .size:           4
        .value_kind:     hidden_block_count_y
      - .offset:         72
        .size:           4
        .value_kind:     hidden_block_count_z
      - .offset:         76
        .size:           2
        .value_kind:     hidden_group_size_x
      - .offset:         78
        .size:           2
        .value_kind:     hidden_group_size_y
      - .offset:         80
        .size:           2
        .value_kind:     hidden_group_size_z
      - .offset:         82
        .size:           2
        .value_kind:     hidden_remainder_x
      - .offset:         84
        .size:           2
        .value_kind:     hidden_remainder_y
      - .offset:         86
        .size:           2
        .value_kind:     hidden_remainder_z
      - .offset:         104
        .size:           8
        .value_kind:     hidden_global_offset_x
      - .offset:         112
        .size:           8
        .value_kind:     hidden_global_offset_y
      - .offset:         120
        .size:           8
        .value_kind:     hidden_global_offset_z
      - .offset:         128
        .size:           2
        .value_kind:     hidden_grid_dims
    .group_segment_fixed_size: 512
    .kernarg_segment_align: 8
    .kernarg_segment_size: 320
    .language:       OpenCL C
    .language_version:
      - 2
      - 0
    .max_flat_workgroup_size: 1024
    .name:           _ZL24rocblas_dot_kernel_magsqIiLb1ELi1024ELi32ELb1EdPKfdEviT5_lT_liPT6_PT4_
    .private_segment_fixed_size: 0
    .sgpr_count:     24
    .sgpr_spill_count: 0
    .symbol:         _ZL24rocblas_dot_kernel_magsqIiLb1ELi1024ELi32ELb1EdPKfdEviT5_lT_liPT6_PT4_.kd
    .uniform_work_group_size: 1
    .uses_dynamic_stack: false
    .vgpr_count:     12
    .vgpr_spill_count: 0
    .wavefront_size: 64
  - .agpr_count:     0
    .args:
      - .offset:         0
        .size:           4
        .value_kind:     by_value
      - .actual_access:  read_only
        .address_space:  global
        .offset:         8
        .size:           8
        .value_kind:     global_buffer
      - .offset:         16
        .size:           8
        .value_kind:     by_value
      - .offset:         24
        .size:           8
        .value_kind:     by_value
      - .actual_access:  read_only
        .address_space:  global
        .offset:         32
        .size:           8
        .value_kind:     global_buffer
      - .offset:         40
        .size:           8
        .value_kind:     by_value
      - .offset:         48
        .size:           8
        .value_kind:     by_value
      - .offset:         56
        .size:           4
        .value_kind:     by_value
      - .actual_access:  write_only
        .address_space:  global
        .offset:         64
        .size:           8
        .value_kind:     global_buffer
      - .actual_access:  write_only
        .address_space:  global
        .offset:         72
        .size:           8
        .value_kind:     global_buffer
      - .offset:         80
        .size:           4
        .value_kind:     hidden_block_count_x
      - .offset:         84
        .size:           4
        .value_kind:     hidden_block_count_y
      - .offset:         88
        .size:           4
        .value_kind:     hidden_block_count_z
      - .offset:         92
        .size:           2
        .value_kind:     hidden_group_size_x
      - .offset:         94
        .size:           2
        .value_kind:     hidden_group_size_y
      - .offset:         96
        .size:           2
        .value_kind:     hidden_group_size_z
      - .offset:         98
        .size:           2
        .value_kind:     hidden_remainder_x
      - .offset:         100
        .size:           2
        .value_kind:     hidden_remainder_y
      - .offset:         102
        .size:           2
        .value_kind:     hidden_remainder_z
      - .offset:         120
        .size:           8
        .value_kind:     hidden_global_offset_x
      - .offset:         128
        .size:           8
        .value_kind:     hidden_global_offset_y
      - .offset:         136
        .size:           8
        .value_kind:     hidden_global_offset_z
      - .offset:         144
        .size:           2
        .value_kind:     hidden_grid_dims
    .group_segment_fixed_size: 512
    .kernarg_segment_align: 8
    .kernarg_segment_size: 336
    .language:       OpenCL C
    .language_version:
      - 2
      - 0
    .max_flat_workgroup_size: 512
    .name:           _ZL23rocblas_dot_kernel_inc1ILb0ELi512ELi2ELb1EdPKfdEviT4_llS2_lliPT5_PT3_
    .private_segment_fixed_size: 0
    .sgpr_count:     26
    .sgpr_spill_count: 0
    .symbol:         _ZL23rocblas_dot_kernel_inc1ILb0ELi512ELi2ELb1EdPKfdEviT4_llS2_lliPT5_PT3_.kd
    .uniform_work_group_size: 1
    .uses_dynamic_stack: false
    .vgpr_count:     11
    .vgpr_spill_count: 0
    .wavefront_size: 64
  - .agpr_count:     0
    .args:
      - .offset:         0
        .size:           4
        .value_kind:     by_value
      - .actual_access:  read_only
        .address_space:  global
        .offset:         8
        .size:           8
        .value_kind:     global_buffer
      - .offset:         16
        .size:           8
        .value_kind:     by_value
      - .offset:         24
        .size:           4
        .value_kind:     by_value
      - .offset:         32
        .size:           8
        .value_kind:     by_value
      - .actual_access:  read_only
        .address_space:  global
        .offset:         40
        .size:           8
        .value_kind:     global_buffer
      - .offset:         48
        .size:           8
        .value_kind:     by_value
      - .offset:         56
        .size:           4
        .value_kind:     by_value
      - .offset:         64
        .size:           8
        .value_kind:     by_value
      - .offset:         72
        .size:           4
        .value_kind:     by_value
      - .actual_access:  write_only
        .address_space:  global
        .offset:         80
        .size:           8
        .value_kind:     global_buffer
      - .actual_access:  write_only
        .address_space:  global
        .offset:         88
        .size:           8
        .value_kind:     global_buffer
      - .offset:         96
        .size:           4
        .value_kind:     hidden_block_count_x
      - .offset:         100
        .size:           4
        .value_kind:     hidden_block_count_y
      - .offset:         104
        .size:           4
        .value_kind:     hidden_block_count_z
      - .offset:         108
        .size:           2
        .value_kind:     hidden_group_size_x
      - .offset:         110
        .size:           2
        .value_kind:     hidden_group_size_y
      - .offset:         112
        .size:           2
        .value_kind:     hidden_group_size_z
      - .offset:         114
        .size:           2
        .value_kind:     hidden_remainder_x
      - .offset:         116
        .size:           2
        .value_kind:     hidden_remainder_y
      - .offset:         118
        .size:           2
        .value_kind:     hidden_remainder_z
      - .offset:         136
        .size:           8
        .value_kind:     hidden_global_offset_x
      - .offset:         144
        .size:           8
        .value_kind:     hidden_global_offset_y
      - .offset:         152
        .size:           8
        .value_kind:     hidden_global_offset_z
      - .offset:         160
        .size:           2
        .value_kind:     hidden_grid_dims
    .group_segment_fixed_size: 512
    .kernarg_segment_align: 8
    .kernarg_segment_size: 352
    .language:       OpenCL C
    .language_version:
      - 2
      - 0
    .max_flat_workgroup_size: 512
    .name:           _ZL18rocblas_dot_kernelIiLb0ELi512ELi2ELb1EdPKfdEviT5_lT_lS2_lS3_liPT6_PT4_
    .private_segment_fixed_size: 0
    .sgpr_count:     30
    .sgpr_spill_count: 0
    .symbol:         _ZL18rocblas_dot_kernelIiLb0ELi512ELi2ELb1EdPKfdEviT5_lT_lS2_lS3_liPT6_PT4_.kd
    .uniform_work_group_size: 1
    .uses_dynamic_stack: false
    .vgpr_count:     11
    .vgpr_spill_count: 0
    .wavefront_size: 64
  - .agpr_count:     0
    .args:
      - .offset:         0
        .size:           4
        .value_kind:     by_value
      - .actual_access:  read_only
        .address_space:  global
        .offset:         8
        .size:           8
        .value_kind:     global_buffer
      - .offset:         16
        .size:           8
        .value_kind:     by_value
      - .offset:         24
        .size:           4
        .value_kind:     by_value
      - .offset:         32
        .size:           8
        .value_kind:     by_value
      - .offset:         40
        .size:           4
        .value_kind:     by_value
      - .actual_access:  write_only
        .address_space:  global
        .offset:         48
        .size:           8
        .value_kind:     global_buffer
      - .actual_access:  write_only
        .address_space:  global
        .offset:         56
        .size:           8
        .value_kind:     global_buffer
      - .offset:         64
        .size:           4
        .value_kind:     hidden_block_count_x
      - .offset:         68
        .size:           4
        .value_kind:     hidden_block_count_y
      - .offset:         72
        .size:           4
        .value_kind:     hidden_block_count_z
      - .offset:         76
        .size:           2
        .value_kind:     hidden_group_size_x
      - .offset:         78
        .size:           2
        .value_kind:     hidden_group_size_y
      - .offset:         80
        .size:           2
        .value_kind:     hidden_group_size_z
      - .offset:         82
        .size:           2
        .value_kind:     hidden_remainder_x
      - .offset:         84
        .size:           2
        .value_kind:     hidden_remainder_y
      - .offset:         86
        .size:           2
        .value_kind:     hidden_remainder_z
      - .offset:         104
        .size:           8
        .value_kind:     hidden_global_offset_x
      - .offset:         112
        .size:           8
        .value_kind:     hidden_global_offset_y
      - .offset:         120
        .size:           8
        .value_kind:     hidden_global_offset_z
      - .offset:         128
        .size:           2
        .value_kind:     hidden_grid_dims
    .group_segment_fixed_size: 512
    .kernarg_segment_align: 8
    .kernarg_segment_size: 320
    .language:       OpenCL C
    .language_version:
      - 2
      - 0
    .max_flat_workgroup_size: 512
    .name:           _ZL24rocblas_dot_kernel_magsqIiLb0ELi512ELi2ELb1EdPKfdEviT5_lT_liPT6_PT4_
    .private_segment_fixed_size: 0
    .sgpr_count:     21
    .sgpr_spill_count: 0
    .symbol:         _ZL24rocblas_dot_kernel_magsqIiLb0ELi512ELi2ELb1EdPKfdEviT5_lT_liPT6_PT4_.kd
    .uniform_work_group_size: 1
    .uses_dynamic_stack: false
    .vgpr_count:     11
    .vgpr_spill_count: 0
    .wavefront_size: 64
  - .agpr_count:     0
    .args:
      - .offset:         0
        .size:           4
        .value_kind:     by_value
      - .actual_access:  read_only
        .address_space:  global
        .offset:         8
        .size:           8
        .value_kind:     global_buffer
      - .offset:         16
        .size:           8
        .value_kind:     by_value
      - .offset:         24
        .size:           8
        .value_kind:     by_value
      - .offset:         32
        .size:           8
        .value_kind:     by_value
      - .actual_access:  read_only
        .address_space:  global
        .offset:         40
        .size:           8
        .value_kind:     global_buffer
      - .offset:         48
        .size:           8
        .value_kind:     by_value
      - .offset:         56
        .size:           8
        .value_kind:     by_value
      - .offset:         64
        .size:           8
        .value_kind:     by_value
      - .offset:         72
        .size:           4
        .value_kind:     by_value
      - .actual_access:  write_only
        .address_space:  global
        .offset:         80
        .size:           8
        .value_kind:     global_buffer
    .group_segment_fixed_size: 0
    .kernarg_segment_align: 8
    .kernarg_segment_size: 88
    .language:       OpenCL C
    .language_version:
      - 2
      - 0
    .max_flat_workgroup_size: 128
    .name:           _ZL28rocblas_dot_batched_4_kernelIlLi32ELi4ELb1EddPKfEviT5_lT_lS2_lS3_liPT4_
    .private_segment_fixed_size: 0
    .sgpr_count:     28
    .sgpr_spill_count: 0
    .symbol:         _ZL28rocblas_dot_batched_4_kernelIlLi32ELi4ELb1EddPKfEviT5_lT_lS2_lS3_liPT4_.kd
    .uniform_work_group_size: 1
    .uses_dynamic_stack: false
    .vgpr_count:     16
    .vgpr_spill_count: 0
    .wavefront_size: 64
  - .agpr_count:     0
    .args:
      - .offset:         0
        .size:           4
        .value_kind:     by_value
      - .actual_access:  read_only
        .address_space:  global
        .offset:         8
        .size:           8
        .value_kind:     global_buffer
      - .offset:         16
        .size:           8
        .value_kind:     by_value
      - .offset:         24
        .size:           8
        .value_kind:     by_value
      - .offset:         32
        .size:           8
        .value_kind:     by_value
      - .actual_access:  read_only
        .address_space:  global
        .offset:         40
        .size:           8
        .value_kind:     global_buffer
      - .offset:         48
        .size:           8
        .value_kind:     by_value
      - .offset:         56
        .size:           8
        .value_kind:     by_value
      - .offset:         64
        .size:           8
        .value_kind:     by_value
      - .offset:         72
        .size:           4
        .value_kind:     by_value
      - .actual_access:  write_only
        .address_space:  global
        .offset:         80
        .size:           8
        .value_kind:     global_buffer
    .group_segment_fixed_size: 0
    .kernarg_segment_align: 8
    .kernarg_segment_size: 88
    .language:       OpenCL C
    .language_version:
      - 2
      - 0
    .max_flat_workgroup_size: 256
    .name:           _ZL28rocblas_dot_batched_4_kernelIlLi64ELi4ELb1EddPKfEviT5_lT_lS2_lS3_liPT4_
    .private_segment_fixed_size: 0
    .sgpr_count:     28
    .sgpr_spill_count: 0
    .symbol:         _ZL28rocblas_dot_batched_4_kernelIlLi64ELi4ELb1EddPKfEviT5_lT_lS2_lS3_liPT4_.kd
    .uniform_work_group_size: 1
    .uses_dynamic_stack: false
    .vgpr_count:     16
    .vgpr_spill_count: 0
    .wavefront_size: 64
  - .agpr_count:     0
    .args:
      - .offset:         0
        .size:           4
        .value_kind:     by_value
      - .actual_access:  read_only
        .address_space:  global
        .offset:         8
        .size:           8
        .value_kind:     global_buffer
      - .offset:         16
        .size:           8
        .value_kind:     by_value
      - .offset:         24
        .size:           8
        .value_kind:     by_value
      - .offset:         32
        .size:           8
        .value_kind:     by_value
      - .actual_access:  read_only
        .address_space:  global
        .offset:         40
        .size:           8
        .value_kind:     global_buffer
      - .offset:         48
        .size:           8
        .value_kind:     by_value
      - .offset:         56
        .size:           8
        .value_kind:     by_value
      - .offset:         64
        .size:           8
        .value_kind:     by_value
      - .offset:         72
        .size:           4
        .value_kind:     by_value
      - .actual_access:  read_only
        .address_space:  global
        .offset:         80
        .size:           8
        .value_kind:     global_buffer
      - .actual_access:  write_only
        .address_space:  global
        .offset:         88
        .size:           8
        .value_kind:     global_buffer
      - .offset:         96
        .size:           4
        .value_kind:     hidden_block_count_x
      - .offset:         100
        .size:           4
        .value_kind:     hidden_block_count_y
      - .offset:         104
        .size:           4
        .value_kind:     hidden_block_count_z
      - .offset:         108
        .size:           2
        .value_kind:     hidden_group_size_x
      - .offset:         110
        .size:           2
        .value_kind:     hidden_group_size_y
      - .offset:         112
        .size:           2
        .value_kind:     hidden_group_size_z
      - .offset:         114
        .size:           2
        .value_kind:     hidden_remainder_x
      - .offset:         116
        .size:           2
        .value_kind:     hidden_remainder_y
      - .offset:         118
        .size:           2
        .value_kind:     hidden_remainder_z
      - .offset:         136
        .size:           8
        .value_kind:     hidden_global_offset_x
      - .offset:         144
        .size:           8
        .value_kind:     hidden_global_offset_y
      - .offset:         152
        .size:           8
        .value_kind:     hidden_global_offset_z
      - .offset:         160
        .size:           2
        .value_kind:     hidden_grid_dims
    .group_segment_fixed_size: 512
    .kernarg_segment_align: 8
    .kernarg_segment_size: 352
    .language:       OpenCL C
    .language_version:
      - 2
      - 0
    .max_flat_workgroup_size: 1024
    .name:           _ZL18rocblas_dot_kernelIlLb1ELi1024ELi32ELb1EdPKfdEviT5_lT_lS2_lS3_liPT6_PT4_
    .private_segment_fixed_size: 0
    .sgpr_count:     30
    .sgpr_spill_count: 0
    .symbol:         _ZL18rocblas_dot_kernelIlLb1ELi1024ELi32ELb1EdPKfdEviT5_lT_lS2_lS3_liPT6_PT4_.kd
    .uniform_work_group_size: 1
    .uses_dynamic_stack: false
    .vgpr_count:     14
    .vgpr_spill_count: 0
    .wavefront_size: 64
  - .agpr_count:     0
    .args:
      - .offset:         0
        .size:           4
        .value_kind:     by_value
      - .actual_access:  read_only
        .address_space:  global
        .offset:         8
        .size:           8
        .value_kind:     global_buffer
      - .offset:         16
        .size:           8
        .value_kind:     by_value
      - .offset:         24
        .size:           8
        .value_kind:     by_value
      - .offset:         32
        .size:           8
        .value_kind:     by_value
      - .offset:         40
        .size:           4
        .value_kind:     by_value
      - .actual_access:  read_only
        .address_space:  global
        .offset:         48
        .size:           8
        .value_kind:     global_buffer
      - .actual_access:  write_only
        .address_space:  global
        .offset:         56
        .size:           8
        .value_kind:     global_buffer
      - .offset:         64
        .size:           4
        .value_kind:     hidden_block_count_x
      - .offset:         68
        .size:           4
        .value_kind:     hidden_block_count_y
      - .offset:         72
        .size:           4
        .value_kind:     hidden_block_count_z
      - .offset:         76
        .size:           2
        .value_kind:     hidden_group_size_x
      - .offset:         78
        .size:           2
        .value_kind:     hidden_group_size_y
      - .offset:         80
        .size:           2
        .value_kind:     hidden_group_size_z
      - .offset:         82
        .size:           2
        .value_kind:     hidden_remainder_x
      - .offset:         84
        .size:           2
        .value_kind:     hidden_remainder_y
      - .offset:         86
        .size:           2
        .value_kind:     hidden_remainder_z
      - .offset:         104
        .size:           8
        .value_kind:     hidden_global_offset_x
      - .offset:         112
        .size:           8
        .value_kind:     hidden_global_offset_y
      - .offset:         120
        .size:           8
        .value_kind:     hidden_global_offset_z
      - .offset:         128
        .size:           2
        .value_kind:     hidden_grid_dims
    .group_segment_fixed_size: 512
    .kernarg_segment_align: 8
    .kernarg_segment_size: 320
    .language:       OpenCL C
    .language_version:
      - 2
      - 0
    .max_flat_workgroup_size: 1024
    .name:           _ZL24rocblas_dot_kernel_magsqIlLb1ELi1024ELi32ELb1EdPKfdEviT5_lT_liPT6_PT4_
    .private_segment_fixed_size: 0
    .sgpr_count:     24
    .sgpr_spill_count: 0
    .symbol:         _ZL24rocblas_dot_kernel_magsqIlLb1ELi1024ELi32ELb1EdPKfdEviT5_lT_liPT6_PT4_.kd
    .uniform_work_group_size: 1
    .uses_dynamic_stack: false
    .vgpr_count:     12
    .vgpr_spill_count: 0
    .wavefront_size: 64
  - .agpr_count:     0
    .args:
      - .offset:         0
        .size:           4
        .value_kind:     by_value
      - .actual_access:  read_only
        .address_space:  global
        .offset:         8
        .size:           8
        .value_kind:     global_buffer
      - .offset:         16
        .size:           8
        .value_kind:     by_value
      - .offset:         24
        .size:           8
        .value_kind:     by_value
      - .offset:         32
        .size:           8
        .value_kind:     by_value
      - .actual_access:  read_only
        .address_space:  global
        .offset:         40
        .size:           8
        .value_kind:     global_buffer
      - .offset:         48
        .size:           8
        .value_kind:     by_value
      - .offset:         56
        .size:           8
        .value_kind:     by_value
      - .offset:         64
        .size:           8
        .value_kind:     by_value
      - .offset:         72
        .size:           4
        .value_kind:     by_value
      - .actual_access:  write_only
        .address_space:  global
        .offset:         80
        .size:           8
        .value_kind:     global_buffer
      - .actual_access:  write_only
        .address_space:  global
        .offset:         88
        .size:           8
        .value_kind:     global_buffer
      - .offset:         96
        .size:           4
        .value_kind:     hidden_block_count_x
      - .offset:         100
        .size:           4
        .value_kind:     hidden_block_count_y
      - .offset:         104
        .size:           4
        .value_kind:     hidden_block_count_z
      - .offset:         108
        .size:           2
        .value_kind:     hidden_group_size_x
      - .offset:         110
        .size:           2
        .value_kind:     hidden_group_size_y
      - .offset:         112
        .size:           2
        .value_kind:     hidden_group_size_z
      - .offset:         114
        .size:           2
        .value_kind:     hidden_remainder_x
      - .offset:         116
        .size:           2
        .value_kind:     hidden_remainder_y
      - .offset:         118
        .size:           2
        .value_kind:     hidden_remainder_z
      - .offset:         136
        .size:           8
        .value_kind:     hidden_global_offset_x
      - .offset:         144
        .size:           8
        .value_kind:     hidden_global_offset_y
      - .offset:         152
        .size:           8
        .value_kind:     hidden_global_offset_z
      - .offset:         160
        .size:           2
        .value_kind:     hidden_grid_dims
    .group_segment_fixed_size: 512
    .kernarg_segment_align: 8
    .kernarg_segment_size: 352
    .language:       OpenCL C
    .language_version:
      - 2
      - 0
    .max_flat_workgroup_size: 512
    .name:           _ZL18rocblas_dot_kernelIlLb0ELi512ELi2ELb1EdPKfdEviT5_lT_lS2_lS3_liPT6_PT4_
    .private_segment_fixed_size: 0
    .sgpr_count:     30
    .sgpr_spill_count: 0
    .symbol:         _ZL18rocblas_dot_kernelIlLb0ELi512ELi2ELb1EdPKfdEviT5_lT_lS2_lS3_liPT6_PT4_.kd
    .uniform_work_group_size: 1
    .uses_dynamic_stack: false
    .vgpr_count:     11
    .vgpr_spill_count: 0
    .wavefront_size: 64
  - .agpr_count:     0
    .args:
      - .offset:         0
        .size:           4
        .value_kind:     by_value
      - .actual_access:  read_only
        .address_space:  global
        .offset:         8
        .size:           8
        .value_kind:     global_buffer
      - .offset:         16
        .size:           8
        .value_kind:     by_value
      - .offset:         24
        .size:           8
        .value_kind:     by_value
      - .offset:         32
        .size:           8
        .value_kind:     by_value
      - .offset:         40
        .size:           4
        .value_kind:     by_value
      - .actual_access:  write_only
        .address_space:  global
        .offset:         48
        .size:           8
        .value_kind:     global_buffer
      - .actual_access:  write_only
        .address_space:  global
        .offset:         56
        .size:           8
        .value_kind:     global_buffer
      - .offset:         64
        .size:           4
        .value_kind:     hidden_block_count_x
      - .offset:         68
        .size:           4
        .value_kind:     hidden_block_count_y
      - .offset:         72
        .size:           4
        .value_kind:     hidden_block_count_z
      - .offset:         76
        .size:           2
        .value_kind:     hidden_group_size_x
      - .offset:         78
        .size:           2
        .value_kind:     hidden_group_size_y
      - .offset:         80
        .size:           2
        .value_kind:     hidden_group_size_z
      - .offset:         82
        .size:           2
        .value_kind:     hidden_remainder_x
      - .offset:         84
        .size:           2
        .value_kind:     hidden_remainder_y
      - .offset:         86
        .size:           2
        .value_kind:     hidden_remainder_z
      - .offset:         104
        .size:           8
        .value_kind:     hidden_global_offset_x
      - .offset:         112
        .size:           8
        .value_kind:     hidden_global_offset_y
      - .offset:         120
        .size:           8
        .value_kind:     hidden_global_offset_z
      - .offset:         128
        .size:           2
        .value_kind:     hidden_grid_dims
    .group_segment_fixed_size: 512
    .kernarg_segment_align: 8
    .kernarg_segment_size: 320
    .language:       OpenCL C
    .language_version:
      - 2
      - 0
    .max_flat_workgroup_size: 512
    .name:           _ZL24rocblas_dot_kernel_magsqIlLb0ELi512ELi2ELb1EdPKfdEviT5_lT_liPT6_PT4_
    .private_segment_fixed_size: 0
    .sgpr_count:     22
    .sgpr_spill_count: 0
    .symbol:         _ZL24rocblas_dot_kernel_magsqIlLb0ELi512ELi2ELb1EdPKfdEviT5_lT_liPT6_PT4_.kd
    .uniform_work_group_size: 1
    .uses_dynamic_stack: false
    .vgpr_count:     11
    .vgpr_spill_count: 0
    .wavefront_size: 64
  - .agpr_count:     0
    .args:
      - .offset:         0
        .size:           4
        .value_kind:     by_value
      - .actual_access:  read_only
        .address_space:  global
        .offset:         8
        .size:           8
        .value_kind:     global_buffer
      - .offset:         16
        .size:           8
        .value_kind:     by_value
      - .offset:         24
        .size:           4
        .value_kind:     by_value
      - .offset:         32
        .size:           8
        .value_kind:     by_value
      - .actual_access:  read_only
        .address_space:  global
        .offset:         40
        .size:           8
        .value_kind:     global_buffer
      - .offset:         48
        .size:           8
        .value_kind:     by_value
      - .offset:         56
        .size:           4
        .value_kind:     by_value
      - .offset:         64
        .size:           8
        .value_kind:     by_value
      - .offset:         72
        .size:           4
        .value_kind:     by_value
      - .actual_access:  write_only
        .address_space:  global
        .offset:         80
        .size:           8
        .value_kind:     global_buffer
    .group_segment_fixed_size: 0
    .kernarg_segment_align: 8
    .kernarg_segment_size: 88
    .language:       OpenCL C
    .language_version:
      - 2
      - 0
    .max_flat_workgroup_size: 128
    .name:           _ZL28rocblas_dot_batched_4_kernelIiLi32ELi4ELb1EddPKPKfEviT5_lT_lS4_lS5_liPT4_
    .private_segment_fixed_size: 0
    .sgpr_count:     22
    .sgpr_spill_count: 0
    .symbol:         _ZL28rocblas_dot_batched_4_kernelIiLi32ELi4ELb1EddPKPKfEviT5_lT_lS4_lS5_liPT4_.kd
    .uniform_work_group_size: 1
    .uses_dynamic_stack: false
    .vgpr_count:     16
    .vgpr_spill_count: 0
    .wavefront_size: 64
  - .agpr_count:     0
    .args:
      - .offset:         0
        .size:           4
        .value_kind:     by_value
      - .actual_access:  read_only
        .address_space:  global
        .offset:         8
        .size:           8
        .value_kind:     global_buffer
      - .offset:         16
        .size:           8
        .value_kind:     by_value
      - .offset:         24
        .size:           4
        .value_kind:     by_value
      - .offset:         32
        .size:           8
        .value_kind:     by_value
      - .actual_access:  read_only
        .address_space:  global
        .offset:         40
        .size:           8
        .value_kind:     global_buffer
      - .offset:         48
        .size:           8
        .value_kind:     by_value
      - .offset:         56
        .size:           4
        .value_kind:     by_value
      - .offset:         64
        .size:           8
        .value_kind:     by_value
      - .offset:         72
        .size:           4
        .value_kind:     by_value
      - .actual_access:  write_only
        .address_space:  global
        .offset:         80
        .size:           8
        .value_kind:     global_buffer
    .group_segment_fixed_size: 0
    .kernarg_segment_align: 8
    .kernarg_segment_size: 88
    .language:       OpenCL C
    .language_version:
      - 2
      - 0
    .max_flat_workgroup_size: 256
    .name:           _ZL28rocblas_dot_batched_4_kernelIiLi64ELi4ELb1EddPKPKfEviT5_lT_lS4_lS5_liPT4_
    .private_segment_fixed_size: 0
    .sgpr_count:     22
    .sgpr_spill_count: 0
    .symbol:         _ZL28rocblas_dot_batched_4_kernelIiLi64ELi4ELb1EddPKPKfEviT5_lT_lS4_lS5_liPT4_.kd
    .uniform_work_group_size: 1
    .uses_dynamic_stack: false
    .vgpr_count:     16
    .vgpr_spill_count: 0
    .wavefront_size: 64
  - .agpr_count:     0
    .args:
      - .offset:         0
        .size:           4
        .value_kind:     by_value
      - .actual_access:  read_only
        .address_space:  global
        .offset:         8
        .size:           8
        .value_kind:     global_buffer
      - .offset:         16
        .size:           8
        .value_kind:     by_value
      - .offset:         24
        .size:           8
        .value_kind:     by_value
      - .actual_access:  read_only
        .address_space:  global
        .offset:         32
        .size:           8
        .value_kind:     global_buffer
      - .offset:         40
        .size:           8
        .value_kind:     by_value
      - .offset:         48
        .size:           8
        .value_kind:     by_value
      - .offset:         56
        .size:           4
        .value_kind:     by_value
      - .actual_access:  read_only
        .address_space:  global
        .offset:         64
        .size:           8
        .value_kind:     global_buffer
      - .actual_access:  write_only
        .address_space:  global
        .offset:         72
        .size:           8
        .value_kind:     global_buffer
    .group_segment_fixed_size: 512
    .kernarg_segment_align: 8
    .kernarg_segment_size: 80
    .language:       OpenCL C
    .language_version:
      - 2
      - 0
    .max_flat_workgroup_size: 1024
    .name:           _ZL26rocblas_dot_kernel_inc1by2ILb1ELi1024ELi32ELb1EdPKPKfdEviT4_llS4_lliPT5_PT3_
    .private_segment_fixed_size: 0
    .sgpr_count:     24
    .sgpr_spill_count: 0
    .symbol:         _ZL26rocblas_dot_kernel_inc1by2ILb1ELi1024ELi32ELb1EdPKPKfdEviT4_llS4_lliPT5_PT3_.kd
    .uniform_work_group_size: 1
    .uses_dynamic_stack: false
    .vgpr_count:     12
    .vgpr_spill_count: 0
    .wavefront_size: 64
  - .agpr_count:     0
    .args:
      - .offset:         0
        .size:           4
        .value_kind:     by_value
      - .actual_access:  read_only
        .address_space:  global
        .offset:         8
        .size:           8
        .value_kind:     global_buffer
      - .offset:         16
        .size:           8
        .value_kind:     by_value
      - .offset:         24
        .size:           4
        .value_kind:     by_value
      - .offset:         32
        .size:           8
        .value_kind:     by_value
      - .actual_access:  read_only
        .address_space:  global
        .offset:         40
        .size:           8
        .value_kind:     global_buffer
      - .offset:         48
        .size:           8
        .value_kind:     by_value
      - .offset:         56
        .size:           4
        .value_kind:     by_value
      - .offset:         64
        .size:           8
        .value_kind:     by_value
      - .offset:         72
        .size:           4
        .value_kind:     by_value
      - .actual_access:  read_only
        .address_space:  global
        .offset:         80
        .size:           8
        .value_kind:     global_buffer
      - .actual_access:  write_only
        .address_space:  global
        .offset:         88
        .size:           8
        .value_kind:     global_buffer
      - .offset:         96
        .size:           4
        .value_kind:     hidden_block_count_x
      - .offset:         100
        .size:           4
        .value_kind:     hidden_block_count_y
      - .offset:         104
        .size:           4
        .value_kind:     hidden_block_count_z
      - .offset:         108
        .size:           2
        .value_kind:     hidden_group_size_x
      - .offset:         110
        .size:           2
        .value_kind:     hidden_group_size_y
      - .offset:         112
        .size:           2
        .value_kind:     hidden_group_size_z
      - .offset:         114
        .size:           2
        .value_kind:     hidden_remainder_x
      - .offset:         116
        .size:           2
        .value_kind:     hidden_remainder_y
      - .offset:         118
        .size:           2
        .value_kind:     hidden_remainder_z
      - .offset:         136
        .size:           8
        .value_kind:     hidden_global_offset_x
      - .offset:         144
        .size:           8
        .value_kind:     hidden_global_offset_y
      - .offset:         152
        .size:           8
        .value_kind:     hidden_global_offset_z
      - .offset:         160
        .size:           2
        .value_kind:     hidden_grid_dims
    .group_segment_fixed_size: 512
    .kernarg_segment_align: 8
    .kernarg_segment_size: 352
    .language:       OpenCL C
    .language_version:
      - 2
      - 0
    .max_flat_workgroup_size: 1024
    .name:           _ZL18rocblas_dot_kernelIiLb1ELi1024ELi32ELb1EdPKPKfdEviT5_lT_lS4_lS5_liPT6_PT4_
    .private_segment_fixed_size: 0
    .sgpr_count:     29
    .sgpr_spill_count: 0
    .symbol:         _ZL18rocblas_dot_kernelIiLb1ELi1024ELi32ELb1EdPKPKfdEviT5_lT_lS4_lS5_liPT6_PT4_.kd
    .uniform_work_group_size: 1
    .uses_dynamic_stack: false
    .vgpr_count:     14
    .vgpr_spill_count: 0
    .wavefront_size: 64
  - .agpr_count:     0
    .args:
      - .offset:         0
        .size:           4
        .value_kind:     by_value
      - .actual_access:  read_only
        .address_space:  global
        .offset:         8
        .size:           8
        .value_kind:     global_buffer
      - .offset:         16
        .size:           8
        .value_kind:     by_value
      - .offset:         24
        .size:           4
        .value_kind:     by_value
      - .offset:         32
        .size:           8
        .value_kind:     by_value
      - .offset:         40
        .size:           4
        .value_kind:     by_value
      - .actual_access:  read_only
        .address_space:  global
        .offset:         48
        .size:           8
        .value_kind:     global_buffer
      - .actual_access:  write_only
        .address_space:  global
        .offset:         56
        .size:           8
        .value_kind:     global_buffer
      - .offset:         64
        .size:           4
        .value_kind:     hidden_block_count_x
      - .offset:         68
        .size:           4
        .value_kind:     hidden_block_count_y
      - .offset:         72
        .size:           4
        .value_kind:     hidden_block_count_z
      - .offset:         76
        .size:           2
        .value_kind:     hidden_group_size_x
      - .offset:         78
        .size:           2
        .value_kind:     hidden_group_size_y
      - .offset:         80
        .size:           2
        .value_kind:     hidden_group_size_z
      - .offset:         82
        .size:           2
        .value_kind:     hidden_remainder_x
      - .offset:         84
        .size:           2
        .value_kind:     hidden_remainder_y
      - .offset:         86
        .size:           2
        .value_kind:     hidden_remainder_z
      - .offset:         104
        .size:           8
        .value_kind:     hidden_global_offset_x
      - .offset:         112
        .size:           8
        .value_kind:     hidden_global_offset_y
      - .offset:         120
        .size:           8
        .value_kind:     hidden_global_offset_z
      - .offset:         128
        .size:           2
        .value_kind:     hidden_grid_dims
    .group_segment_fixed_size: 512
    .kernarg_segment_align: 8
    .kernarg_segment_size: 320
    .language:       OpenCL C
    .language_version:
      - 2
      - 0
    .max_flat_workgroup_size: 1024
    .name:           _ZL24rocblas_dot_kernel_magsqIiLb1ELi1024ELi32ELb1EdPKPKfdEviT5_lT_liPT6_PT4_
    .private_segment_fixed_size: 0
    .sgpr_count:     24
    .sgpr_spill_count: 0
    .symbol:         _ZL24rocblas_dot_kernel_magsqIiLb1ELi1024ELi32ELb1EdPKPKfdEviT5_lT_liPT6_PT4_.kd
    .uniform_work_group_size: 1
    .uses_dynamic_stack: false
    .vgpr_count:     12
    .vgpr_spill_count: 0
    .wavefront_size: 64
  - .agpr_count:     0
    .args:
      - .offset:         0
        .size:           4
        .value_kind:     by_value
      - .actual_access:  read_only
        .address_space:  global
        .offset:         8
        .size:           8
        .value_kind:     global_buffer
      - .offset:         16
        .size:           8
        .value_kind:     by_value
      - .offset:         24
        .size:           8
        .value_kind:     by_value
      - .actual_access:  read_only
        .address_space:  global
        .offset:         32
        .size:           8
        .value_kind:     global_buffer
      - .offset:         40
        .size:           8
        .value_kind:     by_value
      - .offset:         48
        .size:           8
        .value_kind:     by_value
      - .offset:         56
        .size:           4
        .value_kind:     by_value
      - .actual_access:  write_only
        .address_space:  global
        .offset:         64
        .size:           8
        .value_kind:     global_buffer
      - .actual_access:  write_only
        .address_space:  global
        .offset:         72
        .size:           8
        .value_kind:     global_buffer
      - .offset:         80
        .size:           4
        .value_kind:     hidden_block_count_x
      - .offset:         84
        .size:           4
        .value_kind:     hidden_block_count_y
      - .offset:         88
        .size:           4
        .value_kind:     hidden_block_count_z
      - .offset:         92
        .size:           2
        .value_kind:     hidden_group_size_x
      - .offset:         94
        .size:           2
        .value_kind:     hidden_group_size_y
      - .offset:         96
        .size:           2
        .value_kind:     hidden_group_size_z
      - .offset:         98
        .size:           2
        .value_kind:     hidden_remainder_x
      - .offset:         100
        .size:           2
        .value_kind:     hidden_remainder_y
      - .offset:         102
        .size:           2
        .value_kind:     hidden_remainder_z
      - .offset:         120
        .size:           8
        .value_kind:     hidden_global_offset_x
      - .offset:         128
        .size:           8
        .value_kind:     hidden_global_offset_y
      - .offset:         136
        .size:           8
        .value_kind:     hidden_global_offset_z
      - .offset:         144
        .size:           2
        .value_kind:     hidden_grid_dims
    .group_segment_fixed_size: 512
    .kernarg_segment_align: 8
    .kernarg_segment_size: 336
    .language:       OpenCL C
    .language_version:
      - 2
      - 0
    .max_flat_workgroup_size: 512
    .name:           _ZL23rocblas_dot_kernel_inc1ILb0ELi512ELi2ELb1EdPKPKfdEviT4_llS4_lliPT5_PT3_
    .private_segment_fixed_size: 0
    .sgpr_count:     24
    .sgpr_spill_count: 0
    .symbol:         _ZL23rocblas_dot_kernel_inc1ILb0ELi512ELi2ELb1EdPKPKfdEviT4_llS4_lliPT5_PT3_.kd
    .uniform_work_group_size: 1
    .uses_dynamic_stack: false
    .vgpr_count:     11
    .vgpr_spill_count: 0
    .wavefront_size: 64
  - .agpr_count:     0
    .args:
      - .offset:         0
        .size:           4
        .value_kind:     by_value
      - .actual_access:  read_only
        .address_space:  global
        .offset:         8
        .size:           8
        .value_kind:     global_buffer
      - .offset:         16
        .size:           8
        .value_kind:     by_value
      - .offset:         24
        .size:           4
        .value_kind:     by_value
      - .offset:         32
        .size:           8
        .value_kind:     by_value
      - .actual_access:  read_only
        .address_space:  global
        .offset:         40
        .size:           8
        .value_kind:     global_buffer
      - .offset:         48
        .size:           8
        .value_kind:     by_value
      - .offset:         56
        .size:           4
        .value_kind:     by_value
      - .offset:         64
        .size:           8
        .value_kind:     by_value
      - .offset:         72
        .size:           4
        .value_kind:     by_value
      - .actual_access:  write_only
        .address_space:  global
        .offset:         80
        .size:           8
        .value_kind:     global_buffer
      - .actual_access:  write_only
        .address_space:  global
        .offset:         88
        .size:           8
        .value_kind:     global_buffer
      - .offset:         96
        .size:           4
        .value_kind:     hidden_block_count_x
      - .offset:         100
        .size:           4
        .value_kind:     hidden_block_count_y
      - .offset:         104
        .size:           4
        .value_kind:     hidden_block_count_z
      - .offset:         108
        .size:           2
        .value_kind:     hidden_group_size_x
      - .offset:         110
        .size:           2
        .value_kind:     hidden_group_size_y
      - .offset:         112
        .size:           2
        .value_kind:     hidden_group_size_z
      - .offset:         114
        .size:           2
        .value_kind:     hidden_remainder_x
      - .offset:         116
        .size:           2
        .value_kind:     hidden_remainder_y
      - .offset:         118
        .size:           2
        .value_kind:     hidden_remainder_z
      - .offset:         136
        .size:           8
        .value_kind:     hidden_global_offset_x
      - .offset:         144
        .size:           8
        .value_kind:     hidden_global_offset_y
      - .offset:         152
        .size:           8
        .value_kind:     hidden_global_offset_z
      - .offset:         160
        .size:           2
        .value_kind:     hidden_grid_dims
    .group_segment_fixed_size: 512
    .kernarg_segment_align: 8
    .kernarg_segment_size: 352
    .language:       OpenCL C
    .language_version:
      - 2
      - 0
    .max_flat_workgroup_size: 512
    .name:           _ZL18rocblas_dot_kernelIiLb0ELi512ELi2ELb1EdPKPKfdEviT5_lT_lS4_lS5_liPT6_PT4_
    .private_segment_fixed_size: 0
    .sgpr_count:     30
    .sgpr_spill_count: 0
    .symbol:         _ZL18rocblas_dot_kernelIiLb0ELi512ELi2ELb1EdPKPKfdEviT5_lT_lS4_lS5_liPT6_PT4_.kd
    .uniform_work_group_size: 1
    .uses_dynamic_stack: false
    .vgpr_count:     11
    .vgpr_spill_count: 0
    .wavefront_size: 64
  - .agpr_count:     0
    .args:
      - .offset:         0
        .size:           4
        .value_kind:     by_value
      - .actual_access:  read_only
        .address_space:  global
        .offset:         8
        .size:           8
        .value_kind:     global_buffer
      - .offset:         16
        .size:           8
        .value_kind:     by_value
      - .offset:         24
        .size:           4
        .value_kind:     by_value
      - .offset:         32
        .size:           8
        .value_kind:     by_value
      - .offset:         40
        .size:           4
        .value_kind:     by_value
      - .actual_access:  write_only
        .address_space:  global
        .offset:         48
        .size:           8
        .value_kind:     global_buffer
      - .actual_access:  write_only
        .address_space:  global
        .offset:         56
        .size:           8
        .value_kind:     global_buffer
      - .offset:         64
        .size:           4
        .value_kind:     hidden_block_count_x
      - .offset:         68
        .size:           4
        .value_kind:     hidden_block_count_y
      - .offset:         72
        .size:           4
        .value_kind:     hidden_block_count_z
      - .offset:         76
        .size:           2
        .value_kind:     hidden_group_size_x
      - .offset:         78
        .size:           2
        .value_kind:     hidden_group_size_y
      - .offset:         80
        .size:           2
        .value_kind:     hidden_group_size_z
      - .offset:         82
        .size:           2
        .value_kind:     hidden_remainder_x
      - .offset:         84
        .size:           2
        .value_kind:     hidden_remainder_y
      - .offset:         86
        .size:           2
        .value_kind:     hidden_remainder_z
      - .offset:         104
        .size:           8
        .value_kind:     hidden_global_offset_x
      - .offset:         112
        .size:           8
        .value_kind:     hidden_global_offset_y
      - .offset:         120
        .size:           8
        .value_kind:     hidden_global_offset_z
      - .offset:         128
        .size:           2
        .value_kind:     hidden_grid_dims
    .group_segment_fixed_size: 512
    .kernarg_segment_align: 8
    .kernarg_segment_size: 320
    .language:       OpenCL C
    .language_version:
      - 2
      - 0
    .max_flat_workgroup_size: 512
    .name:           _ZL24rocblas_dot_kernel_magsqIiLb0ELi512ELi2ELb1EdPKPKfdEviT5_lT_liPT6_PT4_
    .private_segment_fixed_size: 0
    .sgpr_count:     20
    .sgpr_spill_count: 0
    .symbol:         _ZL24rocblas_dot_kernel_magsqIiLb0ELi512ELi2ELb1EdPKPKfdEviT5_lT_liPT6_PT4_.kd
    .uniform_work_group_size: 1
    .uses_dynamic_stack: false
    .vgpr_count:     11
    .vgpr_spill_count: 0
    .wavefront_size: 64
  - .agpr_count:     0
    .args:
      - .offset:         0
        .size:           4
        .value_kind:     by_value
      - .actual_access:  read_only
        .address_space:  global
        .offset:         8
        .size:           8
        .value_kind:     global_buffer
      - .offset:         16
        .size:           8
        .value_kind:     by_value
      - .offset:         24
        .size:           8
        .value_kind:     by_value
      - .offset:         32
        .size:           8
        .value_kind:     by_value
      - .actual_access:  read_only
        .address_space:  global
        .offset:         40
        .size:           8
        .value_kind:     global_buffer
      - .offset:         48
        .size:           8
        .value_kind:     by_value
      - .offset:         56
        .size:           8
        .value_kind:     by_value
      - .offset:         64
        .size:           8
        .value_kind:     by_value
      - .offset:         72
        .size:           4
        .value_kind:     by_value
      - .actual_access:  write_only
        .address_space:  global
        .offset:         80
        .size:           8
        .value_kind:     global_buffer
    .group_segment_fixed_size: 0
    .kernarg_segment_align: 8
    .kernarg_segment_size: 88
    .language:       OpenCL C
    .language_version:
      - 2
      - 0
    .max_flat_workgroup_size: 128
    .name:           _ZL28rocblas_dot_batched_4_kernelIlLi32ELi4ELb1EddPKPKfEviT5_lT_lS4_lS5_liPT4_
    .private_segment_fixed_size: 0
    .sgpr_count:     24
    .sgpr_spill_count: 0
    .symbol:         _ZL28rocblas_dot_batched_4_kernelIlLi32ELi4ELb1EddPKPKfEviT5_lT_lS4_lS5_liPT4_.kd
    .uniform_work_group_size: 1
    .uses_dynamic_stack: false
    .vgpr_count:     21
    .vgpr_spill_count: 0
    .wavefront_size: 64
  - .agpr_count:     0
    .args:
      - .offset:         0
        .size:           4
        .value_kind:     by_value
      - .actual_access:  read_only
        .address_space:  global
        .offset:         8
        .size:           8
        .value_kind:     global_buffer
      - .offset:         16
        .size:           8
        .value_kind:     by_value
      - .offset:         24
        .size:           8
        .value_kind:     by_value
      - .offset:         32
        .size:           8
        .value_kind:     by_value
      - .actual_access:  read_only
        .address_space:  global
        .offset:         40
        .size:           8
        .value_kind:     global_buffer
      - .offset:         48
        .size:           8
        .value_kind:     by_value
      - .offset:         56
        .size:           8
        .value_kind:     by_value
      - .offset:         64
        .size:           8
        .value_kind:     by_value
      - .offset:         72
        .size:           4
        .value_kind:     by_value
      - .actual_access:  write_only
        .address_space:  global
        .offset:         80
        .size:           8
        .value_kind:     global_buffer
    .group_segment_fixed_size: 0
    .kernarg_segment_align: 8
    .kernarg_segment_size: 88
    .language:       OpenCL C
    .language_version:
      - 2
      - 0
    .max_flat_workgroup_size: 256
    .name:           _ZL28rocblas_dot_batched_4_kernelIlLi64ELi4ELb1EddPKPKfEviT5_lT_lS4_lS5_liPT4_
    .private_segment_fixed_size: 0
    .sgpr_count:     24
    .sgpr_spill_count: 0
    .symbol:         _ZL28rocblas_dot_batched_4_kernelIlLi64ELi4ELb1EddPKPKfEviT5_lT_lS4_lS5_liPT4_.kd
    .uniform_work_group_size: 1
    .uses_dynamic_stack: false
    .vgpr_count:     21
    .vgpr_spill_count: 0
    .wavefront_size: 64
  - .agpr_count:     0
    .args:
      - .offset:         0
        .size:           4
        .value_kind:     by_value
      - .actual_access:  read_only
        .address_space:  global
        .offset:         8
        .size:           8
        .value_kind:     global_buffer
      - .offset:         16
        .size:           8
        .value_kind:     by_value
      - .offset:         24
        .size:           8
        .value_kind:     by_value
      - .offset:         32
        .size:           8
        .value_kind:     by_value
      - .actual_access:  read_only
        .address_space:  global
        .offset:         40
        .size:           8
        .value_kind:     global_buffer
      - .offset:         48
        .size:           8
        .value_kind:     by_value
      - .offset:         56
        .size:           8
        .value_kind:     by_value
      - .offset:         64
        .size:           8
        .value_kind:     by_value
      - .offset:         72
        .size:           4
        .value_kind:     by_value
      - .actual_access:  read_only
        .address_space:  global
        .offset:         80
        .size:           8
        .value_kind:     global_buffer
      - .actual_access:  write_only
        .address_space:  global
        .offset:         88
        .size:           8
        .value_kind:     global_buffer
      - .offset:         96
        .size:           4
        .value_kind:     hidden_block_count_x
      - .offset:         100
        .size:           4
        .value_kind:     hidden_block_count_y
      - .offset:         104
        .size:           4
        .value_kind:     hidden_block_count_z
      - .offset:         108
        .size:           2
        .value_kind:     hidden_group_size_x
      - .offset:         110
        .size:           2
        .value_kind:     hidden_group_size_y
      - .offset:         112
        .size:           2
        .value_kind:     hidden_group_size_z
      - .offset:         114
        .size:           2
        .value_kind:     hidden_remainder_x
      - .offset:         116
        .size:           2
        .value_kind:     hidden_remainder_y
      - .offset:         118
        .size:           2
        .value_kind:     hidden_remainder_z
      - .offset:         136
        .size:           8
        .value_kind:     hidden_global_offset_x
      - .offset:         144
        .size:           8
        .value_kind:     hidden_global_offset_y
      - .offset:         152
        .size:           8
        .value_kind:     hidden_global_offset_z
      - .offset:         160
        .size:           2
        .value_kind:     hidden_grid_dims
    .group_segment_fixed_size: 512
    .kernarg_segment_align: 8
    .kernarg_segment_size: 352
    .language:       OpenCL C
    .language_version:
      - 2
      - 0
    .max_flat_workgroup_size: 1024
    .name:           _ZL18rocblas_dot_kernelIlLb1ELi1024ELi32ELb1EdPKPKfdEviT5_lT_lS4_lS5_liPT6_PT4_
    .private_segment_fixed_size: 0
    .sgpr_count:     30
    .sgpr_spill_count: 0
    .symbol:         _ZL18rocblas_dot_kernelIlLb1ELi1024ELi32ELb1EdPKPKfdEviT5_lT_lS4_lS5_liPT6_PT4_.kd
    .uniform_work_group_size: 1
    .uses_dynamic_stack: false
    .vgpr_count:     14
    .vgpr_spill_count: 0
    .wavefront_size: 64
  - .agpr_count:     0
    .args:
      - .offset:         0
        .size:           4
        .value_kind:     by_value
      - .actual_access:  read_only
        .address_space:  global
        .offset:         8
        .size:           8
        .value_kind:     global_buffer
      - .offset:         16
        .size:           8
        .value_kind:     by_value
      - .offset:         24
        .size:           8
        .value_kind:     by_value
      - .offset:         32
        .size:           8
        .value_kind:     by_value
      - .offset:         40
        .size:           4
        .value_kind:     by_value
      - .actual_access:  read_only
        .address_space:  global
        .offset:         48
        .size:           8
        .value_kind:     global_buffer
      - .actual_access:  write_only
        .address_space:  global
        .offset:         56
        .size:           8
        .value_kind:     global_buffer
      - .offset:         64
        .size:           4
        .value_kind:     hidden_block_count_x
      - .offset:         68
        .size:           4
        .value_kind:     hidden_block_count_y
      - .offset:         72
        .size:           4
        .value_kind:     hidden_block_count_z
      - .offset:         76
        .size:           2
        .value_kind:     hidden_group_size_x
      - .offset:         78
        .size:           2
        .value_kind:     hidden_group_size_y
      - .offset:         80
        .size:           2
        .value_kind:     hidden_group_size_z
      - .offset:         82
        .size:           2
        .value_kind:     hidden_remainder_x
      - .offset:         84
        .size:           2
        .value_kind:     hidden_remainder_y
      - .offset:         86
        .size:           2
        .value_kind:     hidden_remainder_z
      - .offset:         104
        .size:           8
        .value_kind:     hidden_global_offset_x
      - .offset:         112
        .size:           8
        .value_kind:     hidden_global_offset_y
      - .offset:         120
        .size:           8
        .value_kind:     hidden_global_offset_z
      - .offset:         128
        .size:           2
        .value_kind:     hidden_grid_dims
    .group_segment_fixed_size: 512
    .kernarg_segment_align: 8
    .kernarg_segment_size: 320
    .language:       OpenCL C
    .language_version:
      - 2
      - 0
    .max_flat_workgroup_size: 1024
    .name:           _ZL24rocblas_dot_kernel_magsqIlLb1ELi1024ELi32ELb1EdPKPKfdEviT5_lT_liPT6_PT4_
    .private_segment_fixed_size: 0
    .sgpr_count:     24
    .sgpr_spill_count: 0
    .symbol:         _ZL24rocblas_dot_kernel_magsqIlLb1ELi1024ELi32ELb1EdPKPKfdEviT5_lT_liPT6_PT4_.kd
    .uniform_work_group_size: 1
    .uses_dynamic_stack: false
    .vgpr_count:     12
    .vgpr_spill_count: 0
    .wavefront_size: 64
  - .agpr_count:     0
    .args:
      - .offset:         0
        .size:           4
        .value_kind:     by_value
      - .actual_access:  read_only
        .address_space:  global
        .offset:         8
        .size:           8
        .value_kind:     global_buffer
      - .offset:         16
        .size:           8
        .value_kind:     by_value
      - .offset:         24
        .size:           8
        .value_kind:     by_value
      - .offset:         32
        .size:           8
        .value_kind:     by_value
      - .actual_access:  read_only
        .address_space:  global
        .offset:         40
        .size:           8
        .value_kind:     global_buffer
      - .offset:         48
        .size:           8
        .value_kind:     by_value
      - .offset:         56
        .size:           8
        .value_kind:     by_value
      - .offset:         64
        .size:           8
        .value_kind:     by_value
      - .offset:         72
        .size:           4
        .value_kind:     by_value
      - .actual_access:  write_only
        .address_space:  global
        .offset:         80
        .size:           8
        .value_kind:     global_buffer
      - .actual_access:  write_only
        .address_space:  global
        .offset:         88
        .size:           8
        .value_kind:     global_buffer
      - .offset:         96
        .size:           4
        .value_kind:     hidden_block_count_x
      - .offset:         100
        .size:           4
        .value_kind:     hidden_block_count_y
      - .offset:         104
        .size:           4
        .value_kind:     hidden_block_count_z
      - .offset:         108
        .size:           2
        .value_kind:     hidden_group_size_x
      - .offset:         110
        .size:           2
        .value_kind:     hidden_group_size_y
      - .offset:         112
        .size:           2
        .value_kind:     hidden_group_size_z
      - .offset:         114
        .size:           2
        .value_kind:     hidden_remainder_x
      - .offset:         116
        .size:           2
        .value_kind:     hidden_remainder_y
      - .offset:         118
        .size:           2
        .value_kind:     hidden_remainder_z
      - .offset:         136
        .size:           8
        .value_kind:     hidden_global_offset_x
      - .offset:         144
        .size:           8
        .value_kind:     hidden_global_offset_y
      - .offset:         152
        .size:           8
        .value_kind:     hidden_global_offset_z
      - .offset:         160
        .size:           2
        .value_kind:     hidden_grid_dims
    .group_segment_fixed_size: 512
    .kernarg_segment_align: 8
    .kernarg_segment_size: 352
    .language:       OpenCL C
    .language_version:
      - 2
      - 0
    .max_flat_workgroup_size: 512
    .name:           _ZL18rocblas_dot_kernelIlLb0ELi512ELi2ELb1EdPKPKfdEviT5_lT_lS4_lS5_liPT6_PT4_
    .private_segment_fixed_size: 0
    .sgpr_count:     28
    .sgpr_spill_count: 0
    .symbol:         _ZL18rocblas_dot_kernelIlLb0ELi512ELi2ELb1EdPKPKfdEviT5_lT_lS4_lS5_liPT6_PT4_.kd
    .uniform_work_group_size: 1
    .uses_dynamic_stack: false
    .vgpr_count:     11
    .vgpr_spill_count: 0
    .wavefront_size: 64
  - .agpr_count:     0
    .args:
      - .offset:         0
        .size:           4
        .value_kind:     by_value
      - .actual_access:  read_only
        .address_space:  global
        .offset:         8
        .size:           8
        .value_kind:     global_buffer
      - .offset:         16
        .size:           8
        .value_kind:     by_value
      - .offset:         24
        .size:           8
        .value_kind:     by_value
      - .offset:         32
        .size:           8
        .value_kind:     by_value
      - .offset:         40
        .size:           4
        .value_kind:     by_value
      - .actual_access:  write_only
        .address_space:  global
        .offset:         48
        .size:           8
        .value_kind:     global_buffer
      - .actual_access:  write_only
        .address_space:  global
        .offset:         56
        .size:           8
        .value_kind:     global_buffer
      - .offset:         64
        .size:           4
        .value_kind:     hidden_block_count_x
      - .offset:         68
        .size:           4
        .value_kind:     hidden_block_count_y
      - .offset:         72
        .size:           4
        .value_kind:     hidden_block_count_z
      - .offset:         76
        .size:           2
        .value_kind:     hidden_group_size_x
      - .offset:         78
        .size:           2
        .value_kind:     hidden_group_size_y
      - .offset:         80
        .size:           2
        .value_kind:     hidden_group_size_z
      - .offset:         82
        .size:           2
        .value_kind:     hidden_remainder_x
      - .offset:         84
        .size:           2
        .value_kind:     hidden_remainder_y
      - .offset:         86
        .size:           2
        .value_kind:     hidden_remainder_z
      - .offset:         104
        .size:           8
        .value_kind:     hidden_global_offset_x
      - .offset:         112
        .size:           8
        .value_kind:     hidden_global_offset_y
      - .offset:         120
        .size:           8
        .value_kind:     hidden_global_offset_z
      - .offset:         128
        .size:           2
        .value_kind:     hidden_grid_dims
    .group_segment_fixed_size: 512
    .kernarg_segment_align: 8
    .kernarg_segment_size: 320
    .language:       OpenCL C
    .language_version:
      - 2
      - 0
    .max_flat_workgroup_size: 512
    .name:           _ZL24rocblas_dot_kernel_magsqIlLb0ELi512ELi2ELb1EdPKPKfdEviT5_lT_liPT6_PT4_
    .private_segment_fixed_size: 0
    .sgpr_count:     22
    .sgpr_spill_count: 0
    .symbol:         _ZL24rocblas_dot_kernel_magsqIlLb0ELi512ELi2ELb1EdPKPKfdEviT5_lT_liPT6_PT4_.kd
    .uniform_work_group_size: 1
    .uses_dynamic_stack: false
    .vgpr_count:     11
    .vgpr_spill_count: 0
    .wavefront_size: 64
  - .agpr_count:     0
    .args:
      - .offset:         0
        .size:           4
        .value_kind:     by_value
      - .actual_access:  read_only
        .address_space:  global
        .offset:         8
        .size:           8
        .value_kind:     global_buffer
      - .offset:         16
        .size:           8
        .value_kind:     by_value
      - .offset:         24
        .size:           4
        .value_kind:     by_value
      - .offset:         32
        .size:           8
        .value_kind:     by_value
      - .actual_access:  read_only
        .address_space:  global
        .offset:         40
        .size:           8
        .value_kind:     global_buffer
      - .offset:         48
        .size:           8
        .value_kind:     by_value
      - .offset:         56
        .size:           4
        .value_kind:     by_value
      - .offset:         64
        .size:           8
        .value_kind:     by_value
      - .offset:         72
        .size:           4
        .value_kind:     by_value
      - .actual_access:  write_only
        .address_space:  global
        .offset:         80
        .size:           8
        .value_kind:     global_buffer
    .group_segment_fixed_size: 0
    .kernarg_segment_align: 8
    .kernarg_segment_size: 88
    .language:       OpenCL C
    .language_version:
      - 2
      - 0
    .max_flat_workgroup_size: 128
    .name:           _ZL28rocblas_dot_batched_4_kernelIiLi32ELi4ELb1EffPKfEviT5_lT_lS2_lS3_liPT4_
    .private_segment_fixed_size: 0
    .sgpr_count:     28
    .sgpr_spill_count: 0
    .symbol:         _ZL28rocblas_dot_batched_4_kernelIiLi32ELi4ELb1EffPKfEviT5_lT_lS2_lS3_liPT4_.kd
    .uniform_work_group_size: 1
    .uses_dynamic_stack: false
    .vgpr_count:     13
    .vgpr_spill_count: 0
    .wavefront_size: 64
  - .agpr_count:     0
    .args:
      - .offset:         0
        .size:           4
        .value_kind:     by_value
      - .actual_access:  read_only
        .address_space:  global
        .offset:         8
        .size:           8
        .value_kind:     global_buffer
      - .offset:         16
        .size:           8
        .value_kind:     by_value
      - .offset:         24
        .size:           4
        .value_kind:     by_value
      - .offset:         32
        .size:           8
        .value_kind:     by_value
      - .actual_access:  read_only
        .address_space:  global
        .offset:         40
        .size:           8
        .value_kind:     global_buffer
      - .offset:         48
        .size:           8
        .value_kind:     by_value
      - .offset:         56
        .size:           4
        .value_kind:     by_value
      - .offset:         64
        .size:           8
        .value_kind:     by_value
      - .offset:         72
        .size:           4
        .value_kind:     by_value
      - .actual_access:  write_only
        .address_space:  global
        .offset:         80
        .size:           8
        .value_kind:     global_buffer
    .group_segment_fixed_size: 0
    .kernarg_segment_align: 8
    .kernarg_segment_size: 88
    .language:       OpenCL C
    .language_version:
      - 2
      - 0
    .max_flat_workgroup_size: 256
    .name:           _ZL28rocblas_dot_batched_4_kernelIiLi64ELi4ELb1EffPKfEviT5_lT_lS2_lS3_liPT4_
    .private_segment_fixed_size: 0
    .sgpr_count:     28
    .sgpr_spill_count: 0
    .symbol:         _ZL28rocblas_dot_batched_4_kernelIiLi64ELi4ELb1EffPKfEviT5_lT_lS2_lS3_liPT4_.kd
    .uniform_work_group_size: 1
    .uses_dynamic_stack: false
    .vgpr_count:     13
    .vgpr_spill_count: 0
    .wavefront_size: 64
  - .agpr_count:     0
    .args:
      - .offset:         0
        .size:           4
        .value_kind:     by_value
      - .actual_access:  read_only
        .address_space:  global
        .offset:         8
        .size:           8
        .value_kind:     global_buffer
      - .offset:         16
        .size:           8
        .value_kind:     by_value
      - .offset:         24
        .size:           8
        .value_kind:     by_value
      - .actual_access:  read_only
        .address_space:  global
        .offset:         32
        .size:           8
        .value_kind:     global_buffer
      - .offset:         40
        .size:           8
        .value_kind:     by_value
      - .offset:         48
        .size:           8
        .value_kind:     by_value
      - .offset:         56
        .size:           4
        .value_kind:     by_value
      - .actual_access:  read_only
        .address_space:  global
        .offset:         64
        .size:           8
        .value_kind:     global_buffer
      - .actual_access:  write_only
        .address_space:  global
        .offset:         72
        .size:           8
        .value_kind:     global_buffer
    .group_segment_fixed_size: 256
    .kernarg_segment_align: 8
    .kernarg_segment_size: 80
    .language:       OpenCL C
    .language_version:
      - 2
      - 0
    .max_flat_workgroup_size: 1024
    .name:           _ZL26rocblas_dot_kernel_inc1by2ILb1ELi1024ELi32ELb1EfPKffEviT4_llS2_lliPT5_PT3_
    .private_segment_fixed_size: 0
    .sgpr_count:     32
    .sgpr_spill_count: 0
    .symbol:         _ZL26rocblas_dot_kernel_inc1by2ILb1ELi1024ELi32ELb1EfPKffEviT4_llS2_lliPT5_PT3_.kd
    .uniform_work_group_size: 1
    .uses_dynamic_stack: false
    .vgpr_count:     12
    .vgpr_spill_count: 0
    .wavefront_size: 64
  - .agpr_count:     0
    .args:
      - .offset:         0
        .size:           4
        .value_kind:     by_value
      - .actual_access:  read_only
        .address_space:  global
        .offset:         8
        .size:           8
        .value_kind:     global_buffer
      - .offset:         16
        .size:           8
        .value_kind:     by_value
      - .offset:         24
        .size:           4
        .value_kind:     by_value
      - .offset:         32
        .size:           8
        .value_kind:     by_value
      - .actual_access:  read_only
        .address_space:  global
        .offset:         40
        .size:           8
        .value_kind:     global_buffer
      - .offset:         48
        .size:           8
        .value_kind:     by_value
      - .offset:         56
        .size:           4
        .value_kind:     by_value
      - .offset:         64
        .size:           8
        .value_kind:     by_value
      - .offset:         72
        .size:           4
        .value_kind:     by_value
      - .actual_access:  read_only
        .address_space:  global
        .offset:         80
        .size:           8
        .value_kind:     global_buffer
      - .actual_access:  write_only
        .address_space:  global
        .offset:         88
        .size:           8
        .value_kind:     global_buffer
      - .offset:         96
        .size:           4
        .value_kind:     hidden_block_count_x
      - .offset:         100
        .size:           4
        .value_kind:     hidden_block_count_y
      - .offset:         104
        .size:           4
        .value_kind:     hidden_block_count_z
      - .offset:         108
        .size:           2
        .value_kind:     hidden_group_size_x
      - .offset:         110
        .size:           2
        .value_kind:     hidden_group_size_y
      - .offset:         112
        .size:           2
        .value_kind:     hidden_group_size_z
      - .offset:         114
        .size:           2
        .value_kind:     hidden_remainder_x
      - .offset:         116
        .size:           2
        .value_kind:     hidden_remainder_y
      - .offset:         118
        .size:           2
        .value_kind:     hidden_remainder_z
      - .offset:         136
        .size:           8
        .value_kind:     hidden_global_offset_x
      - .offset:         144
        .size:           8
        .value_kind:     hidden_global_offset_y
      - .offset:         152
        .size:           8
        .value_kind:     hidden_global_offset_z
      - .offset:         160
        .size:           2
        .value_kind:     hidden_grid_dims
    .group_segment_fixed_size: 256
    .kernarg_segment_align: 8
    .kernarg_segment_size: 352
    .language:       OpenCL C
    .language_version:
      - 2
      - 0
    .max_flat_workgroup_size: 1024
    .name:           _ZL18rocblas_dot_kernelIiLb1ELi1024ELi32ELb1EfPKffEviT5_lT_lS2_lS3_liPT6_PT4_
    .private_segment_fixed_size: 0
    .sgpr_count:     28
    .sgpr_spill_count: 0
    .symbol:         _ZL18rocblas_dot_kernelIiLb1ELi1024ELi32ELb1EfPKffEviT5_lT_lS2_lS3_liPT6_PT4_.kd
    .uniform_work_group_size: 1
    .uses_dynamic_stack: false
    .vgpr_count:     11
    .vgpr_spill_count: 0
    .wavefront_size: 64
  - .agpr_count:     0
    .args:
      - .offset:         0
        .size:           4
        .value_kind:     by_value
      - .actual_access:  read_only
        .address_space:  global
        .offset:         8
        .size:           8
        .value_kind:     global_buffer
      - .offset:         16
        .size:           8
        .value_kind:     by_value
      - .offset:         24
        .size:           4
        .value_kind:     by_value
      - .offset:         32
        .size:           8
        .value_kind:     by_value
      - .offset:         40
        .size:           4
        .value_kind:     by_value
      - .actual_access:  read_only
        .address_space:  global
        .offset:         48
        .size:           8
        .value_kind:     global_buffer
      - .actual_access:  write_only
        .address_space:  global
        .offset:         56
        .size:           8
        .value_kind:     global_buffer
      - .offset:         64
        .size:           4
        .value_kind:     hidden_block_count_x
      - .offset:         68
        .size:           4
        .value_kind:     hidden_block_count_y
      - .offset:         72
        .size:           4
        .value_kind:     hidden_block_count_z
      - .offset:         76
        .size:           2
        .value_kind:     hidden_group_size_x
      - .offset:         78
        .size:           2
        .value_kind:     hidden_group_size_y
      - .offset:         80
        .size:           2
        .value_kind:     hidden_group_size_z
      - .offset:         82
        .size:           2
        .value_kind:     hidden_remainder_x
      - .offset:         84
        .size:           2
        .value_kind:     hidden_remainder_y
      - .offset:         86
        .size:           2
        .value_kind:     hidden_remainder_z
      - .offset:         104
        .size:           8
        .value_kind:     hidden_global_offset_x
      - .offset:         112
        .size:           8
        .value_kind:     hidden_global_offset_y
      - .offset:         120
        .size:           8
        .value_kind:     hidden_global_offset_z
      - .offset:         128
        .size:           2
        .value_kind:     hidden_grid_dims
    .group_segment_fixed_size: 256
    .kernarg_segment_align: 8
    .kernarg_segment_size: 320
    .language:       OpenCL C
    .language_version:
      - 2
      - 0
    .max_flat_workgroup_size: 1024
    .name:           _ZL24rocblas_dot_kernel_magsqIiLb1ELi1024ELi32ELb1EfPKffEviT5_lT_liPT6_PT4_
    .private_segment_fixed_size: 0
    .sgpr_count:     24
    .sgpr_spill_count: 0
    .symbol:         _ZL24rocblas_dot_kernel_magsqIiLb1ELi1024ELi32ELb1EfPKffEviT5_lT_liPT6_PT4_.kd
    .uniform_work_group_size: 1
    .uses_dynamic_stack: false
    .vgpr_count:     10
    .vgpr_spill_count: 0
    .wavefront_size: 64
  - .agpr_count:     0
    .args:
      - .offset:         0
        .size:           4
        .value_kind:     by_value
      - .actual_access:  read_only
        .address_space:  global
        .offset:         8
        .size:           8
        .value_kind:     global_buffer
      - .offset:         16
        .size:           8
        .value_kind:     by_value
      - .offset:         24
        .size:           8
        .value_kind:     by_value
      - .actual_access:  read_only
        .address_space:  global
        .offset:         32
        .size:           8
        .value_kind:     global_buffer
      - .offset:         40
        .size:           8
        .value_kind:     by_value
      - .offset:         48
        .size:           8
        .value_kind:     by_value
      - .offset:         56
        .size:           4
        .value_kind:     by_value
      - .actual_access:  write_only
        .address_space:  global
        .offset:         64
        .size:           8
        .value_kind:     global_buffer
      - .actual_access:  write_only
        .address_space:  global
        .offset:         72
        .size:           8
        .value_kind:     global_buffer
      - .offset:         80
        .size:           4
        .value_kind:     hidden_block_count_x
      - .offset:         84
        .size:           4
        .value_kind:     hidden_block_count_y
      - .offset:         88
        .size:           4
        .value_kind:     hidden_block_count_z
      - .offset:         92
        .size:           2
        .value_kind:     hidden_group_size_x
      - .offset:         94
        .size:           2
        .value_kind:     hidden_group_size_y
      - .offset:         96
        .size:           2
        .value_kind:     hidden_group_size_z
      - .offset:         98
        .size:           2
        .value_kind:     hidden_remainder_x
      - .offset:         100
        .size:           2
        .value_kind:     hidden_remainder_y
      - .offset:         102
        .size:           2
        .value_kind:     hidden_remainder_z
      - .offset:         120
        .size:           8
        .value_kind:     hidden_global_offset_x
      - .offset:         128
        .size:           8
        .value_kind:     hidden_global_offset_y
      - .offset:         136
        .size:           8
        .value_kind:     hidden_global_offset_z
      - .offset:         144
        .size:           2
        .value_kind:     hidden_grid_dims
    .group_segment_fixed_size: 256
    .kernarg_segment_align: 8
    .kernarg_segment_size: 336
    .language:       OpenCL C
    .language_version:
      - 2
      - 0
    .max_flat_workgroup_size: 512
    .name:           _ZL23rocblas_dot_kernel_inc1ILb0ELi512ELi4ELb1EfPKffEviT4_llS2_lliPT5_PT3_
    .private_segment_fixed_size: 0
    .sgpr_count:     32
    .sgpr_spill_count: 0
    .symbol:         _ZL23rocblas_dot_kernel_inc1ILb0ELi512ELi4ELb1EfPKffEviT4_llS2_lliPT5_PT3_.kd
    .uniform_work_group_size: 1
    .uses_dynamic_stack: false
    .vgpr_count:     14
    .vgpr_spill_count: 0
    .wavefront_size: 64
  - .agpr_count:     0
    .args:
      - .offset:         0
        .size:           4
        .value_kind:     by_value
      - .actual_access:  read_only
        .address_space:  global
        .offset:         8
        .size:           8
        .value_kind:     global_buffer
      - .offset:         16
        .size:           8
        .value_kind:     by_value
      - .offset:         24
        .size:           4
        .value_kind:     by_value
      - .offset:         32
        .size:           8
        .value_kind:     by_value
      - .actual_access:  read_only
        .address_space:  global
        .offset:         40
        .size:           8
        .value_kind:     global_buffer
      - .offset:         48
        .size:           8
        .value_kind:     by_value
      - .offset:         56
        .size:           4
        .value_kind:     by_value
      - .offset:         64
        .size:           8
        .value_kind:     by_value
      - .offset:         72
        .size:           4
        .value_kind:     by_value
      - .actual_access:  write_only
        .address_space:  global
        .offset:         80
        .size:           8
        .value_kind:     global_buffer
      - .actual_access:  write_only
        .address_space:  global
        .offset:         88
        .size:           8
        .value_kind:     global_buffer
      - .offset:         96
        .size:           4
        .value_kind:     hidden_block_count_x
      - .offset:         100
        .size:           4
        .value_kind:     hidden_block_count_y
      - .offset:         104
        .size:           4
        .value_kind:     hidden_block_count_z
      - .offset:         108
        .size:           2
        .value_kind:     hidden_group_size_x
      - .offset:         110
        .size:           2
        .value_kind:     hidden_group_size_y
      - .offset:         112
        .size:           2
        .value_kind:     hidden_group_size_z
      - .offset:         114
        .size:           2
        .value_kind:     hidden_remainder_x
      - .offset:         116
        .size:           2
        .value_kind:     hidden_remainder_y
      - .offset:         118
        .size:           2
        .value_kind:     hidden_remainder_z
      - .offset:         136
        .size:           8
        .value_kind:     hidden_global_offset_x
      - .offset:         144
        .size:           8
        .value_kind:     hidden_global_offset_y
      - .offset:         152
        .size:           8
        .value_kind:     hidden_global_offset_z
      - .offset:         160
        .size:           2
        .value_kind:     hidden_grid_dims
    .group_segment_fixed_size: 256
    .kernarg_segment_align: 8
    .kernarg_segment_size: 352
    .language:       OpenCL C
    .language_version:
      - 2
      - 0
    .max_flat_workgroup_size: 512
    .name:           _ZL18rocblas_dot_kernelIiLb0ELi512ELi4ELb1EfPKffEviT5_lT_lS2_lS3_liPT6_PT4_
    .private_segment_fixed_size: 0
    .sgpr_count:     32
    .sgpr_spill_count: 0
    .symbol:         _ZL18rocblas_dot_kernelIiLb0ELi512ELi4ELb1EfPKffEviT5_lT_lS2_lS3_liPT6_PT4_.kd
    .uniform_work_group_size: 1
    .uses_dynamic_stack: false
    .vgpr_count:     11
    .vgpr_spill_count: 0
    .wavefront_size: 64
  - .agpr_count:     0
    .args:
      - .offset:         0
        .size:           4
        .value_kind:     by_value
      - .actual_access:  read_only
        .address_space:  global
        .offset:         8
        .size:           8
        .value_kind:     global_buffer
      - .offset:         16
        .size:           8
        .value_kind:     by_value
      - .offset:         24
        .size:           4
        .value_kind:     by_value
      - .offset:         32
        .size:           8
        .value_kind:     by_value
      - .offset:         40
        .size:           4
        .value_kind:     by_value
      - .actual_access:  write_only
        .address_space:  global
        .offset:         48
        .size:           8
        .value_kind:     global_buffer
      - .actual_access:  write_only
        .address_space:  global
        .offset:         56
        .size:           8
        .value_kind:     global_buffer
      - .offset:         64
        .size:           4
        .value_kind:     hidden_block_count_x
      - .offset:         68
        .size:           4
        .value_kind:     hidden_block_count_y
      - .offset:         72
        .size:           4
        .value_kind:     hidden_block_count_z
      - .offset:         76
        .size:           2
        .value_kind:     hidden_group_size_x
      - .offset:         78
        .size:           2
        .value_kind:     hidden_group_size_y
      - .offset:         80
        .size:           2
        .value_kind:     hidden_group_size_z
      - .offset:         82
        .size:           2
        .value_kind:     hidden_remainder_x
      - .offset:         84
        .size:           2
        .value_kind:     hidden_remainder_y
      - .offset:         86
        .size:           2
        .value_kind:     hidden_remainder_z
      - .offset:         104
        .size:           8
        .value_kind:     hidden_global_offset_x
      - .offset:         112
        .size:           8
        .value_kind:     hidden_global_offset_y
      - .offset:         120
        .size:           8
        .value_kind:     hidden_global_offset_z
      - .offset:         128
        .size:           2
        .value_kind:     hidden_grid_dims
    .group_segment_fixed_size: 256
    .kernarg_segment_align: 8
    .kernarg_segment_size: 320
    .language:       OpenCL C
    .language_version:
      - 2
      - 0
    .max_flat_workgroup_size: 512
    .name:           _ZL24rocblas_dot_kernel_magsqIiLb0ELi512ELi4ELb1EfPKffEviT5_lT_liPT6_PT4_
    .private_segment_fixed_size: 0
    .sgpr_count:     28
    .sgpr_spill_count: 0
    .symbol:         _ZL24rocblas_dot_kernel_magsqIiLb0ELi512ELi4ELb1EfPKffEviT5_lT_liPT6_PT4_.kd
    .uniform_work_group_size: 1
    .uses_dynamic_stack: false
    .vgpr_count:     9
    .vgpr_spill_count: 0
    .wavefront_size: 64
  - .agpr_count:     0
    .args:
      - .offset:         0
        .size:           4
        .value_kind:     by_value
      - .actual_access:  read_only
        .address_space:  global
        .offset:         8
        .size:           8
        .value_kind:     global_buffer
      - .offset:         16
        .size:           8
        .value_kind:     by_value
      - .offset:         24
        .size:           8
        .value_kind:     by_value
      - .offset:         32
        .size:           8
        .value_kind:     by_value
      - .actual_access:  read_only
        .address_space:  global
        .offset:         40
        .size:           8
        .value_kind:     global_buffer
      - .offset:         48
        .size:           8
        .value_kind:     by_value
      - .offset:         56
        .size:           8
        .value_kind:     by_value
      - .offset:         64
        .size:           8
        .value_kind:     by_value
      - .offset:         72
        .size:           4
        .value_kind:     by_value
      - .actual_access:  write_only
        .address_space:  global
        .offset:         80
        .size:           8
        .value_kind:     global_buffer
    .group_segment_fixed_size: 0
    .kernarg_segment_align: 8
    .kernarg_segment_size: 88
    .language:       OpenCL C
    .language_version:
      - 2
      - 0
    .max_flat_workgroup_size: 128
    .name:           _ZL28rocblas_dot_batched_4_kernelIlLi32ELi4ELb1EffPKfEviT5_lT_lS2_lS3_liPT4_
    .private_segment_fixed_size: 0
    .sgpr_count:     28
    .sgpr_spill_count: 0
    .symbol:         _ZL28rocblas_dot_batched_4_kernelIlLi32ELi4ELb1EffPKfEviT5_lT_lS2_lS3_liPT4_.kd
    .uniform_work_group_size: 1
    .uses_dynamic_stack: false
    .vgpr_count:     13
    .vgpr_spill_count: 0
    .wavefront_size: 64
  - .agpr_count:     0
    .args:
      - .offset:         0
        .size:           4
        .value_kind:     by_value
      - .actual_access:  read_only
        .address_space:  global
        .offset:         8
        .size:           8
        .value_kind:     global_buffer
      - .offset:         16
        .size:           8
        .value_kind:     by_value
      - .offset:         24
        .size:           8
        .value_kind:     by_value
      - .offset:         32
        .size:           8
        .value_kind:     by_value
      - .actual_access:  read_only
        .address_space:  global
        .offset:         40
        .size:           8
        .value_kind:     global_buffer
      - .offset:         48
        .size:           8
        .value_kind:     by_value
      - .offset:         56
        .size:           8
        .value_kind:     by_value
      - .offset:         64
        .size:           8
        .value_kind:     by_value
      - .offset:         72
        .size:           4
        .value_kind:     by_value
      - .actual_access:  write_only
        .address_space:  global
        .offset:         80
        .size:           8
        .value_kind:     global_buffer
    .group_segment_fixed_size: 0
    .kernarg_segment_align: 8
    .kernarg_segment_size: 88
    .language:       OpenCL C
    .language_version:
      - 2
      - 0
    .max_flat_workgroup_size: 256
    .name:           _ZL28rocblas_dot_batched_4_kernelIlLi64ELi4ELb1EffPKfEviT5_lT_lS2_lS3_liPT4_
    .private_segment_fixed_size: 0
    .sgpr_count:     28
    .sgpr_spill_count: 0
    .symbol:         _ZL28rocblas_dot_batched_4_kernelIlLi64ELi4ELb1EffPKfEviT5_lT_lS2_lS3_liPT4_.kd
    .uniform_work_group_size: 1
    .uses_dynamic_stack: false
    .vgpr_count:     13
    .vgpr_spill_count: 0
    .wavefront_size: 64
  - .agpr_count:     0
    .args:
      - .offset:         0
        .size:           4
        .value_kind:     by_value
      - .actual_access:  read_only
        .address_space:  global
        .offset:         8
        .size:           8
        .value_kind:     global_buffer
      - .offset:         16
        .size:           8
        .value_kind:     by_value
      - .offset:         24
        .size:           8
        .value_kind:     by_value
      - .offset:         32
        .size:           8
        .value_kind:     by_value
      - .actual_access:  read_only
        .address_space:  global
        .offset:         40
        .size:           8
        .value_kind:     global_buffer
      - .offset:         48
        .size:           8
        .value_kind:     by_value
      - .offset:         56
        .size:           8
        .value_kind:     by_value
      - .offset:         64
        .size:           8
        .value_kind:     by_value
      - .offset:         72
        .size:           4
        .value_kind:     by_value
      - .actual_access:  read_only
        .address_space:  global
        .offset:         80
        .size:           8
        .value_kind:     global_buffer
      - .actual_access:  write_only
        .address_space:  global
        .offset:         88
        .size:           8
        .value_kind:     global_buffer
      - .offset:         96
        .size:           4
        .value_kind:     hidden_block_count_x
      - .offset:         100
        .size:           4
        .value_kind:     hidden_block_count_y
      - .offset:         104
        .size:           4
        .value_kind:     hidden_block_count_z
      - .offset:         108
        .size:           2
        .value_kind:     hidden_group_size_x
      - .offset:         110
        .size:           2
        .value_kind:     hidden_group_size_y
      - .offset:         112
        .size:           2
        .value_kind:     hidden_group_size_z
      - .offset:         114
        .size:           2
        .value_kind:     hidden_remainder_x
      - .offset:         116
        .size:           2
        .value_kind:     hidden_remainder_y
      - .offset:         118
        .size:           2
        .value_kind:     hidden_remainder_z
      - .offset:         136
        .size:           8
        .value_kind:     hidden_global_offset_x
      - .offset:         144
        .size:           8
        .value_kind:     hidden_global_offset_y
      - .offset:         152
        .size:           8
        .value_kind:     hidden_global_offset_z
      - .offset:         160
        .size:           2
        .value_kind:     hidden_grid_dims
    .group_segment_fixed_size: 256
    .kernarg_segment_align: 8
    .kernarg_segment_size: 352
    .language:       OpenCL C
    .language_version:
      - 2
      - 0
    .max_flat_workgroup_size: 1024
    .name:           _ZL18rocblas_dot_kernelIlLb1ELi1024ELi32ELb1EfPKffEviT5_lT_lS2_lS3_liPT6_PT4_
    .private_segment_fixed_size: 0
    .sgpr_count:     30
    .sgpr_spill_count: 0
    .symbol:         _ZL18rocblas_dot_kernelIlLb1ELi1024ELi32ELb1EfPKffEviT5_lT_lS2_lS3_liPT6_PT4_.kd
    .uniform_work_group_size: 1
    .uses_dynamic_stack: false
    .vgpr_count:     11
    .vgpr_spill_count: 0
    .wavefront_size: 64
  - .agpr_count:     0
    .args:
      - .offset:         0
        .size:           4
        .value_kind:     by_value
      - .actual_access:  read_only
        .address_space:  global
        .offset:         8
        .size:           8
        .value_kind:     global_buffer
      - .offset:         16
        .size:           8
        .value_kind:     by_value
      - .offset:         24
        .size:           8
        .value_kind:     by_value
      - .offset:         32
        .size:           8
        .value_kind:     by_value
      - .offset:         40
        .size:           4
        .value_kind:     by_value
      - .actual_access:  read_only
        .address_space:  global
        .offset:         48
        .size:           8
        .value_kind:     global_buffer
      - .actual_access:  write_only
        .address_space:  global
        .offset:         56
        .size:           8
        .value_kind:     global_buffer
      - .offset:         64
        .size:           4
        .value_kind:     hidden_block_count_x
      - .offset:         68
        .size:           4
        .value_kind:     hidden_block_count_y
      - .offset:         72
        .size:           4
        .value_kind:     hidden_block_count_z
      - .offset:         76
        .size:           2
        .value_kind:     hidden_group_size_x
      - .offset:         78
        .size:           2
        .value_kind:     hidden_group_size_y
      - .offset:         80
        .size:           2
        .value_kind:     hidden_group_size_z
      - .offset:         82
        .size:           2
        .value_kind:     hidden_remainder_x
      - .offset:         84
        .size:           2
        .value_kind:     hidden_remainder_y
      - .offset:         86
        .size:           2
        .value_kind:     hidden_remainder_z
      - .offset:         104
        .size:           8
        .value_kind:     hidden_global_offset_x
      - .offset:         112
        .size:           8
        .value_kind:     hidden_global_offset_y
      - .offset:         120
        .size:           8
        .value_kind:     hidden_global_offset_z
      - .offset:         128
        .size:           2
        .value_kind:     hidden_grid_dims
    .group_segment_fixed_size: 256
    .kernarg_segment_align: 8
    .kernarg_segment_size: 320
    .language:       OpenCL C
    .language_version:
      - 2
      - 0
    .max_flat_workgroup_size: 1024
    .name:           _ZL24rocblas_dot_kernel_magsqIlLb1ELi1024ELi32ELb1EfPKffEviT5_lT_liPT6_PT4_
    .private_segment_fixed_size: 0
    .sgpr_count:     24
    .sgpr_spill_count: 0
    .symbol:         _ZL24rocblas_dot_kernel_magsqIlLb1ELi1024ELi32ELb1EfPKffEviT5_lT_liPT6_PT4_.kd
    .uniform_work_group_size: 1
    .uses_dynamic_stack: false
    .vgpr_count:     10
    .vgpr_spill_count: 0
    .wavefront_size: 64
  - .agpr_count:     0
    .args:
      - .offset:         0
        .size:           4
        .value_kind:     by_value
      - .actual_access:  read_only
        .address_space:  global
        .offset:         8
        .size:           8
        .value_kind:     global_buffer
      - .offset:         16
        .size:           8
        .value_kind:     by_value
      - .offset:         24
        .size:           8
        .value_kind:     by_value
      - .offset:         32
        .size:           8
        .value_kind:     by_value
      - .actual_access:  read_only
        .address_space:  global
        .offset:         40
        .size:           8
        .value_kind:     global_buffer
      - .offset:         48
        .size:           8
        .value_kind:     by_value
      - .offset:         56
        .size:           8
        .value_kind:     by_value
      - .offset:         64
        .size:           8
        .value_kind:     by_value
      - .offset:         72
        .size:           4
        .value_kind:     by_value
      - .actual_access:  write_only
        .address_space:  global
        .offset:         80
        .size:           8
        .value_kind:     global_buffer
      - .actual_access:  write_only
        .address_space:  global
        .offset:         88
        .size:           8
        .value_kind:     global_buffer
      - .offset:         96
        .size:           4
        .value_kind:     hidden_block_count_x
      - .offset:         100
        .size:           4
        .value_kind:     hidden_block_count_y
      - .offset:         104
        .size:           4
        .value_kind:     hidden_block_count_z
      - .offset:         108
        .size:           2
        .value_kind:     hidden_group_size_x
      - .offset:         110
        .size:           2
        .value_kind:     hidden_group_size_y
      - .offset:         112
        .size:           2
        .value_kind:     hidden_group_size_z
      - .offset:         114
        .size:           2
        .value_kind:     hidden_remainder_x
      - .offset:         116
        .size:           2
        .value_kind:     hidden_remainder_y
      - .offset:         118
        .size:           2
        .value_kind:     hidden_remainder_z
      - .offset:         136
        .size:           8
        .value_kind:     hidden_global_offset_x
      - .offset:         144
        .size:           8
        .value_kind:     hidden_global_offset_y
      - .offset:         152
        .size:           8
        .value_kind:     hidden_global_offset_z
      - .offset:         160
        .size:           2
        .value_kind:     hidden_grid_dims
    .group_segment_fixed_size: 256
    .kernarg_segment_align: 8
    .kernarg_segment_size: 352
    .language:       OpenCL C
    .language_version:
      - 2
      - 0
    .max_flat_workgroup_size: 512
    .name:           _ZL18rocblas_dot_kernelIlLb0ELi512ELi4ELb1EfPKffEviT5_lT_lS2_lS3_liPT6_PT4_
    .private_segment_fixed_size: 0
    .sgpr_count:     34
    .sgpr_spill_count: 0
    .symbol:         _ZL18rocblas_dot_kernelIlLb0ELi512ELi4ELb1EfPKffEviT5_lT_lS2_lS3_liPT6_PT4_.kd
    .uniform_work_group_size: 1
    .uses_dynamic_stack: false
    .vgpr_count:     11
    .vgpr_spill_count: 0
    .wavefront_size: 64
  - .agpr_count:     0
    .args:
      - .offset:         0
        .size:           4
        .value_kind:     by_value
      - .actual_access:  read_only
        .address_space:  global
        .offset:         8
        .size:           8
        .value_kind:     global_buffer
      - .offset:         16
        .size:           8
        .value_kind:     by_value
      - .offset:         24
        .size:           8
        .value_kind:     by_value
      - .offset:         32
        .size:           8
        .value_kind:     by_value
      - .offset:         40
        .size:           4
        .value_kind:     by_value
      - .actual_access:  write_only
        .address_space:  global
        .offset:         48
        .size:           8
        .value_kind:     global_buffer
      - .actual_access:  write_only
        .address_space:  global
        .offset:         56
        .size:           8
        .value_kind:     global_buffer
      - .offset:         64
        .size:           4
        .value_kind:     hidden_block_count_x
      - .offset:         68
        .size:           4
        .value_kind:     hidden_block_count_y
      - .offset:         72
        .size:           4
        .value_kind:     hidden_block_count_z
      - .offset:         76
        .size:           2
        .value_kind:     hidden_group_size_x
      - .offset:         78
        .size:           2
        .value_kind:     hidden_group_size_y
      - .offset:         80
        .size:           2
        .value_kind:     hidden_group_size_z
      - .offset:         82
        .size:           2
        .value_kind:     hidden_remainder_x
      - .offset:         84
        .size:           2
        .value_kind:     hidden_remainder_y
      - .offset:         86
        .size:           2
        .value_kind:     hidden_remainder_z
      - .offset:         104
        .size:           8
        .value_kind:     hidden_global_offset_x
      - .offset:         112
        .size:           8
        .value_kind:     hidden_global_offset_y
      - .offset:         120
        .size:           8
        .value_kind:     hidden_global_offset_z
      - .offset:         128
        .size:           2
        .value_kind:     hidden_grid_dims
    .group_segment_fixed_size: 256
    .kernarg_segment_align: 8
    .kernarg_segment_size: 320
    .language:       OpenCL C
    .language_version:
      - 2
      - 0
    .max_flat_workgroup_size: 512
    .name:           _ZL24rocblas_dot_kernel_magsqIlLb0ELi512ELi4ELb1EfPKffEviT5_lT_liPT6_PT4_
    .private_segment_fixed_size: 0
    .sgpr_count:     28
    .sgpr_spill_count: 0
    .symbol:         _ZL24rocblas_dot_kernel_magsqIlLb0ELi512ELi4ELb1EfPKffEviT5_lT_liPT6_PT4_.kd
    .uniform_work_group_size: 1
    .uses_dynamic_stack: false
    .vgpr_count:     9
    .vgpr_spill_count: 0
    .wavefront_size: 64
  - .agpr_count:     0
    .args:
      - .offset:         0
        .size:           4
        .value_kind:     by_value
      - .actual_access:  read_only
        .address_space:  global
        .offset:         8
        .size:           8
        .value_kind:     global_buffer
      - .offset:         16
        .size:           8
        .value_kind:     by_value
      - .offset:         24
        .size:           4
        .value_kind:     by_value
      - .offset:         32
        .size:           8
        .value_kind:     by_value
      - .actual_access:  read_only
        .address_space:  global
        .offset:         40
        .size:           8
        .value_kind:     global_buffer
      - .offset:         48
        .size:           8
        .value_kind:     by_value
      - .offset:         56
        .size:           4
        .value_kind:     by_value
      - .offset:         64
        .size:           8
        .value_kind:     by_value
      - .offset:         72
        .size:           4
        .value_kind:     by_value
      - .actual_access:  write_only
        .address_space:  global
        .offset:         80
        .size:           8
        .value_kind:     global_buffer
    .group_segment_fixed_size: 0
    .kernarg_segment_align: 8
    .kernarg_segment_size: 88
    .language:       OpenCL C
    .language_version:
      - 2
      - 0
    .max_flat_workgroup_size: 128
    .name:           _ZL28rocblas_dot_batched_4_kernelIiLi32ELi4ELb1EffPKPKfEviT5_lT_lS4_lS5_liPT4_
    .private_segment_fixed_size: 0
    .sgpr_count:     22
    .sgpr_spill_count: 0
    .symbol:         _ZL28rocblas_dot_batched_4_kernelIiLi32ELi4ELb1EffPKPKfEviT5_lT_lS4_lS5_liPT4_.kd
    .uniform_work_group_size: 1
    .uses_dynamic_stack: false
    .vgpr_count:     14
    .vgpr_spill_count: 0
    .wavefront_size: 64
  - .agpr_count:     0
    .args:
      - .offset:         0
        .size:           4
        .value_kind:     by_value
      - .actual_access:  read_only
        .address_space:  global
        .offset:         8
        .size:           8
        .value_kind:     global_buffer
      - .offset:         16
        .size:           8
        .value_kind:     by_value
      - .offset:         24
        .size:           4
        .value_kind:     by_value
      - .offset:         32
        .size:           8
        .value_kind:     by_value
      - .actual_access:  read_only
        .address_space:  global
        .offset:         40
        .size:           8
        .value_kind:     global_buffer
      - .offset:         48
        .size:           8
        .value_kind:     by_value
      - .offset:         56
        .size:           4
        .value_kind:     by_value
      - .offset:         64
        .size:           8
        .value_kind:     by_value
      - .offset:         72
        .size:           4
        .value_kind:     by_value
      - .actual_access:  write_only
        .address_space:  global
        .offset:         80
        .size:           8
        .value_kind:     global_buffer
    .group_segment_fixed_size: 0
    .kernarg_segment_align: 8
    .kernarg_segment_size: 88
    .language:       OpenCL C
    .language_version:
      - 2
      - 0
    .max_flat_workgroup_size: 256
    .name:           _ZL28rocblas_dot_batched_4_kernelIiLi64ELi4ELb1EffPKPKfEviT5_lT_lS4_lS5_liPT4_
    .private_segment_fixed_size: 0
    .sgpr_count:     22
    .sgpr_spill_count: 0
    .symbol:         _ZL28rocblas_dot_batched_4_kernelIiLi64ELi4ELb1EffPKPKfEviT5_lT_lS4_lS5_liPT4_.kd
    .uniform_work_group_size: 1
    .uses_dynamic_stack: false
    .vgpr_count:     14
    .vgpr_spill_count: 0
    .wavefront_size: 64
  - .agpr_count:     0
    .args:
      - .offset:         0
        .size:           4
        .value_kind:     by_value
      - .actual_access:  read_only
        .address_space:  global
        .offset:         8
        .size:           8
        .value_kind:     global_buffer
      - .offset:         16
        .size:           8
        .value_kind:     by_value
      - .offset:         24
        .size:           8
        .value_kind:     by_value
      - .actual_access:  read_only
        .address_space:  global
        .offset:         32
        .size:           8
        .value_kind:     global_buffer
      - .offset:         40
        .size:           8
        .value_kind:     by_value
      - .offset:         48
        .size:           8
        .value_kind:     by_value
      - .offset:         56
        .size:           4
        .value_kind:     by_value
      - .actual_access:  read_only
        .address_space:  global
        .offset:         64
        .size:           8
        .value_kind:     global_buffer
      - .actual_access:  write_only
        .address_space:  global
        .offset:         72
        .size:           8
        .value_kind:     global_buffer
    .group_segment_fixed_size: 256
    .kernarg_segment_align: 8
    .kernarg_segment_size: 80
    .language:       OpenCL C
    .language_version:
      - 2
      - 0
    .max_flat_workgroup_size: 1024
    .name:           _ZL26rocblas_dot_kernel_inc1by2ILb1ELi1024ELi32ELb1EfPKPKffEviT4_llS4_lliPT5_PT3_
    .private_segment_fixed_size: 0
    .sgpr_count:     28
    .sgpr_spill_count: 0
    .symbol:         _ZL26rocblas_dot_kernel_inc1by2ILb1ELi1024ELi32ELb1EfPKPKffEviT4_llS4_lliPT5_PT3_.kd
    .uniform_work_group_size: 1
    .uses_dynamic_stack: false
    .vgpr_count:     12
    .vgpr_spill_count: 0
    .wavefront_size: 64
  - .agpr_count:     0
    .args:
      - .offset:         0
        .size:           4
        .value_kind:     by_value
      - .actual_access:  read_only
        .address_space:  global
        .offset:         8
        .size:           8
        .value_kind:     global_buffer
      - .offset:         16
        .size:           8
        .value_kind:     by_value
      - .offset:         24
        .size:           4
        .value_kind:     by_value
      - .offset:         32
        .size:           8
        .value_kind:     by_value
      - .actual_access:  read_only
        .address_space:  global
        .offset:         40
        .size:           8
        .value_kind:     global_buffer
      - .offset:         48
        .size:           8
        .value_kind:     by_value
      - .offset:         56
        .size:           4
        .value_kind:     by_value
      - .offset:         64
        .size:           8
        .value_kind:     by_value
      - .offset:         72
        .size:           4
        .value_kind:     by_value
      - .actual_access:  read_only
        .address_space:  global
        .offset:         80
        .size:           8
        .value_kind:     global_buffer
      - .actual_access:  write_only
        .address_space:  global
        .offset:         88
        .size:           8
        .value_kind:     global_buffer
      - .offset:         96
        .size:           4
        .value_kind:     hidden_block_count_x
      - .offset:         100
        .size:           4
        .value_kind:     hidden_block_count_y
      - .offset:         104
        .size:           4
        .value_kind:     hidden_block_count_z
      - .offset:         108
        .size:           2
        .value_kind:     hidden_group_size_x
      - .offset:         110
        .size:           2
        .value_kind:     hidden_group_size_y
      - .offset:         112
        .size:           2
        .value_kind:     hidden_group_size_z
      - .offset:         114
        .size:           2
        .value_kind:     hidden_remainder_x
      - .offset:         116
        .size:           2
        .value_kind:     hidden_remainder_y
      - .offset:         118
        .size:           2
        .value_kind:     hidden_remainder_z
      - .offset:         136
        .size:           8
        .value_kind:     hidden_global_offset_x
      - .offset:         144
        .size:           8
        .value_kind:     hidden_global_offset_y
      - .offset:         152
        .size:           8
        .value_kind:     hidden_global_offset_z
      - .offset:         160
        .size:           2
        .value_kind:     hidden_grid_dims
    .group_segment_fixed_size: 256
    .kernarg_segment_align: 8
    .kernarg_segment_size: 352
    .language:       OpenCL C
    .language_version:
      - 2
      - 0
    .max_flat_workgroup_size: 1024
    .name:           _ZL18rocblas_dot_kernelIiLb1ELi1024ELi32ELb1EfPKPKffEviT5_lT_lS4_lS5_liPT6_PT4_
    .private_segment_fixed_size: 0
    .sgpr_count:     29
    .sgpr_spill_count: 0
    .symbol:         _ZL18rocblas_dot_kernelIiLb1ELi1024ELi32ELb1EfPKPKffEviT5_lT_lS4_lS5_liPT6_PT4_.kd
    .uniform_work_group_size: 1
    .uses_dynamic_stack: false
    .vgpr_count:     11
    .vgpr_spill_count: 0
    .wavefront_size: 64
  - .agpr_count:     0
    .args:
      - .offset:         0
        .size:           4
        .value_kind:     by_value
      - .actual_access:  read_only
        .address_space:  global
        .offset:         8
        .size:           8
        .value_kind:     global_buffer
      - .offset:         16
        .size:           8
        .value_kind:     by_value
      - .offset:         24
        .size:           4
        .value_kind:     by_value
      - .offset:         32
        .size:           8
        .value_kind:     by_value
      - .offset:         40
        .size:           4
        .value_kind:     by_value
      - .actual_access:  read_only
        .address_space:  global
        .offset:         48
        .size:           8
        .value_kind:     global_buffer
      - .actual_access:  write_only
        .address_space:  global
        .offset:         56
        .size:           8
        .value_kind:     global_buffer
      - .offset:         64
        .size:           4
        .value_kind:     hidden_block_count_x
      - .offset:         68
        .size:           4
        .value_kind:     hidden_block_count_y
      - .offset:         72
        .size:           4
        .value_kind:     hidden_block_count_z
      - .offset:         76
        .size:           2
        .value_kind:     hidden_group_size_x
      - .offset:         78
        .size:           2
        .value_kind:     hidden_group_size_y
      - .offset:         80
        .size:           2
        .value_kind:     hidden_group_size_z
      - .offset:         82
        .size:           2
        .value_kind:     hidden_remainder_x
      - .offset:         84
        .size:           2
        .value_kind:     hidden_remainder_y
      - .offset:         86
        .size:           2
        .value_kind:     hidden_remainder_z
      - .offset:         104
        .size:           8
        .value_kind:     hidden_global_offset_x
      - .offset:         112
        .size:           8
        .value_kind:     hidden_global_offset_y
      - .offset:         120
        .size:           8
        .value_kind:     hidden_global_offset_z
      - .offset:         128
        .size:           2
        .value_kind:     hidden_grid_dims
    .group_segment_fixed_size: 256
    .kernarg_segment_align: 8
    .kernarg_segment_size: 320
    .language:       OpenCL C
    .language_version:
      - 2
      - 0
    .max_flat_workgroup_size: 1024
    .name:           _ZL24rocblas_dot_kernel_magsqIiLb1ELi1024ELi32ELb1EfPKPKffEviT5_lT_liPT6_PT4_
    .private_segment_fixed_size: 0
    .sgpr_count:     24
    .sgpr_spill_count: 0
    .symbol:         _ZL24rocblas_dot_kernel_magsqIiLb1ELi1024ELi32ELb1EfPKPKffEviT5_lT_liPT6_PT4_.kd
    .uniform_work_group_size: 1
    .uses_dynamic_stack: false
    .vgpr_count:     10
    .vgpr_spill_count: 0
    .wavefront_size: 64
  - .agpr_count:     0
    .args:
      - .offset:         0
        .size:           4
        .value_kind:     by_value
      - .actual_access:  read_only
        .address_space:  global
        .offset:         8
        .size:           8
        .value_kind:     global_buffer
      - .offset:         16
        .size:           8
        .value_kind:     by_value
      - .offset:         24
        .size:           8
        .value_kind:     by_value
      - .actual_access:  read_only
        .address_space:  global
        .offset:         32
        .size:           8
        .value_kind:     global_buffer
      - .offset:         40
        .size:           8
        .value_kind:     by_value
      - .offset:         48
        .size:           8
        .value_kind:     by_value
      - .offset:         56
        .size:           4
        .value_kind:     by_value
      - .actual_access:  write_only
        .address_space:  global
        .offset:         64
        .size:           8
        .value_kind:     global_buffer
      - .actual_access:  write_only
        .address_space:  global
        .offset:         72
        .size:           8
        .value_kind:     global_buffer
      - .offset:         80
        .size:           4
        .value_kind:     hidden_block_count_x
      - .offset:         84
        .size:           4
        .value_kind:     hidden_block_count_y
      - .offset:         88
        .size:           4
        .value_kind:     hidden_block_count_z
      - .offset:         92
        .size:           2
        .value_kind:     hidden_group_size_x
      - .offset:         94
        .size:           2
        .value_kind:     hidden_group_size_y
      - .offset:         96
        .size:           2
        .value_kind:     hidden_group_size_z
      - .offset:         98
        .size:           2
        .value_kind:     hidden_remainder_x
      - .offset:         100
        .size:           2
        .value_kind:     hidden_remainder_y
      - .offset:         102
        .size:           2
        .value_kind:     hidden_remainder_z
      - .offset:         120
        .size:           8
        .value_kind:     hidden_global_offset_x
      - .offset:         128
        .size:           8
        .value_kind:     hidden_global_offset_y
      - .offset:         136
        .size:           8
        .value_kind:     hidden_global_offset_z
      - .offset:         144
        .size:           2
        .value_kind:     hidden_grid_dims
    .group_segment_fixed_size: 256
    .kernarg_segment_align: 8
    .kernarg_segment_size: 336
    .language:       OpenCL C
    .language_version:
      - 2
      - 0
    .max_flat_workgroup_size: 512
    .name:           _ZL23rocblas_dot_kernel_inc1ILb0ELi512ELi4ELb1EfPKPKffEviT4_llS4_lliPT5_PT3_
    .private_segment_fixed_size: 0
    .sgpr_count:     32
    .sgpr_spill_count: 0
    .symbol:         _ZL23rocblas_dot_kernel_inc1ILb0ELi512ELi4ELb1EfPKPKffEviT4_llS4_lliPT5_PT3_.kd
    .uniform_work_group_size: 1
    .uses_dynamic_stack: false
    .vgpr_count:     14
    .vgpr_spill_count: 0
    .wavefront_size: 64
  - .agpr_count:     0
    .args:
      - .offset:         0
        .size:           4
        .value_kind:     by_value
      - .actual_access:  read_only
        .address_space:  global
        .offset:         8
        .size:           8
        .value_kind:     global_buffer
      - .offset:         16
        .size:           8
        .value_kind:     by_value
      - .offset:         24
        .size:           4
        .value_kind:     by_value
      - .offset:         32
        .size:           8
        .value_kind:     by_value
      - .actual_access:  read_only
        .address_space:  global
        .offset:         40
        .size:           8
        .value_kind:     global_buffer
      - .offset:         48
        .size:           8
        .value_kind:     by_value
      - .offset:         56
        .size:           4
        .value_kind:     by_value
      - .offset:         64
        .size:           8
        .value_kind:     by_value
      - .offset:         72
        .size:           4
        .value_kind:     by_value
      - .actual_access:  write_only
        .address_space:  global
        .offset:         80
        .size:           8
        .value_kind:     global_buffer
      - .actual_access:  write_only
        .address_space:  global
        .offset:         88
        .size:           8
        .value_kind:     global_buffer
      - .offset:         96
        .size:           4
        .value_kind:     hidden_block_count_x
      - .offset:         100
        .size:           4
        .value_kind:     hidden_block_count_y
      - .offset:         104
        .size:           4
        .value_kind:     hidden_block_count_z
      - .offset:         108
        .size:           2
        .value_kind:     hidden_group_size_x
      - .offset:         110
        .size:           2
        .value_kind:     hidden_group_size_y
      - .offset:         112
        .size:           2
        .value_kind:     hidden_group_size_z
      - .offset:         114
        .size:           2
        .value_kind:     hidden_remainder_x
      - .offset:         116
        .size:           2
        .value_kind:     hidden_remainder_y
      - .offset:         118
        .size:           2
        .value_kind:     hidden_remainder_z
      - .offset:         136
        .size:           8
        .value_kind:     hidden_global_offset_x
      - .offset:         144
        .size:           8
        .value_kind:     hidden_global_offset_y
      - .offset:         152
        .size:           8
        .value_kind:     hidden_global_offset_z
      - .offset:         160
        .size:           2
        .value_kind:     hidden_grid_dims
    .group_segment_fixed_size: 256
    .kernarg_segment_align: 8
    .kernarg_segment_size: 352
    .language:       OpenCL C
    .language_version:
      - 2
      - 0
    .max_flat_workgroup_size: 512
    .name:           _ZL18rocblas_dot_kernelIiLb0ELi512ELi4ELb1EfPKPKffEviT5_lT_lS4_lS5_liPT6_PT4_
    .private_segment_fixed_size: 0
    .sgpr_count:     32
    .sgpr_spill_count: 0
    .symbol:         _ZL18rocblas_dot_kernelIiLb0ELi512ELi4ELb1EfPKPKffEviT5_lT_lS4_lS5_liPT6_PT4_.kd
    .uniform_work_group_size: 1
    .uses_dynamic_stack: false
    .vgpr_count:     11
    .vgpr_spill_count: 0
    .wavefront_size: 64
  - .agpr_count:     0
    .args:
      - .offset:         0
        .size:           4
        .value_kind:     by_value
      - .actual_access:  read_only
        .address_space:  global
        .offset:         8
        .size:           8
        .value_kind:     global_buffer
      - .offset:         16
        .size:           8
        .value_kind:     by_value
      - .offset:         24
        .size:           4
        .value_kind:     by_value
      - .offset:         32
        .size:           8
        .value_kind:     by_value
      - .offset:         40
        .size:           4
        .value_kind:     by_value
      - .actual_access:  write_only
        .address_space:  global
        .offset:         48
        .size:           8
        .value_kind:     global_buffer
      - .actual_access:  write_only
        .address_space:  global
        .offset:         56
        .size:           8
        .value_kind:     global_buffer
      - .offset:         64
        .size:           4
        .value_kind:     hidden_block_count_x
      - .offset:         68
        .size:           4
        .value_kind:     hidden_block_count_y
      - .offset:         72
        .size:           4
        .value_kind:     hidden_block_count_z
      - .offset:         76
        .size:           2
        .value_kind:     hidden_group_size_x
      - .offset:         78
        .size:           2
        .value_kind:     hidden_group_size_y
      - .offset:         80
        .size:           2
        .value_kind:     hidden_group_size_z
      - .offset:         82
        .size:           2
        .value_kind:     hidden_remainder_x
      - .offset:         84
        .size:           2
        .value_kind:     hidden_remainder_y
      - .offset:         86
        .size:           2
        .value_kind:     hidden_remainder_z
      - .offset:         104
        .size:           8
        .value_kind:     hidden_global_offset_x
      - .offset:         112
        .size:           8
        .value_kind:     hidden_global_offset_y
      - .offset:         120
        .size:           8
        .value_kind:     hidden_global_offset_z
      - .offset:         128
        .size:           2
        .value_kind:     hidden_grid_dims
    .group_segment_fixed_size: 256
    .kernarg_segment_align: 8
    .kernarg_segment_size: 320
    .language:       OpenCL C
    .language_version:
      - 2
      - 0
    .max_flat_workgroup_size: 512
    .name:           _ZL24rocblas_dot_kernel_magsqIiLb0ELi512ELi4ELb1EfPKPKffEviT5_lT_liPT6_PT4_
    .private_segment_fixed_size: 0
    .sgpr_count:     28
    .sgpr_spill_count: 0
    .symbol:         _ZL24rocblas_dot_kernel_magsqIiLb0ELi512ELi4ELb1EfPKPKffEviT5_lT_liPT6_PT4_.kd
    .uniform_work_group_size: 1
    .uses_dynamic_stack: false
    .vgpr_count:     9
    .vgpr_spill_count: 0
    .wavefront_size: 64
  - .agpr_count:     0
    .args:
      - .offset:         0
        .size:           4
        .value_kind:     by_value
      - .actual_access:  read_only
        .address_space:  global
        .offset:         8
        .size:           8
        .value_kind:     global_buffer
      - .offset:         16
        .size:           8
        .value_kind:     by_value
      - .offset:         24
        .size:           8
        .value_kind:     by_value
      - .offset:         32
        .size:           8
        .value_kind:     by_value
      - .actual_access:  read_only
        .address_space:  global
        .offset:         40
        .size:           8
        .value_kind:     global_buffer
      - .offset:         48
        .size:           8
        .value_kind:     by_value
      - .offset:         56
        .size:           8
        .value_kind:     by_value
      - .offset:         64
        .size:           8
        .value_kind:     by_value
      - .offset:         72
        .size:           4
        .value_kind:     by_value
      - .actual_access:  write_only
        .address_space:  global
        .offset:         80
        .size:           8
        .value_kind:     global_buffer
    .group_segment_fixed_size: 0
    .kernarg_segment_align: 8
    .kernarg_segment_size: 88
    .language:       OpenCL C
    .language_version:
      - 2
      - 0
    .max_flat_workgroup_size: 128
    .name:           _ZL28rocblas_dot_batched_4_kernelIlLi32ELi4ELb1EffPKPKfEviT5_lT_lS4_lS5_liPT4_
    .private_segment_fixed_size: 0
    .sgpr_count:     24
    .sgpr_spill_count: 0
    .symbol:         _ZL28rocblas_dot_batched_4_kernelIlLi32ELi4ELb1EffPKPKfEviT5_lT_lS4_lS5_liPT4_.kd
    .uniform_work_group_size: 1
    .uses_dynamic_stack: false
    .vgpr_count:     20
    .vgpr_spill_count: 0
    .wavefront_size: 64
  - .agpr_count:     0
    .args:
      - .offset:         0
        .size:           4
        .value_kind:     by_value
      - .actual_access:  read_only
        .address_space:  global
        .offset:         8
        .size:           8
        .value_kind:     global_buffer
      - .offset:         16
        .size:           8
        .value_kind:     by_value
      - .offset:         24
        .size:           8
        .value_kind:     by_value
      - .offset:         32
        .size:           8
        .value_kind:     by_value
      - .actual_access:  read_only
        .address_space:  global
        .offset:         40
        .size:           8
        .value_kind:     global_buffer
      - .offset:         48
        .size:           8
        .value_kind:     by_value
      - .offset:         56
        .size:           8
        .value_kind:     by_value
      - .offset:         64
        .size:           8
        .value_kind:     by_value
      - .offset:         72
        .size:           4
        .value_kind:     by_value
      - .actual_access:  write_only
        .address_space:  global
        .offset:         80
        .size:           8
        .value_kind:     global_buffer
    .group_segment_fixed_size: 0
    .kernarg_segment_align: 8
    .kernarg_segment_size: 88
    .language:       OpenCL C
    .language_version:
      - 2
      - 0
    .max_flat_workgroup_size: 256
    .name:           _ZL28rocblas_dot_batched_4_kernelIlLi64ELi4ELb1EffPKPKfEviT5_lT_lS4_lS5_liPT4_
    .private_segment_fixed_size: 0
    .sgpr_count:     24
    .sgpr_spill_count: 0
    .symbol:         _ZL28rocblas_dot_batched_4_kernelIlLi64ELi4ELb1EffPKPKfEviT5_lT_lS4_lS5_liPT4_.kd
    .uniform_work_group_size: 1
    .uses_dynamic_stack: false
    .vgpr_count:     20
    .vgpr_spill_count: 0
    .wavefront_size: 64
  - .agpr_count:     0
    .args:
      - .offset:         0
        .size:           4
        .value_kind:     by_value
      - .actual_access:  read_only
        .address_space:  global
        .offset:         8
        .size:           8
        .value_kind:     global_buffer
      - .offset:         16
        .size:           8
        .value_kind:     by_value
      - .offset:         24
        .size:           8
        .value_kind:     by_value
      - .offset:         32
        .size:           8
        .value_kind:     by_value
      - .actual_access:  read_only
        .address_space:  global
        .offset:         40
        .size:           8
        .value_kind:     global_buffer
      - .offset:         48
        .size:           8
        .value_kind:     by_value
      - .offset:         56
        .size:           8
        .value_kind:     by_value
      - .offset:         64
        .size:           8
        .value_kind:     by_value
      - .offset:         72
        .size:           4
        .value_kind:     by_value
      - .actual_access:  read_only
        .address_space:  global
        .offset:         80
        .size:           8
        .value_kind:     global_buffer
      - .actual_access:  write_only
        .address_space:  global
        .offset:         88
        .size:           8
        .value_kind:     global_buffer
      - .offset:         96
        .size:           4
        .value_kind:     hidden_block_count_x
      - .offset:         100
        .size:           4
        .value_kind:     hidden_block_count_y
      - .offset:         104
        .size:           4
        .value_kind:     hidden_block_count_z
      - .offset:         108
        .size:           2
        .value_kind:     hidden_group_size_x
      - .offset:         110
        .size:           2
        .value_kind:     hidden_group_size_y
      - .offset:         112
        .size:           2
        .value_kind:     hidden_group_size_z
      - .offset:         114
        .size:           2
        .value_kind:     hidden_remainder_x
      - .offset:         116
        .size:           2
        .value_kind:     hidden_remainder_y
      - .offset:         118
        .size:           2
        .value_kind:     hidden_remainder_z
      - .offset:         136
        .size:           8
        .value_kind:     hidden_global_offset_x
      - .offset:         144
        .size:           8
        .value_kind:     hidden_global_offset_y
      - .offset:         152
        .size:           8
        .value_kind:     hidden_global_offset_z
      - .offset:         160
        .size:           2
        .value_kind:     hidden_grid_dims
    .group_segment_fixed_size: 256
    .kernarg_segment_align: 8
    .kernarg_segment_size: 352
    .language:       OpenCL C
    .language_version:
      - 2
      - 0
    .max_flat_workgroup_size: 1024
    .name:           _ZL18rocblas_dot_kernelIlLb1ELi1024ELi32ELb1EfPKPKffEviT5_lT_lS4_lS5_liPT6_PT4_
    .private_segment_fixed_size: 0
    .sgpr_count:     30
    .sgpr_spill_count: 0
    .symbol:         _ZL18rocblas_dot_kernelIlLb1ELi1024ELi32ELb1EfPKPKffEviT5_lT_lS4_lS5_liPT6_PT4_.kd
    .uniform_work_group_size: 1
    .uses_dynamic_stack: false
    .vgpr_count:     11
    .vgpr_spill_count: 0
    .wavefront_size: 64
  - .agpr_count:     0
    .args:
      - .offset:         0
        .size:           4
        .value_kind:     by_value
      - .actual_access:  read_only
        .address_space:  global
        .offset:         8
        .size:           8
        .value_kind:     global_buffer
      - .offset:         16
        .size:           8
        .value_kind:     by_value
      - .offset:         24
        .size:           8
        .value_kind:     by_value
      - .offset:         32
        .size:           8
        .value_kind:     by_value
      - .offset:         40
        .size:           4
        .value_kind:     by_value
      - .actual_access:  read_only
        .address_space:  global
        .offset:         48
        .size:           8
        .value_kind:     global_buffer
      - .actual_access:  write_only
        .address_space:  global
        .offset:         56
        .size:           8
        .value_kind:     global_buffer
      - .offset:         64
        .size:           4
        .value_kind:     hidden_block_count_x
      - .offset:         68
        .size:           4
        .value_kind:     hidden_block_count_y
      - .offset:         72
        .size:           4
        .value_kind:     hidden_block_count_z
      - .offset:         76
        .size:           2
        .value_kind:     hidden_group_size_x
      - .offset:         78
        .size:           2
        .value_kind:     hidden_group_size_y
      - .offset:         80
        .size:           2
        .value_kind:     hidden_group_size_z
      - .offset:         82
        .size:           2
        .value_kind:     hidden_remainder_x
      - .offset:         84
        .size:           2
        .value_kind:     hidden_remainder_y
      - .offset:         86
        .size:           2
        .value_kind:     hidden_remainder_z
      - .offset:         104
        .size:           8
        .value_kind:     hidden_global_offset_x
      - .offset:         112
        .size:           8
        .value_kind:     hidden_global_offset_y
      - .offset:         120
        .size:           8
        .value_kind:     hidden_global_offset_z
      - .offset:         128
        .size:           2
        .value_kind:     hidden_grid_dims
    .group_segment_fixed_size: 256
    .kernarg_segment_align: 8
    .kernarg_segment_size: 320
    .language:       OpenCL C
    .language_version:
      - 2
      - 0
    .max_flat_workgroup_size: 1024
    .name:           _ZL24rocblas_dot_kernel_magsqIlLb1ELi1024ELi32ELb1EfPKPKffEviT5_lT_liPT6_PT4_
    .private_segment_fixed_size: 0
    .sgpr_count:     24
    .sgpr_spill_count: 0
    .symbol:         _ZL24rocblas_dot_kernel_magsqIlLb1ELi1024ELi32ELb1EfPKPKffEviT5_lT_liPT6_PT4_.kd
    .uniform_work_group_size: 1
    .uses_dynamic_stack: false
    .vgpr_count:     10
    .vgpr_spill_count: 0
    .wavefront_size: 64
  - .agpr_count:     0
    .args:
      - .offset:         0
        .size:           4
        .value_kind:     by_value
      - .actual_access:  read_only
        .address_space:  global
        .offset:         8
        .size:           8
        .value_kind:     global_buffer
      - .offset:         16
        .size:           8
        .value_kind:     by_value
      - .offset:         24
        .size:           8
        .value_kind:     by_value
      - .offset:         32
        .size:           8
        .value_kind:     by_value
      - .actual_access:  read_only
        .address_space:  global
        .offset:         40
        .size:           8
        .value_kind:     global_buffer
      - .offset:         48
        .size:           8
        .value_kind:     by_value
      - .offset:         56
        .size:           8
        .value_kind:     by_value
      - .offset:         64
        .size:           8
        .value_kind:     by_value
      - .offset:         72
        .size:           4
        .value_kind:     by_value
      - .actual_access:  write_only
        .address_space:  global
        .offset:         80
        .size:           8
        .value_kind:     global_buffer
      - .actual_access:  write_only
        .address_space:  global
        .offset:         88
        .size:           8
        .value_kind:     global_buffer
      - .offset:         96
        .size:           4
        .value_kind:     hidden_block_count_x
      - .offset:         100
        .size:           4
        .value_kind:     hidden_block_count_y
      - .offset:         104
        .size:           4
        .value_kind:     hidden_block_count_z
      - .offset:         108
        .size:           2
        .value_kind:     hidden_group_size_x
      - .offset:         110
        .size:           2
        .value_kind:     hidden_group_size_y
      - .offset:         112
        .size:           2
        .value_kind:     hidden_group_size_z
      - .offset:         114
        .size:           2
        .value_kind:     hidden_remainder_x
      - .offset:         116
        .size:           2
        .value_kind:     hidden_remainder_y
      - .offset:         118
        .size:           2
        .value_kind:     hidden_remainder_z
      - .offset:         136
        .size:           8
        .value_kind:     hidden_global_offset_x
      - .offset:         144
        .size:           8
        .value_kind:     hidden_global_offset_y
      - .offset:         152
        .size:           8
        .value_kind:     hidden_global_offset_z
      - .offset:         160
        .size:           2
        .value_kind:     hidden_grid_dims
    .group_segment_fixed_size: 256
    .kernarg_segment_align: 8
    .kernarg_segment_size: 352
    .language:       OpenCL C
    .language_version:
      - 2
      - 0
    .max_flat_workgroup_size: 512
    .name:           _ZL18rocblas_dot_kernelIlLb0ELi512ELi4ELb1EfPKPKffEviT5_lT_lS4_lS5_liPT6_PT4_
    .private_segment_fixed_size: 0
    .sgpr_count:     30
    .sgpr_spill_count: 0
    .symbol:         _ZL18rocblas_dot_kernelIlLb0ELi512ELi4ELb1EfPKPKffEviT5_lT_lS4_lS5_liPT6_PT4_.kd
    .uniform_work_group_size: 1
    .uses_dynamic_stack: false
    .vgpr_count:     11
    .vgpr_spill_count: 0
    .wavefront_size: 64
  - .agpr_count:     0
    .args:
      - .offset:         0
        .size:           4
        .value_kind:     by_value
      - .actual_access:  read_only
        .address_space:  global
        .offset:         8
        .size:           8
        .value_kind:     global_buffer
      - .offset:         16
        .size:           8
        .value_kind:     by_value
      - .offset:         24
        .size:           8
        .value_kind:     by_value
      - .offset:         32
        .size:           8
        .value_kind:     by_value
      - .offset:         40
        .size:           4
        .value_kind:     by_value
      - .actual_access:  write_only
        .address_space:  global
        .offset:         48
        .size:           8
        .value_kind:     global_buffer
      - .actual_access:  write_only
        .address_space:  global
        .offset:         56
        .size:           8
        .value_kind:     global_buffer
      - .offset:         64
        .size:           4
        .value_kind:     hidden_block_count_x
      - .offset:         68
        .size:           4
        .value_kind:     hidden_block_count_y
      - .offset:         72
        .size:           4
        .value_kind:     hidden_block_count_z
      - .offset:         76
        .size:           2
        .value_kind:     hidden_group_size_x
      - .offset:         78
        .size:           2
        .value_kind:     hidden_group_size_y
      - .offset:         80
        .size:           2
        .value_kind:     hidden_group_size_z
      - .offset:         82
        .size:           2
        .value_kind:     hidden_remainder_x
      - .offset:         84
        .size:           2
        .value_kind:     hidden_remainder_y
      - .offset:         86
        .size:           2
        .value_kind:     hidden_remainder_z
      - .offset:         104
        .size:           8
        .value_kind:     hidden_global_offset_x
      - .offset:         112
        .size:           8
        .value_kind:     hidden_global_offset_y
      - .offset:         120
        .size:           8
        .value_kind:     hidden_global_offset_z
      - .offset:         128
        .size:           2
        .value_kind:     hidden_grid_dims
    .group_segment_fixed_size: 256
    .kernarg_segment_align: 8
    .kernarg_segment_size: 320
    .language:       OpenCL C
    .language_version:
      - 2
      - 0
    .max_flat_workgroup_size: 512
    .name:           _ZL24rocblas_dot_kernel_magsqIlLb0ELi512ELi4ELb1EfPKPKffEviT5_lT_liPT6_PT4_
    .private_segment_fixed_size: 0
    .sgpr_count:     28
    .sgpr_spill_count: 0
    .symbol:         _ZL24rocblas_dot_kernel_magsqIlLb0ELi512ELi4ELb1EfPKPKffEviT5_lT_liPT6_PT4_.kd
    .uniform_work_group_size: 1
    .uses_dynamic_stack: false
    .vgpr_count:     9
    .vgpr_spill_count: 0
    .wavefront_size: 64
  - .agpr_count:     0
    .args:
      - .offset:         0
        .size:           4
        .value_kind:     by_value
      - .actual_access:  read_only
        .address_space:  global
        .offset:         8
        .size:           8
        .value_kind:     global_buffer
      - .offset:         16
        .size:           8
        .value_kind:     by_value
      - .offset:         24
        .size:           4
        .value_kind:     by_value
      - .offset:         32
        .size:           8
        .value_kind:     by_value
      - .actual_access:  read_only
        .address_space:  global
        .offset:         40
        .size:           8
        .value_kind:     global_buffer
      - .offset:         48
        .size:           8
        .value_kind:     by_value
      - .offset:         56
        .size:           4
        .value_kind:     by_value
      - .offset:         64
        .size:           8
        .value_kind:     by_value
      - .offset:         72
        .size:           4
        .value_kind:     by_value
      - .actual_access:  write_only
        .address_space:  global
        .offset:         80
        .size:           8
        .value_kind:     global_buffer
    .group_segment_fixed_size: 0
    .kernarg_segment_align: 8
    .kernarg_segment_size: 88
    .language:       OpenCL C
    .language_version:
      - 2
      - 0
    .max_flat_workgroup_size: 128
    .name:           _ZL28rocblas_dot_batched_4_kernelIiLi32ELi4ELb1EddPKdEviT5_lT_lS2_lS3_liPT4_
    .private_segment_fixed_size: 0
    .sgpr_count:     28
    .sgpr_spill_count: 0
    .symbol:         _ZL28rocblas_dot_batched_4_kernelIiLi32ELi4ELb1EddPKdEviT5_lT_lS2_lS3_liPT4_.kd
    .uniform_work_group_size: 1
    .uses_dynamic_stack: false
    .vgpr_count:     16
    .vgpr_spill_count: 0
    .wavefront_size: 64
  - .agpr_count:     0
    .args:
      - .offset:         0
        .size:           4
        .value_kind:     by_value
      - .actual_access:  read_only
        .address_space:  global
        .offset:         8
        .size:           8
        .value_kind:     global_buffer
      - .offset:         16
        .size:           8
        .value_kind:     by_value
      - .offset:         24
        .size:           4
        .value_kind:     by_value
      - .offset:         32
        .size:           8
        .value_kind:     by_value
      - .actual_access:  read_only
        .address_space:  global
        .offset:         40
        .size:           8
        .value_kind:     global_buffer
      - .offset:         48
        .size:           8
        .value_kind:     by_value
      - .offset:         56
        .size:           4
        .value_kind:     by_value
      - .offset:         64
        .size:           8
        .value_kind:     by_value
      - .offset:         72
        .size:           4
        .value_kind:     by_value
      - .actual_access:  write_only
        .address_space:  global
        .offset:         80
        .size:           8
        .value_kind:     global_buffer
    .group_segment_fixed_size: 0
    .kernarg_segment_align: 8
    .kernarg_segment_size: 88
    .language:       OpenCL C
    .language_version:
      - 2
      - 0
    .max_flat_workgroup_size: 256
    .name:           _ZL28rocblas_dot_batched_4_kernelIiLi64ELi4ELb1EddPKdEviT5_lT_lS2_lS3_liPT4_
    .private_segment_fixed_size: 0
    .sgpr_count:     28
    .sgpr_spill_count: 0
    .symbol:         _ZL28rocblas_dot_batched_4_kernelIiLi64ELi4ELb1EddPKdEviT5_lT_lS2_lS3_liPT4_.kd
    .uniform_work_group_size: 1
    .uses_dynamic_stack: false
    .vgpr_count:     16
    .vgpr_spill_count: 0
    .wavefront_size: 64
  - .agpr_count:     0
    .args:
      - .offset:         0
        .size:           4
        .value_kind:     by_value
      - .actual_access:  read_only
        .address_space:  global
        .offset:         8
        .size:           8
        .value_kind:     global_buffer
      - .offset:         16
        .size:           8
        .value_kind:     by_value
      - .offset:         24
        .size:           8
        .value_kind:     by_value
      - .actual_access:  read_only
        .address_space:  global
        .offset:         32
        .size:           8
        .value_kind:     global_buffer
      - .offset:         40
        .size:           8
        .value_kind:     by_value
      - .offset:         48
        .size:           8
        .value_kind:     by_value
      - .offset:         56
        .size:           4
        .value_kind:     by_value
      - .actual_access:  read_only
        .address_space:  global
        .offset:         64
        .size:           8
        .value_kind:     global_buffer
      - .actual_access:  write_only
        .address_space:  global
        .offset:         72
        .size:           8
        .value_kind:     global_buffer
    .group_segment_fixed_size: 512
    .kernarg_segment_align: 8
    .kernarg_segment_size: 80
    .language:       OpenCL C
    .language_version:
      - 2
      - 0
    .max_flat_workgroup_size: 1024
    .name:           _ZL26rocblas_dot_kernel_inc1by2ILb1ELi1024ELi32ELb1EdPKddEviT4_llS2_lliPT5_PT3_
    .private_segment_fixed_size: 0
    .sgpr_count:     26
    .sgpr_spill_count: 0
    .symbol:         _ZL26rocblas_dot_kernel_inc1by2ILb1ELi1024ELi32ELb1EdPKddEviT4_llS2_lliPT5_PT3_.kd
    .uniform_work_group_size: 1
    .uses_dynamic_stack: false
    .vgpr_count:     12
    .vgpr_spill_count: 0
    .wavefront_size: 64
  - .agpr_count:     0
    .args:
      - .offset:         0
        .size:           4
        .value_kind:     by_value
      - .actual_access:  read_only
        .address_space:  global
        .offset:         8
        .size:           8
        .value_kind:     global_buffer
      - .offset:         16
        .size:           8
        .value_kind:     by_value
      - .offset:         24
        .size:           4
        .value_kind:     by_value
      - .offset:         32
        .size:           8
        .value_kind:     by_value
      - .actual_access:  read_only
        .address_space:  global
        .offset:         40
        .size:           8
        .value_kind:     global_buffer
      - .offset:         48
        .size:           8
        .value_kind:     by_value
      - .offset:         56
        .size:           4
        .value_kind:     by_value
      - .offset:         64
        .size:           8
        .value_kind:     by_value
      - .offset:         72
        .size:           4
        .value_kind:     by_value
      - .actual_access:  read_only
        .address_space:  global
        .offset:         80
        .size:           8
        .value_kind:     global_buffer
      - .actual_access:  write_only
        .address_space:  global
        .offset:         88
        .size:           8
        .value_kind:     global_buffer
      - .offset:         96
        .size:           4
        .value_kind:     hidden_block_count_x
      - .offset:         100
        .size:           4
        .value_kind:     hidden_block_count_y
      - .offset:         104
        .size:           4
        .value_kind:     hidden_block_count_z
      - .offset:         108
        .size:           2
        .value_kind:     hidden_group_size_x
      - .offset:         110
        .size:           2
        .value_kind:     hidden_group_size_y
      - .offset:         112
        .size:           2
        .value_kind:     hidden_group_size_z
      - .offset:         114
        .size:           2
        .value_kind:     hidden_remainder_x
      - .offset:         116
        .size:           2
        .value_kind:     hidden_remainder_y
      - .offset:         118
        .size:           2
        .value_kind:     hidden_remainder_z
      - .offset:         136
        .size:           8
        .value_kind:     hidden_global_offset_x
      - .offset:         144
        .size:           8
        .value_kind:     hidden_global_offset_y
      - .offset:         152
        .size:           8
        .value_kind:     hidden_global_offset_z
      - .offset:         160
        .size:           2
        .value_kind:     hidden_grid_dims
    .group_segment_fixed_size: 512
    .kernarg_segment_align: 8
    .kernarg_segment_size: 352
    .language:       OpenCL C
    .language_version:
      - 2
      - 0
    .max_flat_workgroup_size: 1024
    .name:           _ZL18rocblas_dot_kernelIiLb1ELi1024ELi32ELb1EdPKddEviT5_lT_lS2_lS3_liPT6_PT4_
    .private_segment_fixed_size: 0
    .sgpr_count:     28
    .sgpr_spill_count: 0
    .symbol:         _ZL18rocblas_dot_kernelIiLb1ELi1024ELi32ELb1EdPKddEviT5_lT_lS2_lS3_liPT6_PT4_.kd
    .uniform_work_group_size: 1
    .uses_dynamic_stack: false
    .vgpr_count:     14
    .vgpr_spill_count: 0
    .wavefront_size: 64
  - .agpr_count:     0
    .args:
      - .offset:         0
        .size:           4
        .value_kind:     by_value
      - .actual_access:  read_only
        .address_space:  global
        .offset:         8
        .size:           8
        .value_kind:     global_buffer
      - .offset:         16
        .size:           8
        .value_kind:     by_value
      - .offset:         24
        .size:           4
        .value_kind:     by_value
      - .offset:         32
        .size:           8
        .value_kind:     by_value
      - .offset:         40
        .size:           4
        .value_kind:     by_value
      - .actual_access:  read_only
        .address_space:  global
        .offset:         48
        .size:           8
        .value_kind:     global_buffer
      - .actual_access:  write_only
        .address_space:  global
        .offset:         56
        .size:           8
        .value_kind:     global_buffer
      - .offset:         64
        .size:           4
        .value_kind:     hidden_block_count_x
      - .offset:         68
        .size:           4
        .value_kind:     hidden_block_count_y
      - .offset:         72
        .size:           4
        .value_kind:     hidden_block_count_z
      - .offset:         76
        .size:           2
        .value_kind:     hidden_group_size_x
      - .offset:         78
        .size:           2
        .value_kind:     hidden_group_size_y
      - .offset:         80
        .size:           2
        .value_kind:     hidden_group_size_z
      - .offset:         82
        .size:           2
        .value_kind:     hidden_remainder_x
      - .offset:         84
        .size:           2
        .value_kind:     hidden_remainder_y
      - .offset:         86
        .size:           2
        .value_kind:     hidden_remainder_z
      - .offset:         104
        .size:           8
        .value_kind:     hidden_global_offset_x
      - .offset:         112
        .size:           8
        .value_kind:     hidden_global_offset_y
      - .offset:         120
        .size:           8
        .value_kind:     hidden_global_offset_z
      - .offset:         128
        .size:           2
        .value_kind:     hidden_grid_dims
    .group_segment_fixed_size: 512
    .kernarg_segment_align: 8
    .kernarg_segment_size: 320
    .language:       OpenCL C
    .language_version:
      - 2
      - 0
    .max_flat_workgroup_size: 1024
    .name:           _ZL24rocblas_dot_kernel_magsqIiLb1ELi1024ELi32ELb1EdPKddEviT5_lT_liPT6_PT4_
    .private_segment_fixed_size: 0
    .sgpr_count:     24
    .sgpr_spill_count: 0
    .symbol:         _ZL24rocblas_dot_kernel_magsqIiLb1ELi1024ELi32ELb1EdPKddEviT5_lT_liPT6_PT4_.kd
    .uniform_work_group_size: 1
    .uses_dynamic_stack: false
    .vgpr_count:     12
    .vgpr_spill_count: 0
    .wavefront_size: 64
  - .agpr_count:     0
    .args:
      - .offset:         0
        .size:           4
        .value_kind:     by_value
      - .actual_access:  read_only
        .address_space:  global
        .offset:         8
        .size:           8
        .value_kind:     global_buffer
      - .offset:         16
        .size:           8
        .value_kind:     by_value
      - .offset:         24
        .size:           8
        .value_kind:     by_value
      - .actual_access:  read_only
        .address_space:  global
        .offset:         32
        .size:           8
        .value_kind:     global_buffer
      - .offset:         40
        .size:           8
        .value_kind:     by_value
      - .offset:         48
        .size:           8
        .value_kind:     by_value
      - .offset:         56
        .size:           4
        .value_kind:     by_value
      - .actual_access:  write_only
        .address_space:  global
        .offset:         64
        .size:           8
        .value_kind:     global_buffer
      - .actual_access:  write_only
        .address_space:  global
        .offset:         72
        .size:           8
        .value_kind:     global_buffer
      - .offset:         80
        .size:           4
        .value_kind:     hidden_block_count_x
      - .offset:         84
        .size:           4
        .value_kind:     hidden_block_count_y
      - .offset:         88
        .size:           4
        .value_kind:     hidden_block_count_z
      - .offset:         92
        .size:           2
        .value_kind:     hidden_group_size_x
      - .offset:         94
        .size:           2
        .value_kind:     hidden_group_size_y
      - .offset:         96
        .size:           2
        .value_kind:     hidden_group_size_z
      - .offset:         98
        .size:           2
        .value_kind:     hidden_remainder_x
      - .offset:         100
        .size:           2
        .value_kind:     hidden_remainder_y
      - .offset:         102
        .size:           2
        .value_kind:     hidden_remainder_z
      - .offset:         120
        .size:           8
        .value_kind:     hidden_global_offset_x
      - .offset:         128
        .size:           8
        .value_kind:     hidden_global_offset_y
      - .offset:         136
        .size:           8
        .value_kind:     hidden_global_offset_z
      - .offset:         144
        .size:           2
        .value_kind:     hidden_grid_dims
    .group_segment_fixed_size: 512
    .kernarg_segment_align: 8
    .kernarg_segment_size: 336
    .language:       OpenCL C
    .language_version:
      - 2
      - 0
    .max_flat_workgroup_size: 512
    .name:           _ZL23rocblas_dot_kernel_inc1ILb0ELi512ELi2ELb1EdPKddEviT4_llS2_lliPT5_PT3_
    .private_segment_fixed_size: 0
    .sgpr_count:     26
    .sgpr_spill_count: 0
    .symbol:         _ZL23rocblas_dot_kernel_inc1ILb0ELi512ELi2ELb1EdPKddEviT4_llS2_lliPT5_PT3_.kd
    .uniform_work_group_size: 1
    .uses_dynamic_stack: false
    .vgpr_count:     11
    .vgpr_spill_count: 0
    .wavefront_size: 64
  - .agpr_count:     0
    .args:
      - .offset:         0
        .size:           4
        .value_kind:     by_value
      - .actual_access:  read_only
        .address_space:  global
        .offset:         8
        .size:           8
        .value_kind:     global_buffer
      - .offset:         16
        .size:           8
        .value_kind:     by_value
      - .offset:         24
        .size:           4
        .value_kind:     by_value
      - .offset:         32
        .size:           8
        .value_kind:     by_value
      - .actual_access:  read_only
        .address_space:  global
        .offset:         40
        .size:           8
        .value_kind:     global_buffer
      - .offset:         48
        .size:           8
        .value_kind:     by_value
      - .offset:         56
        .size:           4
        .value_kind:     by_value
      - .offset:         64
        .size:           8
        .value_kind:     by_value
      - .offset:         72
        .size:           4
        .value_kind:     by_value
      - .actual_access:  write_only
        .address_space:  global
        .offset:         80
        .size:           8
        .value_kind:     global_buffer
      - .actual_access:  write_only
        .address_space:  global
        .offset:         88
        .size:           8
        .value_kind:     global_buffer
      - .offset:         96
        .size:           4
        .value_kind:     hidden_block_count_x
      - .offset:         100
        .size:           4
        .value_kind:     hidden_block_count_y
      - .offset:         104
        .size:           4
        .value_kind:     hidden_block_count_z
      - .offset:         108
        .size:           2
        .value_kind:     hidden_group_size_x
      - .offset:         110
        .size:           2
        .value_kind:     hidden_group_size_y
      - .offset:         112
        .size:           2
        .value_kind:     hidden_group_size_z
      - .offset:         114
        .size:           2
        .value_kind:     hidden_remainder_x
      - .offset:         116
        .size:           2
        .value_kind:     hidden_remainder_y
      - .offset:         118
        .size:           2
        .value_kind:     hidden_remainder_z
      - .offset:         136
        .size:           8
        .value_kind:     hidden_global_offset_x
      - .offset:         144
        .size:           8
        .value_kind:     hidden_global_offset_y
      - .offset:         152
        .size:           8
        .value_kind:     hidden_global_offset_z
      - .offset:         160
        .size:           2
        .value_kind:     hidden_grid_dims
    .group_segment_fixed_size: 512
    .kernarg_segment_align: 8
    .kernarg_segment_size: 352
    .language:       OpenCL C
    .language_version:
      - 2
      - 0
    .max_flat_workgroup_size: 512
    .name:           _ZL18rocblas_dot_kernelIiLb0ELi512ELi2ELb1EdPKddEviT5_lT_lS2_lS3_liPT6_PT4_
    .private_segment_fixed_size: 0
    .sgpr_count:     30
    .sgpr_spill_count: 0
    .symbol:         _ZL18rocblas_dot_kernelIiLb0ELi512ELi2ELb1EdPKddEviT5_lT_lS2_lS3_liPT6_PT4_.kd
    .uniform_work_group_size: 1
    .uses_dynamic_stack: false
    .vgpr_count:     11
    .vgpr_spill_count: 0
    .wavefront_size: 64
  - .agpr_count:     0
    .args:
      - .offset:         0
        .size:           4
        .value_kind:     by_value
      - .actual_access:  read_only
        .address_space:  global
        .offset:         8
        .size:           8
        .value_kind:     global_buffer
      - .offset:         16
        .size:           8
        .value_kind:     by_value
      - .offset:         24
        .size:           4
        .value_kind:     by_value
      - .offset:         32
        .size:           8
        .value_kind:     by_value
      - .offset:         40
        .size:           4
        .value_kind:     by_value
      - .actual_access:  write_only
        .address_space:  global
        .offset:         48
        .size:           8
        .value_kind:     global_buffer
      - .actual_access:  write_only
        .address_space:  global
        .offset:         56
        .size:           8
        .value_kind:     global_buffer
      - .offset:         64
        .size:           4
        .value_kind:     hidden_block_count_x
      - .offset:         68
        .size:           4
        .value_kind:     hidden_block_count_y
      - .offset:         72
        .size:           4
        .value_kind:     hidden_block_count_z
      - .offset:         76
        .size:           2
        .value_kind:     hidden_group_size_x
      - .offset:         78
        .size:           2
        .value_kind:     hidden_group_size_y
      - .offset:         80
        .size:           2
        .value_kind:     hidden_group_size_z
      - .offset:         82
        .size:           2
        .value_kind:     hidden_remainder_x
      - .offset:         84
        .size:           2
        .value_kind:     hidden_remainder_y
      - .offset:         86
        .size:           2
        .value_kind:     hidden_remainder_z
      - .offset:         104
        .size:           8
        .value_kind:     hidden_global_offset_x
      - .offset:         112
        .size:           8
        .value_kind:     hidden_global_offset_y
      - .offset:         120
        .size:           8
        .value_kind:     hidden_global_offset_z
      - .offset:         128
        .size:           2
        .value_kind:     hidden_grid_dims
    .group_segment_fixed_size: 512
    .kernarg_segment_align: 8
    .kernarg_segment_size: 320
    .language:       OpenCL C
    .language_version:
      - 2
      - 0
    .max_flat_workgroup_size: 512
    .name:           _ZL24rocblas_dot_kernel_magsqIiLb0ELi512ELi2ELb1EdPKddEviT5_lT_liPT6_PT4_
    .private_segment_fixed_size: 0
    .sgpr_count:     21
    .sgpr_spill_count: 0
    .symbol:         _ZL24rocblas_dot_kernel_magsqIiLb0ELi512ELi2ELb1EdPKddEviT5_lT_liPT6_PT4_.kd
    .uniform_work_group_size: 1
    .uses_dynamic_stack: false
    .vgpr_count:     11
    .vgpr_spill_count: 0
    .wavefront_size: 64
  - .agpr_count:     0
    .args:
      - .offset:         0
        .size:           4
        .value_kind:     by_value
      - .actual_access:  read_only
        .address_space:  global
        .offset:         8
        .size:           8
        .value_kind:     global_buffer
      - .offset:         16
        .size:           8
        .value_kind:     by_value
      - .offset:         24
        .size:           8
        .value_kind:     by_value
      - .offset:         32
        .size:           8
        .value_kind:     by_value
      - .actual_access:  read_only
        .address_space:  global
        .offset:         40
        .size:           8
        .value_kind:     global_buffer
      - .offset:         48
        .size:           8
        .value_kind:     by_value
      - .offset:         56
        .size:           8
        .value_kind:     by_value
      - .offset:         64
        .size:           8
        .value_kind:     by_value
      - .offset:         72
        .size:           4
        .value_kind:     by_value
      - .actual_access:  write_only
        .address_space:  global
        .offset:         80
        .size:           8
        .value_kind:     global_buffer
    .group_segment_fixed_size: 0
    .kernarg_segment_align: 8
    .kernarg_segment_size: 88
    .language:       OpenCL C
    .language_version:
      - 2
      - 0
    .max_flat_workgroup_size: 128
    .name:           _ZL28rocblas_dot_batched_4_kernelIlLi32ELi4ELb1EddPKdEviT5_lT_lS2_lS3_liPT4_
    .private_segment_fixed_size: 0
    .sgpr_count:     28
    .sgpr_spill_count: 0
    .symbol:         _ZL28rocblas_dot_batched_4_kernelIlLi32ELi4ELb1EddPKdEviT5_lT_lS2_lS3_liPT4_.kd
    .uniform_work_group_size: 1
    .uses_dynamic_stack: false
    .vgpr_count:     16
    .vgpr_spill_count: 0
    .wavefront_size: 64
  - .agpr_count:     0
    .args:
      - .offset:         0
        .size:           4
        .value_kind:     by_value
      - .actual_access:  read_only
        .address_space:  global
        .offset:         8
        .size:           8
        .value_kind:     global_buffer
      - .offset:         16
        .size:           8
        .value_kind:     by_value
      - .offset:         24
        .size:           8
        .value_kind:     by_value
      - .offset:         32
        .size:           8
        .value_kind:     by_value
      - .actual_access:  read_only
        .address_space:  global
        .offset:         40
        .size:           8
        .value_kind:     global_buffer
      - .offset:         48
        .size:           8
        .value_kind:     by_value
      - .offset:         56
        .size:           8
        .value_kind:     by_value
      - .offset:         64
        .size:           8
        .value_kind:     by_value
      - .offset:         72
        .size:           4
        .value_kind:     by_value
      - .actual_access:  write_only
        .address_space:  global
        .offset:         80
        .size:           8
        .value_kind:     global_buffer
    .group_segment_fixed_size: 0
    .kernarg_segment_align: 8
    .kernarg_segment_size: 88
    .language:       OpenCL C
    .language_version:
      - 2
      - 0
    .max_flat_workgroup_size: 256
    .name:           _ZL28rocblas_dot_batched_4_kernelIlLi64ELi4ELb1EddPKdEviT5_lT_lS2_lS3_liPT4_
    .private_segment_fixed_size: 0
    .sgpr_count:     28
    .sgpr_spill_count: 0
    .symbol:         _ZL28rocblas_dot_batched_4_kernelIlLi64ELi4ELb1EddPKdEviT5_lT_lS2_lS3_liPT4_.kd
    .uniform_work_group_size: 1
    .uses_dynamic_stack: false
    .vgpr_count:     16
    .vgpr_spill_count: 0
    .wavefront_size: 64
  - .agpr_count:     0
    .args:
      - .offset:         0
        .size:           4
        .value_kind:     by_value
      - .actual_access:  read_only
        .address_space:  global
        .offset:         8
        .size:           8
        .value_kind:     global_buffer
      - .offset:         16
        .size:           8
        .value_kind:     by_value
      - .offset:         24
        .size:           8
        .value_kind:     by_value
      - .offset:         32
        .size:           8
        .value_kind:     by_value
      - .actual_access:  read_only
        .address_space:  global
        .offset:         40
        .size:           8
        .value_kind:     global_buffer
      - .offset:         48
        .size:           8
        .value_kind:     by_value
      - .offset:         56
        .size:           8
        .value_kind:     by_value
      - .offset:         64
        .size:           8
        .value_kind:     by_value
      - .offset:         72
        .size:           4
        .value_kind:     by_value
      - .actual_access:  read_only
        .address_space:  global
        .offset:         80
        .size:           8
        .value_kind:     global_buffer
      - .actual_access:  write_only
        .address_space:  global
        .offset:         88
        .size:           8
        .value_kind:     global_buffer
      - .offset:         96
        .size:           4
        .value_kind:     hidden_block_count_x
      - .offset:         100
        .size:           4
        .value_kind:     hidden_block_count_y
      - .offset:         104
        .size:           4
        .value_kind:     hidden_block_count_z
      - .offset:         108
        .size:           2
        .value_kind:     hidden_group_size_x
      - .offset:         110
        .size:           2
        .value_kind:     hidden_group_size_y
      - .offset:         112
        .size:           2
        .value_kind:     hidden_group_size_z
      - .offset:         114
        .size:           2
        .value_kind:     hidden_remainder_x
      - .offset:         116
        .size:           2
        .value_kind:     hidden_remainder_y
      - .offset:         118
        .size:           2
        .value_kind:     hidden_remainder_z
      - .offset:         136
        .size:           8
        .value_kind:     hidden_global_offset_x
      - .offset:         144
        .size:           8
        .value_kind:     hidden_global_offset_y
      - .offset:         152
        .size:           8
        .value_kind:     hidden_global_offset_z
      - .offset:         160
        .size:           2
        .value_kind:     hidden_grid_dims
    .group_segment_fixed_size: 512
    .kernarg_segment_align: 8
    .kernarg_segment_size: 352
    .language:       OpenCL C
    .language_version:
      - 2
      - 0
    .max_flat_workgroup_size: 1024
    .name:           _ZL18rocblas_dot_kernelIlLb1ELi1024ELi32ELb1EdPKddEviT5_lT_lS2_lS3_liPT6_PT4_
    .private_segment_fixed_size: 0
    .sgpr_count:     30
    .sgpr_spill_count: 0
    .symbol:         _ZL18rocblas_dot_kernelIlLb1ELi1024ELi32ELb1EdPKddEviT5_lT_lS2_lS3_liPT6_PT4_.kd
    .uniform_work_group_size: 1
    .uses_dynamic_stack: false
    .vgpr_count:     14
    .vgpr_spill_count: 0
    .wavefront_size: 64
  - .agpr_count:     0
    .args:
      - .offset:         0
        .size:           4
        .value_kind:     by_value
      - .actual_access:  read_only
        .address_space:  global
        .offset:         8
        .size:           8
        .value_kind:     global_buffer
      - .offset:         16
        .size:           8
        .value_kind:     by_value
      - .offset:         24
        .size:           8
        .value_kind:     by_value
      - .offset:         32
        .size:           8
        .value_kind:     by_value
      - .offset:         40
        .size:           4
        .value_kind:     by_value
      - .actual_access:  read_only
        .address_space:  global
        .offset:         48
        .size:           8
        .value_kind:     global_buffer
      - .actual_access:  write_only
        .address_space:  global
        .offset:         56
        .size:           8
        .value_kind:     global_buffer
      - .offset:         64
        .size:           4
        .value_kind:     hidden_block_count_x
      - .offset:         68
        .size:           4
        .value_kind:     hidden_block_count_y
      - .offset:         72
        .size:           4
        .value_kind:     hidden_block_count_z
      - .offset:         76
        .size:           2
        .value_kind:     hidden_group_size_x
      - .offset:         78
        .size:           2
        .value_kind:     hidden_group_size_y
      - .offset:         80
        .size:           2
        .value_kind:     hidden_group_size_z
      - .offset:         82
        .size:           2
        .value_kind:     hidden_remainder_x
      - .offset:         84
        .size:           2
        .value_kind:     hidden_remainder_y
      - .offset:         86
        .size:           2
        .value_kind:     hidden_remainder_z
      - .offset:         104
        .size:           8
        .value_kind:     hidden_global_offset_x
      - .offset:         112
        .size:           8
        .value_kind:     hidden_global_offset_y
      - .offset:         120
        .size:           8
        .value_kind:     hidden_global_offset_z
      - .offset:         128
        .size:           2
        .value_kind:     hidden_grid_dims
    .group_segment_fixed_size: 512
    .kernarg_segment_align: 8
    .kernarg_segment_size: 320
    .language:       OpenCL C
    .language_version:
      - 2
      - 0
    .max_flat_workgroup_size: 1024
    .name:           _ZL24rocblas_dot_kernel_magsqIlLb1ELi1024ELi32ELb1EdPKddEviT5_lT_liPT6_PT4_
    .private_segment_fixed_size: 0
    .sgpr_count:     24
    .sgpr_spill_count: 0
    .symbol:         _ZL24rocblas_dot_kernel_magsqIlLb1ELi1024ELi32ELb1EdPKddEviT5_lT_liPT6_PT4_.kd
    .uniform_work_group_size: 1
    .uses_dynamic_stack: false
    .vgpr_count:     12
    .vgpr_spill_count: 0
    .wavefront_size: 64
  - .agpr_count:     0
    .args:
      - .offset:         0
        .size:           4
        .value_kind:     by_value
      - .actual_access:  read_only
        .address_space:  global
        .offset:         8
        .size:           8
        .value_kind:     global_buffer
      - .offset:         16
        .size:           8
        .value_kind:     by_value
      - .offset:         24
        .size:           8
        .value_kind:     by_value
      - .offset:         32
        .size:           8
        .value_kind:     by_value
      - .actual_access:  read_only
        .address_space:  global
        .offset:         40
        .size:           8
        .value_kind:     global_buffer
      - .offset:         48
        .size:           8
        .value_kind:     by_value
      - .offset:         56
        .size:           8
        .value_kind:     by_value
      - .offset:         64
        .size:           8
        .value_kind:     by_value
      - .offset:         72
        .size:           4
        .value_kind:     by_value
      - .actual_access:  write_only
        .address_space:  global
        .offset:         80
        .size:           8
        .value_kind:     global_buffer
      - .actual_access:  write_only
        .address_space:  global
        .offset:         88
        .size:           8
        .value_kind:     global_buffer
      - .offset:         96
        .size:           4
        .value_kind:     hidden_block_count_x
      - .offset:         100
        .size:           4
        .value_kind:     hidden_block_count_y
      - .offset:         104
        .size:           4
        .value_kind:     hidden_block_count_z
      - .offset:         108
        .size:           2
        .value_kind:     hidden_group_size_x
      - .offset:         110
        .size:           2
        .value_kind:     hidden_group_size_y
      - .offset:         112
        .size:           2
        .value_kind:     hidden_group_size_z
      - .offset:         114
        .size:           2
        .value_kind:     hidden_remainder_x
      - .offset:         116
        .size:           2
        .value_kind:     hidden_remainder_y
      - .offset:         118
        .size:           2
        .value_kind:     hidden_remainder_z
      - .offset:         136
        .size:           8
        .value_kind:     hidden_global_offset_x
      - .offset:         144
        .size:           8
        .value_kind:     hidden_global_offset_y
      - .offset:         152
        .size:           8
        .value_kind:     hidden_global_offset_z
      - .offset:         160
        .size:           2
        .value_kind:     hidden_grid_dims
    .group_segment_fixed_size: 512
    .kernarg_segment_align: 8
    .kernarg_segment_size: 352
    .language:       OpenCL C
    .language_version:
      - 2
      - 0
    .max_flat_workgroup_size: 512
    .name:           _ZL18rocblas_dot_kernelIlLb0ELi512ELi2ELb1EdPKddEviT5_lT_lS2_lS3_liPT6_PT4_
    .private_segment_fixed_size: 0
    .sgpr_count:     30
    .sgpr_spill_count: 0
    .symbol:         _ZL18rocblas_dot_kernelIlLb0ELi512ELi2ELb1EdPKddEviT5_lT_lS2_lS3_liPT6_PT4_.kd
    .uniform_work_group_size: 1
    .uses_dynamic_stack: false
    .vgpr_count:     11
    .vgpr_spill_count: 0
    .wavefront_size: 64
  - .agpr_count:     0
    .args:
      - .offset:         0
        .size:           4
        .value_kind:     by_value
      - .actual_access:  read_only
        .address_space:  global
        .offset:         8
        .size:           8
        .value_kind:     global_buffer
      - .offset:         16
        .size:           8
        .value_kind:     by_value
      - .offset:         24
        .size:           8
        .value_kind:     by_value
      - .offset:         32
        .size:           8
        .value_kind:     by_value
      - .offset:         40
        .size:           4
        .value_kind:     by_value
      - .actual_access:  write_only
        .address_space:  global
        .offset:         48
        .size:           8
        .value_kind:     global_buffer
      - .actual_access:  write_only
        .address_space:  global
        .offset:         56
        .size:           8
        .value_kind:     global_buffer
      - .offset:         64
        .size:           4
        .value_kind:     hidden_block_count_x
      - .offset:         68
        .size:           4
        .value_kind:     hidden_block_count_y
      - .offset:         72
        .size:           4
        .value_kind:     hidden_block_count_z
      - .offset:         76
        .size:           2
        .value_kind:     hidden_group_size_x
      - .offset:         78
        .size:           2
        .value_kind:     hidden_group_size_y
      - .offset:         80
        .size:           2
        .value_kind:     hidden_group_size_z
      - .offset:         82
        .size:           2
        .value_kind:     hidden_remainder_x
      - .offset:         84
        .size:           2
        .value_kind:     hidden_remainder_y
      - .offset:         86
        .size:           2
        .value_kind:     hidden_remainder_z
      - .offset:         104
        .size:           8
        .value_kind:     hidden_global_offset_x
      - .offset:         112
        .size:           8
        .value_kind:     hidden_global_offset_y
      - .offset:         120
        .size:           8
        .value_kind:     hidden_global_offset_z
      - .offset:         128
        .size:           2
        .value_kind:     hidden_grid_dims
    .group_segment_fixed_size: 512
    .kernarg_segment_align: 8
    .kernarg_segment_size: 320
    .language:       OpenCL C
    .language_version:
      - 2
      - 0
    .max_flat_workgroup_size: 512
    .name:           _ZL24rocblas_dot_kernel_magsqIlLb0ELi512ELi2ELb1EdPKddEviT5_lT_liPT6_PT4_
    .private_segment_fixed_size: 0
    .sgpr_count:     22
    .sgpr_spill_count: 0
    .symbol:         _ZL24rocblas_dot_kernel_magsqIlLb0ELi512ELi2ELb1EdPKddEviT5_lT_liPT6_PT4_.kd
    .uniform_work_group_size: 1
    .uses_dynamic_stack: false
    .vgpr_count:     11
    .vgpr_spill_count: 0
    .wavefront_size: 64
  - .agpr_count:     0
    .args:
      - .offset:         0
        .size:           4
        .value_kind:     by_value
      - .actual_access:  read_only
        .address_space:  global
        .offset:         8
        .size:           8
        .value_kind:     global_buffer
      - .offset:         16
        .size:           8
        .value_kind:     by_value
      - .offset:         24
        .size:           4
        .value_kind:     by_value
      - .offset:         32
        .size:           8
        .value_kind:     by_value
      - .actual_access:  read_only
        .address_space:  global
        .offset:         40
        .size:           8
        .value_kind:     global_buffer
      - .offset:         48
        .size:           8
        .value_kind:     by_value
      - .offset:         56
        .size:           4
        .value_kind:     by_value
      - .offset:         64
        .size:           8
        .value_kind:     by_value
      - .offset:         72
        .size:           4
        .value_kind:     by_value
      - .actual_access:  write_only
        .address_space:  global
        .offset:         80
        .size:           8
        .value_kind:     global_buffer
    .group_segment_fixed_size: 0
    .kernarg_segment_align: 8
    .kernarg_segment_size: 88
    .language:       OpenCL C
    .language_version:
      - 2
      - 0
    .max_flat_workgroup_size: 128
    .name:           _ZL28rocblas_dot_batched_4_kernelIiLi32ELi4ELb1EddPKPKdEviT5_lT_lS4_lS5_liPT4_
    .private_segment_fixed_size: 0
    .sgpr_count:     22
    .sgpr_spill_count: 0
    .symbol:         _ZL28rocblas_dot_batched_4_kernelIiLi32ELi4ELb1EddPKPKdEviT5_lT_lS4_lS5_liPT4_.kd
    .uniform_work_group_size: 1
    .uses_dynamic_stack: false
    .vgpr_count:     16
    .vgpr_spill_count: 0
    .wavefront_size: 64
  - .agpr_count:     0
    .args:
      - .offset:         0
        .size:           4
        .value_kind:     by_value
      - .actual_access:  read_only
        .address_space:  global
        .offset:         8
        .size:           8
        .value_kind:     global_buffer
      - .offset:         16
        .size:           8
        .value_kind:     by_value
      - .offset:         24
        .size:           4
        .value_kind:     by_value
      - .offset:         32
        .size:           8
        .value_kind:     by_value
      - .actual_access:  read_only
        .address_space:  global
        .offset:         40
        .size:           8
        .value_kind:     global_buffer
      - .offset:         48
        .size:           8
        .value_kind:     by_value
      - .offset:         56
        .size:           4
        .value_kind:     by_value
      - .offset:         64
        .size:           8
        .value_kind:     by_value
      - .offset:         72
        .size:           4
        .value_kind:     by_value
      - .actual_access:  write_only
        .address_space:  global
        .offset:         80
        .size:           8
        .value_kind:     global_buffer
    .group_segment_fixed_size: 0
    .kernarg_segment_align: 8
    .kernarg_segment_size: 88
    .language:       OpenCL C
    .language_version:
      - 2
      - 0
    .max_flat_workgroup_size: 256
    .name:           _ZL28rocblas_dot_batched_4_kernelIiLi64ELi4ELb1EddPKPKdEviT5_lT_lS4_lS5_liPT4_
    .private_segment_fixed_size: 0
    .sgpr_count:     22
    .sgpr_spill_count: 0
    .symbol:         _ZL28rocblas_dot_batched_4_kernelIiLi64ELi4ELb1EddPKPKdEviT5_lT_lS4_lS5_liPT4_.kd
    .uniform_work_group_size: 1
    .uses_dynamic_stack: false
    .vgpr_count:     16
    .vgpr_spill_count: 0
    .wavefront_size: 64
  - .agpr_count:     0
    .args:
      - .offset:         0
        .size:           4
        .value_kind:     by_value
      - .actual_access:  read_only
        .address_space:  global
        .offset:         8
        .size:           8
        .value_kind:     global_buffer
      - .offset:         16
        .size:           8
        .value_kind:     by_value
      - .offset:         24
        .size:           8
        .value_kind:     by_value
      - .actual_access:  read_only
        .address_space:  global
        .offset:         32
        .size:           8
        .value_kind:     global_buffer
      - .offset:         40
        .size:           8
        .value_kind:     by_value
      - .offset:         48
        .size:           8
        .value_kind:     by_value
      - .offset:         56
        .size:           4
        .value_kind:     by_value
      - .actual_access:  read_only
        .address_space:  global
        .offset:         64
        .size:           8
        .value_kind:     global_buffer
      - .actual_access:  write_only
        .address_space:  global
        .offset:         72
        .size:           8
        .value_kind:     global_buffer
    .group_segment_fixed_size: 512
    .kernarg_segment_align: 8
    .kernarg_segment_size: 80
    .language:       OpenCL C
    .language_version:
      - 2
      - 0
    .max_flat_workgroup_size: 1024
    .name:           _ZL26rocblas_dot_kernel_inc1by2ILb1ELi1024ELi32ELb1EdPKPKddEviT4_llS4_lliPT5_PT3_
    .private_segment_fixed_size: 0
    .sgpr_count:     24
    .sgpr_spill_count: 0
    .symbol:         _ZL26rocblas_dot_kernel_inc1by2ILb1ELi1024ELi32ELb1EdPKPKddEviT4_llS4_lliPT5_PT3_.kd
    .uniform_work_group_size: 1
    .uses_dynamic_stack: false
    .vgpr_count:     12
    .vgpr_spill_count: 0
    .wavefront_size: 64
  - .agpr_count:     0
    .args:
      - .offset:         0
        .size:           4
        .value_kind:     by_value
      - .actual_access:  read_only
        .address_space:  global
        .offset:         8
        .size:           8
        .value_kind:     global_buffer
      - .offset:         16
        .size:           8
        .value_kind:     by_value
      - .offset:         24
        .size:           4
        .value_kind:     by_value
      - .offset:         32
        .size:           8
        .value_kind:     by_value
      - .actual_access:  read_only
        .address_space:  global
        .offset:         40
        .size:           8
        .value_kind:     global_buffer
      - .offset:         48
        .size:           8
        .value_kind:     by_value
      - .offset:         56
        .size:           4
        .value_kind:     by_value
      - .offset:         64
        .size:           8
        .value_kind:     by_value
      - .offset:         72
        .size:           4
        .value_kind:     by_value
      - .actual_access:  read_only
        .address_space:  global
        .offset:         80
        .size:           8
        .value_kind:     global_buffer
      - .actual_access:  write_only
        .address_space:  global
        .offset:         88
        .size:           8
        .value_kind:     global_buffer
      - .offset:         96
        .size:           4
        .value_kind:     hidden_block_count_x
      - .offset:         100
        .size:           4
        .value_kind:     hidden_block_count_y
      - .offset:         104
        .size:           4
        .value_kind:     hidden_block_count_z
      - .offset:         108
        .size:           2
        .value_kind:     hidden_group_size_x
      - .offset:         110
        .size:           2
        .value_kind:     hidden_group_size_y
      - .offset:         112
        .size:           2
        .value_kind:     hidden_group_size_z
      - .offset:         114
        .size:           2
        .value_kind:     hidden_remainder_x
      - .offset:         116
        .size:           2
        .value_kind:     hidden_remainder_y
      - .offset:         118
        .size:           2
        .value_kind:     hidden_remainder_z
      - .offset:         136
        .size:           8
        .value_kind:     hidden_global_offset_x
      - .offset:         144
        .size:           8
        .value_kind:     hidden_global_offset_y
      - .offset:         152
        .size:           8
        .value_kind:     hidden_global_offset_z
      - .offset:         160
        .size:           2
        .value_kind:     hidden_grid_dims
    .group_segment_fixed_size: 512
    .kernarg_segment_align: 8
    .kernarg_segment_size: 352
    .language:       OpenCL C
    .language_version:
      - 2
      - 0
    .max_flat_workgroup_size: 1024
    .name:           _ZL18rocblas_dot_kernelIiLb1ELi1024ELi32ELb1EdPKPKddEviT5_lT_lS4_lS5_liPT6_PT4_
    .private_segment_fixed_size: 0
    .sgpr_count:     29
    .sgpr_spill_count: 0
    .symbol:         _ZL18rocblas_dot_kernelIiLb1ELi1024ELi32ELb1EdPKPKddEviT5_lT_lS4_lS5_liPT6_PT4_.kd
    .uniform_work_group_size: 1
    .uses_dynamic_stack: false
    .vgpr_count:     14
    .vgpr_spill_count: 0
    .wavefront_size: 64
  - .agpr_count:     0
    .args:
      - .offset:         0
        .size:           4
        .value_kind:     by_value
      - .actual_access:  read_only
        .address_space:  global
        .offset:         8
        .size:           8
        .value_kind:     global_buffer
      - .offset:         16
        .size:           8
        .value_kind:     by_value
      - .offset:         24
        .size:           4
        .value_kind:     by_value
      - .offset:         32
        .size:           8
        .value_kind:     by_value
      - .offset:         40
        .size:           4
        .value_kind:     by_value
      - .actual_access:  read_only
        .address_space:  global
        .offset:         48
        .size:           8
        .value_kind:     global_buffer
      - .actual_access:  write_only
        .address_space:  global
        .offset:         56
        .size:           8
        .value_kind:     global_buffer
      - .offset:         64
        .size:           4
        .value_kind:     hidden_block_count_x
      - .offset:         68
        .size:           4
        .value_kind:     hidden_block_count_y
      - .offset:         72
        .size:           4
        .value_kind:     hidden_block_count_z
      - .offset:         76
        .size:           2
        .value_kind:     hidden_group_size_x
      - .offset:         78
        .size:           2
        .value_kind:     hidden_group_size_y
      - .offset:         80
        .size:           2
        .value_kind:     hidden_group_size_z
      - .offset:         82
        .size:           2
        .value_kind:     hidden_remainder_x
      - .offset:         84
        .size:           2
        .value_kind:     hidden_remainder_y
      - .offset:         86
        .size:           2
        .value_kind:     hidden_remainder_z
      - .offset:         104
        .size:           8
        .value_kind:     hidden_global_offset_x
      - .offset:         112
        .size:           8
        .value_kind:     hidden_global_offset_y
      - .offset:         120
        .size:           8
        .value_kind:     hidden_global_offset_z
      - .offset:         128
        .size:           2
        .value_kind:     hidden_grid_dims
    .group_segment_fixed_size: 512
    .kernarg_segment_align: 8
    .kernarg_segment_size: 320
    .language:       OpenCL C
    .language_version:
      - 2
      - 0
    .max_flat_workgroup_size: 1024
    .name:           _ZL24rocblas_dot_kernel_magsqIiLb1ELi1024ELi32ELb1EdPKPKddEviT5_lT_liPT6_PT4_
    .private_segment_fixed_size: 0
    .sgpr_count:     24
    .sgpr_spill_count: 0
    .symbol:         _ZL24rocblas_dot_kernel_magsqIiLb1ELi1024ELi32ELb1EdPKPKddEviT5_lT_liPT6_PT4_.kd
    .uniform_work_group_size: 1
    .uses_dynamic_stack: false
    .vgpr_count:     12
    .vgpr_spill_count: 0
    .wavefront_size: 64
  - .agpr_count:     0
    .args:
      - .offset:         0
        .size:           4
        .value_kind:     by_value
      - .actual_access:  read_only
        .address_space:  global
        .offset:         8
        .size:           8
        .value_kind:     global_buffer
      - .offset:         16
        .size:           8
        .value_kind:     by_value
      - .offset:         24
        .size:           8
        .value_kind:     by_value
      - .actual_access:  read_only
        .address_space:  global
        .offset:         32
        .size:           8
        .value_kind:     global_buffer
      - .offset:         40
        .size:           8
        .value_kind:     by_value
      - .offset:         48
        .size:           8
        .value_kind:     by_value
      - .offset:         56
        .size:           4
        .value_kind:     by_value
      - .actual_access:  write_only
        .address_space:  global
        .offset:         64
        .size:           8
        .value_kind:     global_buffer
      - .actual_access:  write_only
        .address_space:  global
        .offset:         72
        .size:           8
        .value_kind:     global_buffer
      - .offset:         80
        .size:           4
        .value_kind:     hidden_block_count_x
      - .offset:         84
        .size:           4
        .value_kind:     hidden_block_count_y
      - .offset:         88
        .size:           4
        .value_kind:     hidden_block_count_z
      - .offset:         92
        .size:           2
        .value_kind:     hidden_group_size_x
      - .offset:         94
        .size:           2
        .value_kind:     hidden_group_size_y
      - .offset:         96
        .size:           2
        .value_kind:     hidden_group_size_z
      - .offset:         98
        .size:           2
        .value_kind:     hidden_remainder_x
      - .offset:         100
        .size:           2
        .value_kind:     hidden_remainder_y
      - .offset:         102
        .size:           2
        .value_kind:     hidden_remainder_z
      - .offset:         120
        .size:           8
        .value_kind:     hidden_global_offset_x
      - .offset:         128
        .size:           8
        .value_kind:     hidden_global_offset_y
      - .offset:         136
        .size:           8
        .value_kind:     hidden_global_offset_z
      - .offset:         144
        .size:           2
        .value_kind:     hidden_grid_dims
    .group_segment_fixed_size: 512
    .kernarg_segment_align: 8
    .kernarg_segment_size: 336
    .language:       OpenCL C
    .language_version:
      - 2
      - 0
    .max_flat_workgroup_size: 512
    .name:           _ZL23rocblas_dot_kernel_inc1ILb0ELi512ELi2ELb1EdPKPKddEviT4_llS4_lliPT5_PT3_
    .private_segment_fixed_size: 0
    .sgpr_count:     24
    .sgpr_spill_count: 0
    .symbol:         _ZL23rocblas_dot_kernel_inc1ILb0ELi512ELi2ELb1EdPKPKddEviT4_llS4_lliPT5_PT3_.kd
    .uniform_work_group_size: 1
    .uses_dynamic_stack: false
    .vgpr_count:     11
    .vgpr_spill_count: 0
    .wavefront_size: 64
  - .agpr_count:     0
    .args:
      - .offset:         0
        .size:           4
        .value_kind:     by_value
      - .actual_access:  read_only
        .address_space:  global
        .offset:         8
        .size:           8
        .value_kind:     global_buffer
      - .offset:         16
        .size:           8
        .value_kind:     by_value
      - .offset:         24
        .size:           4
        .value_kind:     by_value
      - .offset:         32
        .size:           8
        .value_kind:     by_value
      - .actual_access:  read_only
        .address_space:  global
        .offset:         40
        .size:           8
        .value_kind:     global_buffer
      - .offset:         48
        .size:           8
        .value_kind:     by_value
      - .offset:         56
        .size:           4
        .value_kind:     by_value
      - .offset:         64
        .size:           8
        .value_kind:     by_value
      - .offset:         72
        .size:           4
        .value_kind:     by_value
      - .actual_access:  write_only
        .address_space:  global
        .offset:         80
        .size:           8
        .value_kind:     global_buffer
      - .actual_access:  write_only
        .address_space:  global
        .offset:         88
        .size:           8
        .value_kind:     global_buffer
      - .offset:         96
        .size:           4
        .value_kind:     hidden_block_count_x
      - .offset:         100
        .size:           4
        .value_kind:     hidden_block_count_y
      - .offset:         104
        .size:           4
        .value_kind:     hidden_block_count_z
      - .offset:         108
        .size:           2
        .value_kind:     hidden_group_size_x
      - .offset:         110
        .size:           2
        .value_kind:     hidden_group_size_y
      - .offset:         112
        .size:           2
        .value_kind:     hidden_group_size_z
      - .offset:         114
        .size:           2
        .value_kind:     hidden_remainder_x
      - .offset:         116
        .size:           2
        .value_kind:     hidden_remainder_y
      - .offset:         118
        .size:           2
        .value_kind:     hidden_remainder_z
      - .offset:         136
        .size:           8
        .value_kind:     hidden_global_offset_x
      - .offset:         144
        .size:           8
        .value_kind:     hidden_global_offset_y
      - .offset:         152
        .size:           8
        .value_kind:     hidden_global_offset_z
      - .offset:         160
        .size:           2
        .value_kind:     hidden_grid_dims
    .group_segment_fixed_size: 512
    .kernarg_segment_align: 8
    .kernarg_segment_size: 352
    .language:       OpenCL C
    .language_version:
      - 2
      - 0
    .max_flat_workgroup_size: 512
    .name:           _ZL18rocblas_dot_kernelIiLb0ELi512ELi2ELb1EdPKPKddEviT5_lT_lS4_lS5_liPT6_PT4_
    .private_segment_fixed_size: 0
    .sgpr_count:     28
    .sgpr_spill_count: 0
    .symbol:         _ZL18rocblas_dot_kernelIiLb0ELi512ELi2ELb1EdPKPKddEviT5_lT_lS4_lS5_liPT6_PT4_.kd
    .uniform_work_group_size: 1
    .uses_dynamic_stack: false
    .vgpr_count:     11
    .vgpr_spill_count: 0
    .wavefront_size: 64
  - .agpr_count:     0
    .args:
      - .offset:         0
        .size:           4
        .value_kind:     by_value
      - .actual_access:  read_only
        .address_space:  global
        .offset:         8
        .size:           8
        .value_kind:     global_buffer
      - .offset:         16
        .size:           8
        .value_kind:     by_value
      - .offset:         24
        .size:           4
        .value_kind:     by_value
      - .offset:         32
        .size:           8
        .value_kind:     by_value
      - .offset:         40
        .size:           4
        .value_kind:     by_value
      - .actual_access:  write_only
        .address_space:  global
        .offset:         48
        .size:           8
        .value_kind:     global_buffer
      - .actual_access:  write_only
        .address_space:  global
        .offset:         56
        .size:           8
        .value_kind:     global_buffer
      - .offset:         64
        .size:           4
        .value_kind:     hidden_block_count_x
      - .offset:         68
        .size:           4
        .value_kind:     hidden_block_count_y
      - .offset:         72
        .size:           4
        .value_kind:     hidden_block_count_z
      - .offset:         76
        .size:           2
        .value_kind:     hidden_group_size_x
      - .offset:         78
        .size:           2
        .value_kind:     hidden_group_size_y
      - .offset:         80
        .size:           2
        .value_kind:     hidden_group_size_z
      - .offset:         82
        .size:           2
        .value_kind:     hidden_remainder_x
      - .offset:         84
        .size:           2
        .value_kind:     hidden_remainder_y
      - .offset:         86
        .size:           2
        .value_kind:     hidden_remainder_z
      - .offset:         104
        .size:           8
        .value_kind:     hidden_global_offset_x
      - .offset:         112
        .size:           8
        .value_kind:     hidden_global_offset_y
      - .offset:         120
        .size:           8
        .value_kind:     hidden_global_offset_z
      - .offset:         128
        .size:           2
        .value_kind:     hidden_grid_dims
    .group_segment_fixed_size: 512
    .kernarg_segment_align: 8
    .kernarg_segment_size: 320
    .language:       OpenCL C
    .language_version:
      - 2
      - 0
    .max_flat_workgroup_size: 512
    .name:           _ZL24rocblas_dot_kernel_magsqIiLb0ELi512ELi2ELb1EdPKPKddEviT5_lT_liPT6_PT4_
    .private_segment_fixed_size: 0
    .sgpr_count:     20
    .sgpr_spill_count: 0
    .symbol:         _ZL24rocblas_dot_kernel_magsqIiLb0ELi512ELi2ELb1EdPKPKddEviT5_lT_liPT6_PT4_.kd
    .uniform_work_group_size: 1
    .uses_dynamic_stack: false
    .vgpr_count:     11
    .vgpr_spill_count: 0
    .wavefront_size: 64
  - .agpr_count:     0
    .args:
      - .offset:         0
        .size:           4
        .value_kind:     by_value
      - .actual_access:  read_only
        .address_space:  global
        .offset:         8
        .size:           8
        .value_kind:     global_buffer
      - .offset:         16
        .size:           8
        .value_kind:     by_value
      - .offset:         24
        .size:           8
        .value_kind:     by_value
      - .offset:         32
        .size:           8
        .value_kind:     by_value
      - .actual_access:  read_only
        .address_space:  global
        .offset:         40
        .size:           8
        .value_kind:     global_buffer
      - .offset:         48
        .size:           8
        .value_kind:     by_value
      - .offset:         56
        .size:           8
        .value_kind:     by_value
      - .offset:         64
        .size:           8
        .value_kind:     by_value
      - .offset:         72
        .size:           4
        .value_kind:     by_value
      - .actual_access:  write_only
        .address_space:  global
        .offset:         80
        .size:           8
        .value_kind:     global_buffer
    .group_segment_fixed_size: 0
    .kernarg_segment_align: 8
    .kernarg_segment_size: 88
    .language:       OpenCL C
    .language_version:
      - 2
      - 0
    .max_flat_workgroup_size: 128
    .name:           _ZL28rocblas_dot_batched_4_kernelIlLi32ELi4ELb1EddPKPKdEviT5_lT_lS4_lS5_liPT4_
    .private_segment_fixed_size: 0
    .sgpr_count:     24
    .sgpr_spill_count: 0
    .symbol:         _ZL28rocblas_dot_batched_4_kernelIlLi32ELi4ELb1EddPKPKdEviT5_lT_lS4_lS5_liPT4_.kd
    .uniform_work_group_size: 1
    .uses_dynamic_stack: false
    .vgpr_count:     21
    .vgpr_spill_count: 0
    .wavefront_size: 64
  - .agpr_count:     0
    .args:
      - .offset:         0
        .size:           4
        .value_kind:     by_value
      - .actual_access:  read_only
        .address_space:  global
        .offset:         8
        .size:           8
        .value_kind:     global_buffer
      - .offset:         16
        .size:           8
        .value_kind:     by_value
      - .offset:         24
        .size:           8
        .value_kind:     by_value
      - .offset:         32
        .size:           8
        .value_kind:     by_value
      - .actual_access:  read_only
        .address_space:  global
        .offset:         40
        .size:           8
        .value_kind:     global_buffer
      - .offset:         48
        .size:           8
        .value_kind:     by_value
      - .offset:         56
        .size:           8
        .value_kind:     by_value
      - .offset:         64
        .size:           8
        .value_kind:     by_value
      - .offset:         72
        .size:           4
        .value_kind:     by_value
      - .actual_access:  write_only
        .address_space:  global
        .offset:         80
        .size:           8
        .value_kind:     global_buffer
    .group_segment_fixed_size: 0
    .kernarg_segment_align: 8
    .kernarg_segment_size: 88
    .language:       OpenCL C
    .language_version:
      - 2
      - 0
    .max_flat_workgroup_size: 256
    .name:           _ZL28rocblas_dot_batched_4_kernelIlLi64ELi4ELb1EddPKPKdEviT5_lT_lS4_lS5_liPT4_
    .private_segment_fixed_size: 0
    .sgpr_count:     24
    .sgpr_spill_count: 0
    .symbol:         _ZL28rocblas_dot_batched_4_kernelIlLi64ELi4ELb1EddPKPKdEviT5_lT_lS4_lS5_liPT4_.kd
    .uniform_work_group_size: 1
    .uses_dynamic_stack: false
    .vgpr_count:     21
    .vgpr_spill_count: 0
    .wavefront_size: 64
  - .agpr_count:     0
    .args:
      - .offset:         0
        .size:           4
        .value_kind:     by_value
      - .actual_access:  read_only
        .address_space:  global
        .offset:         8
        .size:           8
        .value_kind:     global_buffer
      - .offset:         16
        .size:           8
        .value_kind:     by_value
      - .offset:         24
        .size:           8
        .value_kind:     by_value
      - .offset:         32
        .size:           8
        .value_kind:     by_value
      - .actual_access:  read_only
        .address_space:  global
        .offset:         40
        .size:           8
        .value_kind:     global_buffer
      - .offset:         48
        .size:           8
        .value_kind:     by_value
      - .offset:         56
        .size:           8
        .value_kind:     by_value
      - .offset:         64
        .size:           8
        .value_kind:     by_value
      - .offset:         72
        .size:           4
        .value_kind:     by_value
      - .actual_access:  read_only
        .address_space:  global
        .offset:         80
        .size:           8
        .value_kind:     global_buffer
      - .actual_access:  write_only
        .address_space:  global
        .offset:         88
        .size:           8
        .value_kind:     global_buffer
      - .offset:         96
        .size:           4
        .value_kind:     hidden_block_count_x
      - .offset:         100
        .size:           4
        .value_kind:     hidden_block_count_y
      - .offset:         104
        .size:           4
        .value_kind:     hidden_block_count_z
      - .offset:         108
        .size:           2
        .value_kind:     hidden_group_size_x
      - .offset:         110
        .size:           2
        .value_kind:     hidden_group_size_y
      - .offset:         112
        .size:           2
        .value_kind:     hidden_group_size_z
      - .offset:         114
        .size:           2
        .value_kind:     hidden_remainder_x
      - .offset:         116
        .size:           2
        .value_kind:     hidden_remainder_y
      - .offset:         118
        .size:           2
        .value_kind:     hidden_remainder_z
      - .offset:         136
        .size:           8
        .value_kind:     hidden_global_offset_x
      - .offset:         144
        .size:           8
        .value_kind:     hidden_global_offset_y
      - .offset:         152
        .size:           8
        .value_kind:     hidden_global_offset_z
      - .offset:         160
        .size:           2
        .value_kind:     hidden_grid_dims
    .group_segment_fixed_size: 512
    .kernarg_segment_align: 8
    .kernarg_segment_size: 352
    .language:       OpenCL C
    .language_version:
      - 2
      - 0
    .max_flat_workgroup_size: 1024
    .name:           _ZL18rocblas_dot_kernelIlLb1ELi1024ELi32ELb1EdPKPKddEviT5_lT_lS4_lS5_liPT6_PT4_
    .private_segment_fixed_size: 0
    .sgpr_count:     30
    .sgpr_spill_count: 0
    .symbol:         _ZL18rocblas_dot_kernelIlLb1ELi1024ELi32ELb1EdPKPKddEviT5_lT_lS4_lS5_liPT6_PT4_.kd
    .uniform_work_group_size: 1
    .uses_dynamic_stack: false
    .vgpr_count:     14
    .vgpr_spill_count: 0
    .wavefront_size: 64
  - .agpr_count:     0
    .args:
      - .offset:         0
        .size:           4
        .value_kind:     by_value
      - .actual_access:  read_only
        .address_space:  global
        .offset:         8
        .size:           8
        .value_kind:     global_buffer
      - .offset:         16
        .size:           8
        .value_kind:     by_value
      - .offset:         24
        .size:           8
        .value_kind:     by_value
      - .offset:         32
        .size:           8
        .value_kind:     by_value
      - .offset:         40
        .size:           4
        .value_kind:     by_value
      - .actual_access:  read_only
        .address_space:  global
        .offset:         48
        .size:           8
        .value_kind:     global_buffer
      - .actual_access:  write_only
        .address_space:  global
        .offset:         56
        .size:           8
        .value_kind:     global_buffer
      - .offset:         64
        .size:           4
        .value_kind:     hidden_block_count_x
      - .offset:         68
        .size:           4
        .value_kind:     hidden_block_count_y
      - .offset:         72
        .size:           4
        .value_kind:     hidden_block_count_z
      - .offset:         76
        .size:           2
        .value_kind:     hidden_group_size_x
      - .offset:         78
        .size:           2
        .value_kind:     hidden_group_size_y
      - .offset:         80
        .size:           2
        .value_kind:     hidden_group_size_z
      - .offset:         82
        .size:           2
        .value_kind:     hidden_remainder_x
      - .offset:         84
        .size:           2
        .value_kind:     hidden_remainder_y
      - .offset:         86
        .size:           2
        .value_kind:     hidden_remainder_z
      - .offset:         104
        .size:           8
        .value_kind:     hidden_global_offset_x
      - .offset:         112
        .size:           8
        .value_kind:     hidden_global_offset_y
      - .offset:         120
        .size:           8
        .value_kind:     hidden_global_offset_z
      - .offset:         128
        .size:           2
        .value_kind:     hidden_grid_dims
    .group_segment_fixed_size: 512
    .kernarg_segment_align: 8
    .kernarg_segment_size: 320
    .language:       OpenCL C
    .language_version:
      - 2
      - 0
    .max_flat_workgroup_size: 1024
    .name:           _ZL24rocblas_dot_kernel_magsqIlLb1ELi1024ELi32ELb1EdPKPKddEviT5_lT_liPT6_PT4_
    .private_segment_fixed_size: 0
    .sgpr_count:     24
    .sgpr_spill_count: 0
    .symbol:         _ZL24rocblas_dot_kernel_magsqIlLb1ELi1024ELi32ELb1EdPKPKddEviT5_lT_liPT6_PT4_.kd
    .uniform_work_group_size: 1
    .uses_dynamic_stack: false
    .vgpr_count:     12
    .vgpr_spill_count: 0
    .wavefront_size: 64
  - .agpr_count:     0
    .args:
      - .offset:         0
        .size:           4
        .value_kind:     by_value
      - .actual_access:  read_only
        .address_space:  global
        .offset:         8
        .size:           8
        .value_kind:     global_buffer
      - .offset:         16
        .size:           8
        .value_kind:     by_value
      - .offset:         24
        .size:           8
        .value_kind:     by_value
      - .offset:         32
        .size:           8
        .value_kind:     by_value
      - .actual_access:  read_only
        .address_space:  global
        .offset:         40
        .size:           8
        .value_kind:     global_buffer
      - .offset:         48
        .size:           8
        .value_kind:     by_value
      - .offset:         56
        .size:           8
        .value_kind:     by_value
      - .offset:         64
        .size:           8
        .value_kind:     by_value
      - .offset:         72
        .size:           4
        .value_kind:     by_value
      - .actual_access:  write_only
        .address_space:  global
        .offset:         80
        .size:           8
        .value_kind:     global_buffer
      - .actual_access:  write_only
        .address_space:  global
        .offset:         88
        .size:           8
        .value_kind:     global_buffer
      - .offset:         96
        .size:           4
        .value_kind:     hidden_block_count_x
      - .offset:         100
        .size:           4
        .value_kind:     hidden_block_count_y
      - .offset:         104
        .size:           4
        .value_kind:     hidden_block_count_z
      - .offset:         108
        .size:           2
        .value_kind:     hidden_group_size_x
      - .offset:         110
        .size:           2
        .value_kind:     hidden_group_size_y
      - .offset:         112
        .size:           2
        .value_kind:     hidden_group_size_z
      - .offset:         114
        .size:           2
        .value_kind:     hidden_remainder_x
      - .offset:         116
        .size:           2
        .value_kind:     hidden_remainder_y
      - .offset:         118
        .size:           2
        .value_kind:     hidden_remainder_z
      - .offset:         136
        .size:           8
        .value_kind:     hidden_global_offset_x
      - .offset:         144
        .size:           8
        .value_kind:     hidden_global_offset_y
      - .offset:         152
        .size:           8
        .value_kind:     hidden_global_offset_z
      - .offset:         160
        .size:           2
        .value_kind:     hidden_grid_dims
    .group_segment_fixed_size: 512
    .kernarg_segment_align: 8
    .kernarg_segment_size: 352
    .language:       OpenCL C
    .language_version:
      - 2
      - 0
    .max_flat_workgroup_size: 512
    .name:           _ZL18rocblas_dot_kernelIlLb0ELi512ELi2ELb1EdPKPKddEviT5_lT_lS4_lS5_liPT6_PT4_
    .private_segment_fixed_size: 0
    .sgpr_count:     28
    .sgpr_spill_count: 0
    .symbol:         _ZL18rocblas_dot_kernelIlLb0ELi512ELi2ELb1EdPKPKddEviT5_lT_lS4_lS5_liPT6_PT4_.kd
    .uniform_work_group_size: 1
    .uses_dynamic_stack: false
    .vgpr_count:     11
    .vgpr_spill_count: 0
    .wavefront_size: 64
  - .agpr_count:     0
    .args:
      - .offset:         0
        .size:           4
        .value_kind:     by_value
      - .actual_access:  read_only
        .address_space:  global
        .offset:         8
        .size:           8
        .value_kind:     global_buffer
      - .offset:         16
        .size:           8
        .value_kind:     by_value
      - .offset:         24
        .size:           8
        .value_kind:     by_value
      - .offset:         32
        .size:           8
        .value_kind:     by_value
      - .offset:         40
        .size:           4
        .value_kind:     by_value
      - .actual_access:  write_only
        .address_space:  global
        .offset:         48
        .size:           8
        .value_kind:     global_buffer
      - .actual_access:  write_only
        .address_space:  global
        .offset:         56
        .size:           8
        .value_kind:     global_buffer
      - .offset:         64
        .size:           4
        .value_kind:     hidden_block_count_x
      - .offset:         68
        .size:           4
        .value_kind:     hidden_block_count_y
      - .offset:         72
        .size:           4
        .value_kind:     hidden_block_count_z
      - .offset:         76
        .size:           2
        .value_kind:     hidden_group_size_x
      - .offset:         78
        .size:           2
        .value_kind:     hidden_group_size_y
      - .offset:         80
        .size:           2
        .value_kind:     hidden_group_size_z
      - .offset:         82
        .size:           2
        .value_kind:     hidden_remainder_x
      - .offset:         84
        .size:           2
        .value_kind:     hidden_remainder_y
      - .offset:         86
        .size:           2
        .value_kind:     hidden_remainder_z
      - .offset:         104
        .size:           8
        .value_kind:     hidden_global_offset_x
      - .offset:         112
        .size:           8
        .value_kind:     hidden_global_offset_y
      - .offset:         120
        .size:           8
        .value_kind:     hidden_global_offset_z
      - .offset:         128
        .size:           2
        .value_kind:     hidden_grid_dims
    .group_segment_fixed_size: 512
    .kernarg_segment_align: 8
    .kernarg_segment_size: 320
    .language:       OpenCL C
    .language_version:
      - 2
      - 0
    .max_flat_workgroup_size: 512
    .name:           _ZL24rocblas_dot_kernel_magsqIlLb0ELi512ELi2ELb1EdPKPKddEviT5_lT_liPT6_PT4_
    .private_segment_fixed_size: 0
    .sgpr_count:     22
    .sgpr_spill_count: 0
    .symbol:         _ZL24rocblas_dot_kernel_magsqIlLb0ELi512ELi2ELb1EdPKPKddEviT5_lT_liPT6_PT4_.kd
    .uniform_work_group_size: 1
    .uses_dynamic_stack: false
    .vgpr_count:     11
    .vgpr_spill_count: 0
    .wavefront_size: 64
amdhsa.target:   amdgcn-amd-amdhsa--gfx90a
amdhsa.version:
  - 1
  - 2
...

	.end_amdgpu_metadata
